;; amdgpu-corpus repo=ROCm/vllm kind=compiled arch=gfx942 opt=O3
	.text
	.amdgcn_target "amdgcn-amd-amdhsa--gfx942"
	.amdhsa_code_object_version 6
	.section	.text._ZL16dequantize_blockILi32ELi2EXadL_ZL15dequantize_q4_0PKviiR7__half2EEfEvS1_PT2_i,"axG",@progbits,_ZL16dequantize_blockILi32ELi2EXadL_ZL15dequantize_q4_0PKviiR7__half2EEfEvS1_PT2_i,comdat
	.globl	_ZL16dequantize_blockILi32ELi2EXadL_ZL15dequantize_q4_0PKviiR7__half2EEfEvS1_PT2_i ; -- Begin function _ZL16dequantize_blockILi32ELi2EXadL_ZL15dequantize_q4_0PKviiR7__half2EEfEvS1_PT2_i
	.p2align	8
	.type	_ZL16dequantize_blockILi32ELi2EXadL_ZL15dequantize_q4_0PKviiR7__half2EEfEvS1_PT2_i,@function
_ZL16dequantize_blockILi32ELi2EXadL_ZL15dequantize_q4_0PKviiR7__half2EEfEvS1_PT2_i: ; @_ZL16dequantize_blockILi32ELi2EXadL_ZL15dequantize_q4_0PKviiR7__half2EEfEvS1_PT2_i
; %bb.0:
	s_load_dword s3, s[0:1], 0x24
	s_load_dword s4, s[0:1], 0x10
	s_waitcnt lgkmcnt(0)
	s_and_b32 s3, s3, 0xffff
	s_mul_i32 s2, s2, s3
	v_add_lshl_u32 v0, s2, v0, 1
	v_cmp_gt_i32_e32 vcc, s4, v0
	s_and_saveexec_b64 s[2:3], vcc
	s_cbranch_execz .LBB0_2
; %bb.1:
	v_ashrrev_i32_e32 v1, 31, v0
	s_load_dwordx4 s[0:3], s[0:1], 0x0
	v_lshrrev_b32_e32 v1, 27, v1
	v_add_u32_e32 v1, v0, v1
	v_and_b32_e32 v6, 0xffffffe0, v1
	v_sub_u32_e32 v0, v0, v6
	v_ashrrev_i32_e32 v2, 5, v1
	v_ashrrev_i32_e32 v0, 1, v0
	s_waitcnt lgkmcnt(0)
	v_mad_i64_i32 v[2:3], s[0:1], v2, 18, s[0:1]
	v_ashrrev_i32_e32 v1, 31, v0
	v_lshl_add_u64 v[4:5], v[2:3], 0, v[0:1]
	global_load_ubyte v1, v[4:5], off offset:2
	global_load_ushort v7, v[2:3], off
	s_mov_b32 s0, 0xc800
	v_add_u32_e32 v0, v6, v0
	s_waitcnt vmcnt(1)
	v_and_b32_e32 v2, 15, v1
	v_lshrrev_b32_e32 v1, 4, v1
	v_cvt_f32_ubyte0_e32 v2, v2
	v_cvt_f32_ubyte0_e32 v1, v1
	v_cvt_f16_f32_e32 v2, v2
	v_cvt_f16_f32_e32 v1, v1
	v_pack_b32_f16 v1, v2, v1
	v_pk_add_f16 v1, v1, s0 op_sel_hi:[1,0]
	s_waitcnt vmcnt(0)
	v_pk_mul_f16 v1, v7, v1 op_sel_hi:[0,1]
	v_cvt_f32_f16_e32 v2, v1
	v_cvt_f32_f16_sdwa v3, v1 dst_sel:DWORD dst_unused:UNUSED_PAD src0_sel:WORD_1
	v_ashrrev_i32_e32 v1, 31, v0
	v_lshl_add_u64 v[0:1], v[0:1], 2, s[2:3]
	global_store_dword v[0:1], v2, off
	global_store_dword v[0:1], v3, off offset:64
.LBB0_2:
	s_endpgm
	.section	.rodata,"a",@progbits
	.p2align	6, 0x0
	.amdhsa_kernel _ZL16dequantize_blockILi32ELi2EXadL_ZL15dequantize_q4_0PKviiR7__half2EEfEvS1_PT2_i
		.amdhsa_group_segment_fixed_size 0
		.amdhsa_private_segment_fixed_size 0
		.amdhsa_kernarg_size 280
		.amdhsa_user_sgpr_count 2
		.amdhsa_user_sgpr_dispatch_ptr 0
		.amdhsa_user_sgpr_queue_ptr 0
		.amdhsa_user_sgpr_kernarg_segment_ptr 1
		.amdhsa_user_sgpr_dispatch_id 0
		.amdhsa_user_sgpr_kernarg_preload_length 0
		.amdhsa_user_sgpr_kernarg_preload_offset 0
		.amdhsa_user_sgpr_private_segment_size 0
		.amdhsa_uses_dynamic_stack 0
		.amdhsa_enable_private_segment 0
		.amdhsa_system_sgpr_workgroup_id_x 1
		.amdhsa_system_sgpr_workgroup_id_y 0
		.amdhsa_system_sgpr_workgroup_id_z 0
		.amdhsa_system_sgpr_workgroup_info 0
		.amdhsa_system_vgpr_workitem_id 0
		.amdhsa_next_free_vgpr 8
		.amdhsa_next_free_sgpr 5
		.amdhsa_accum_offset 8
		.amdhsa_reserve_vcc 1
		.amdhsa_float_round_mode_32 0
		.amdhsa_float_round_mode_16_64 0
		.amdhsa_float_denorm_mode_32 3
		.amdhsa_float_denorm_mode_16_64 3
		.amdhsa_dx10_clamp 1
		.amdhsa_ieee_mode 1
		.amdhsa_fp16_overflow 0
		.amdhsa_tg_split 0
		.amdhsa_exception_fp_ieee_invalid_op 0
		.amdhsa_exception_fp_denorm_src 0
		.amdhsa_exception_fp_ieee_div_zero 0
		.amdhsa_exception_fp_ieee_overflow 0
		.amdhsa_exception_fp_ieee_underflow 0
		.amdhsa_exception_fp_ieee_inexact 0
		.amdhsa_exception_int_div_zero 0
	.end_amdhsa_kernel
	.section	.text._ZL16dequantize_blockILi32ELi2EXadL_ZL15dequantize_q4_0PKviiR7__half2EEfEvS1_PT2_i,"axG",@progbits,_ZL16dequantize_blockILi32ELi2EXadL_ZL15dequantize_q4_0PKviiR7__half2EEfEvS1_PT2_i,comdat
.Lfunc_end0:
	.size	_ZL16dequantize_blockILi32ELi2EXadL_ZL15dequantize_q4_0PKviiR7__half2EEfEvS1_PT2_i, .Lfunc_end0-_ZL16dequantize_blockILi32ELi2EXadL_ZL15dequantize_q4_0PKviiR7__half2EEfEvS1_PT2_i
                                        ; -- End function
	.section	.AMDGPU.csdata,"",@progbits
; Kernel info:
; codeLenInByte = 244
; NumSgprs: 11
; NumVgprs: 8
; NumAgprs: 0
; TotalNumVgprs: 8
; ScratchSize: 0
; MemoryBound: 0
; FloatMode: 240
; IeeeMode: 1
; LDSByteSize: 0 bytes/workgroup (compile time only)
; SGPRBlocks: 1
; VGPRBlocks: 0
; NumSGPRsForWavesPerEU: 11
; NumVGPRsForWavesPerEU: 8
; AccumOffset: 8
; Occupancy: 8
; WaveLimiterHint : 0
; COMPUTE_PGM_RSRC2:SCRATCH_EN: 0
; COMPUTE_PGM_RSRC2:USER_SGPR: 2
; COMPUTE_PGM_RSRC2:TRAP_HANDLER: 0
; COMPUTE_PGM_RSRC2:TGID_X_EN: 1
; COMPUTE_PGM_RSRC2:TGID_Y_EN: 0
; COMPUTE_PGM_RSRC2:TGID_Z_EN: 0
; COMPUTE_PGM_RSRC2:TIDIG_COMP_CNT: 0
; COMPUTE_PGM_RSRC3_GFX90A:ACCUM_OFFSET: 1
; COMPUTE_PGM_RSRC3_GFX90A:TG_SPLIT: 0
	.section	.text._ZL16dequantize_blockILi32ELi2EXadL_ZL15dequantize_q4_1PKviiR7__half2EEfEvS1_PT2_i,"axG",@progbits,_ZL16dequantize_blockILi32ELi2EXadL_ZL15dequantize_q4_1PKviiR7__half2EEfEvS1_PT2_i,comdat
	.globl	_ZL16dequantize_blockILi32ELi2EXadL_ZL15dequantize_q4_1PKviiR7__half2EEfEvS1_PT2_i ; -- Begin function _ZL16dequantize_blockILi32ELi2EXadL_ZL15dequantize_q4_1PKviiR7__half2EEfEvS1_PT2_i
	.p2align	8
	.type	_ZL16dequantize_blockILi32ELi2EXadL_ZL15dequantize_q4_1PKviiR7__half2EEfEvS1_PT2_i,@function
_ZL16dequantize_blockILi32ELi2EXadL_ZL15dequantize_q4_1PKviiR7__half2EEfEvS1_PT2_i: ; @_ZL16dequantize_blockILi32ELi2EXadL_ZL15dequantize_q4_1PKviiR7__half2EEfEvS1_PT2_i
; %bb.0:
	s_load_dword s3, s[0:1], 0x24
	s_load_dword s4, s[0:1], 0x10
	s_waitcnt lgkmcnt(0)
	s_and_b32 s3, s3, 0xffff
	s_mul_i32 s2, s2, s3
	v_add_lshl_u32 v0, s2, v0, 1
	v_cmp_gt_i32_e32 vcc, s4, v0
	s_and_saveexec_b64 s[2:3], vcc
	s_cbranch_execz .LBB1_2
; %bb.1:
	v_ashrrev_i32_e32 v1, 31, v0
	s_load_dwordx4 s[0:3], s[0:1], 0x0
	v_lshrrev_b32_e32 v1, 27, v1
	v_add_u32_e32 v1, v0, v1
	v_and_b32_e32 v6, 0xffffffe0, v1
	v_sub_u32_e32 v0, v0, v6
	v_ashrrev_i32_e32 v2, 5, v1
	v_ashrrev_i32_e32 v0, 1, v0
	s_waitcnt lgkmcnt(0)
	v_mad_i64_i32 v[2:3], s[0:1], v2, 20, s[0:1]
	v_ashrrev_i32_e32 v1, 31, v0
	v_lshl_add_u64 v[4:5], v[2:3], 0, v[0:1]
	global_load_ubyte v1, v[4:5], off offset:4
	global_load_dword v7, v[2:3], off
	v_add_u32_e32 v0, v6, v0
	s_waitcnt vmcnt(1)
	v_and_b32_e32 v2, 15, v1
	v_lshrrev_b32_e32 v1, 4, v1
	v_cvt_f32_ubyte0_e32 v2, v2
	v_cvt_f32_ubyte0_e32 v1, v1
	v_cvt_f16_f32_e32 v2, v2
	v_cvt_f16_f32_e32 v1, v1
	v_pack_b32_f16 v1, v2, v1
	s_waitcnt vmcnt(0)
	v_pk_fma_f16 v1, v7, v1, v7 op_sel:[0,0,1] op_sel_hi:[0,1,1]
	v_cvt_f32_f16_e32 v2, v1
	v_cvt_f32_f16_sdwa v3, v1 dst_sel:DWORD dst_unused:UNUSED_PAD src0_sel:WORD_1
	v_ashrrev_i32_e32 v1, 31, v0
	v_lshl_add_u64 v[0:1], v[0:1], 2, s[2:3]
	global_store_dword v[0:1], v2, off
	global_store_dword v[0:1], v3, off offset:64
.LBB1_2:
	s_endpgm
	.section	.rodata,"a",@progbits
	.p2align	6, 0x0
	.amdhsa_kernel _ZL16dequantize_blockILi32ELi2EXadL_ZL15dequantize_q4_1PKviiR7__half2EEfEvS1_PT2_i
		.amdhsa_group_segment_fixed_size 0
		.amdhsa_private_segment_fixed_size 0
		.amdhsa_kernarg_size 280
		.amdhsa_user_sgpr_count 2
		.amdhsa_user_sgpr_dispatch_ptr 0
		.amdhsa_user_sgpr_queue_ptr 0
		.amdhsa_user_sgpr_kernarg_segment_ptr 1
		.amdhsa_user_sgpr_dispatch_id 0
		.amdhsa_user_sgpr_kernarg_preload_length 0
		.amdhsa_user_sgpr_kernarg_preload_offset 0
		.amdhsa_user_sgpr_private_segment_size 0
		.amdhsa_uses_dynamic_stack 0
		.amdhsa_enable_private_segment 0
		.amdhsa_system_sgpr_workgroup_id_x 1
		.amdhsa_system_sgpr_workgroup_id_y 0
		.amdhsa_system_sgpr_workgroup_id_z 0
		.amdhsa_system_sgpr_workgroup_info 0
		.amdhsa_system_vgpr_workitem_id 0
		.amdhsa_next_free_vgpr 8
		.amdhsa_next_free_sgpr 5
		.amdhsa_accum_offset 8
		.amdhsa_reserve_vcc 1
		.amdhsa_float_round_mode_32 0
		.amdhsa_float_round_mode_16_64 0
		.amdhsa_float_denorm_mode_32 3
		.amdhsa_float_denorm_mode_16_64 3
		.amdhsa_dx10_clamp 1
		.amdhsa_ieee_mode 1
		.amdhsa_fp16_overflow 0
		.amdhsa_tg_split 0
		.amdhsa_exception_fp_ieee_invalid_op 0
		.amdhsa_exception_fp_denorm_src 0
		.amdhsa_exception_fp_ieee_div_zero 0
		.amdhsa_exception_fp_ieee_overflow 0
		.amdhsa_exception_fp_ieee_underflow 0
		.amdhsa_exception_fp_ieee_inexact 0
		.amdhsa_exception_int_div_zero 0
	.end_amdhsa_kernel
	.section	.text._ZL16dequantize_blockILi32ELi2EXadL_ZL15dequantize_q4_1PKviiR7__half2EEfEvS1_PT2_i,"axG",@progbits,_ZL16dequantize_blockILi32ELi2EXadL_ZL15dequantize_q4_1PKviiR7__half2EEfEvS1_PT2_i,comdat
.Lfunc_end1:
	.size	_ZL16dequantize_blockILi32ELi2EXadL_ZL15dequantize_q4_1PKviiR7__half2EEfEvS1_PT2_i, .Lfunc_end1-_ZL16dequantize_blockILi32ELi2EXadL_ZL15dequantize_q4_1PKviiR7__half2EEfEvS1_PT2_i
                                        ; -- End function
	.section	.AMDGPU.csdata,"",@progbits
; Kernel info:
; codeLenInByte = 228
; NumSgprs: 11
; NumVgprs: 8
; NumAgprs: 0
; TotalNumVgprs: 8
; ScratchSize: 0
; MemoryBound: 0
; FloatMode: 240
; IeeeMode: 1
; LDSByteSize: 0 bytes/workgroup (compile time only)
; SGPRBlocks: 1
; VGPRBlocks: 0
; NumSGPRsForWavesPerEU: 11
; NumVGPRsForWavesPerEU: 8
; AccumOffset: 8
; Occupancy: 8
; WaveLimiterHint : 0
; COMPUTE_PGM_RSRC2:SCRATCH_EN: 0
; COMPUTE_PGM_RSRC2:USER_SGPR: 2
; COMPUTE_PGM_RSRC2:TRAP_HANDLER: 0
; COMPUTE_PGM_RSRC2:TGID_X_EN: 1
; COMPUTE_PGM_RSRC2:TGID_Y_EN: 0
; COMPUTE_PGM_RSRC2:TGID_Z_EN: 0
; COMPUTE_PGM_RSRC2:TIDIG_COMP_CNT: 0
; COMPUTE_PGM_RSRC3_GFX90A:ACCUM_OFFSET: 1
; COMPUTE_PGM_RSRC3_GFX90A:TG_SPLIT: 0
	.section	.text._ZL16dequantize_blockILi32ELi2EXadL_ZL15dequantize_q5_0PKviiR7__half2EEfEvS1_PT2_i,"axG",@progbits,_ZL16dequantize_blockILi32ELi2EXadL_ZL15dequantize_q5_0PKviiR7__half2EEfEvS1_PT2_i,comdat
	.globl	_ZL16dequantize_blockILi32ELi2EXadL_ZL15dequantize_q5_0PKviiR7__half2EEfEvS1_PT2_i ; -- Begin function _ZL16dequantize_blockILi32ELi2EXadL_ZL15dequantize_q5_0PKviiR7__half2EEfEvS1_PT2_i
	.p2align	8
	.type	_ZL16dequantize_blockILi32ELi2EXadL_ZL15dequantize_q5_0PKviiR7__half2EEfEvS1_PT2_i,@function
_ZL16dequantize_blockILi32ELi2EXadL_ZL15dequantize_q5_0PKviiR7__half2EEfEvS1_PT2_i: ; @_ZL16dequantize_blockILi32ELi2EXadL_ZL15dequantize_q5_0PKviiR7__half2EEfEvS1_PT2_i
; %bb.0:
	s_load_dword s3, s[0:1], 0x24
	s_load_dword s4, s[0:1], 0x10
	s_waitcnt lgkmcnt(0)
	s_and_b32 s3, s3, 0xffff
	s_mul_i32 s2, s2, s3
	v_add_lshl_u32 v0, s2, v0, 1
	v_cmp_gt_i32_e32 vcc, s4, v0
	s_and_saveexec_b64 s[2:3], vcc
	s_cbranch_execz .LBB2_2
; %bb.1:
	s_load_dwordx4 s[0:3], s[0:1], 0x0
	v_ashrrev_i32_e32 v1, 31, v0
	v_lshrrev_b32_e32 v1, 27, v1
	v_add_u32_e32 v1, v0, v1
	v_and_b32_e32 v4, 0xffffffe0, v1
	v_ashrrev_i32_e32 v2, 5, v1
	v_sub_u32_e32 v3, v0, v4
	s_waitcnt lgkmcnt(0)
	v_mad_i64_i32 v[0:1], s[0:1], v2, 22, s[0:1]
	v_ashrrev_i32_e32 v2, 1, v3
	global_load_dword v5, v[0:1], off
	global_load_ushort v6, v[0:1], off offset:4
	v_ashrrev_i32_e32 v3, 31, v2
	v_lshl_add_u64 v[0:1], v[0:1], 0, v[2:3]
	global_load_ubyte v0, v[0:1], off offset:6
	s_mov_b32 s0, 0x1000706
	v_add_u32_e32 v1, 12, v2
	s_waitcnt vmcnt(1)
	v_perm_b32 v3, v5, v6, s0
	v_lshrrev_b32_e32 v6, v2, v3
	v_lshrrev_b32_e32 v1, v1, v3
	v_lshlrev_b32_e32 v3, 4, v6
	s_waitcnt vmcnt(0)
	v_and_b32_e32 v6, 15, v0
	v_lshrrev_b16_e32 v0, 4, v0
	v_and_or_b32 v3, v3, 16, v6
	v_and_or_b32 v0, v1, 16, v0
	v_cvt_f32_ubyte0_e32 v1, v3
	v_cvt_f32_ubyte0_e32 v0, v0
	v_cvt_f16_f32_e32 v1, v1
	v_cvt_f16_f32_e32 v3, v0
	s_mov_b32 s0, 0xcc00
	v_add_u32_e32 v0, v4, v2
	v_pack_b32_f16 v1, v1, v3
	v_pk_add_f16 v1, v1, s0 op_sel_hi:[1,0]
	s_nop 0
	v_pk_mul_f16 v1, v5, v1 op_sel_hi:[0,1]
	v_cvt_f32_f16_e32 v2, v1
	v_cvt_f32_f16_sdwa v3, v1 dst_sel:DWORD dst_unused:UNUSED_PAD src0_sel:WORD_1
	v_ashrrev_i32_e32 v1, 31, v0
	v_lshl_add_u64 v[0:1], v[0:1], 2, s[2:3]
	global_store_dword v[0:1], v2, off
	global_store_dword v[0:1], v3, off offset:64
.LBB2_2:
	s_endpgm
	.section	.rodata,"a",@progbits
	.p2align	6, 0x0
	.amdhsa_kernel _ZL16dequantize_blockILi32ELi2EXadL_ZL15dequantize_q5_0PKviiR7__half2EEfEvS1_PT2_i
		.amdhsa_group_segment_fixed_size 0
		.amdhsa_private_segment_fixed_size 0
		.amdhsa_kernarg_size 280
		.amdhsa_user_sgpr_count 2
		.amdhsa_user_sgpr_dispatch_ptr 0
		.amdhsa_user_sgpr_queue_ptr 0
		.amdhsa_user_sgpr_kernarg_segment_ptr 1
		.amdhsa_user_sgpr_dispatch_id 0
		.amdhsa_user_sgpr_kernarg_preload_length 0
		.amdhsa_user_sgpr_kernarg_preload_offset 0
		.amdhsa_user_sgpr_private_segment_size 0
		.amdhsa_uses_dynamic_stack 0
		.amdhsa_enable_private_segment 0
		.amdhsa_system_sgpr_workgroup_id_x 1
		.amdhsa_system_sgpr_workgroup_id_y 0
		.amdhsa_system_sgpr_workgroup_id_z 0
		.amdhsa_system_sgpr_workgroup_info 0
		.amdhsa_system_vgpr_workitem_id 0
		.amdhsa_next_free_vgpr 7
		.amdhsa_next_free_sgpr 5
		.amdhsa_accum_offset 8
		.amdhsa_reserve_vcc 1
		.amdhsa_float_round_mode_32 0
		.amdhsa_float_round_mode_16_64 0
		.amdhsa_float_denorm_mode_32 3
		.amdhsa_float_denorm_mode_16_64 3
		.amdhsa_dx10_clamp 1
		.amdhsa_ieee_mode 1
		.amdhsa_fp16_overflow 0
		.amdhsa_tg_split 0
		.amdhsa_exception_fp_ieee_invalid_op 0
		.amdhsa_exception_fp_denorm_src 0
		.amdhsa_exception_fp_ieee_div_zero 0
		.amdhsa_exception_fp_ieee_overflow 0
		.amdhsa_exception_fp_ieee_underflow 0
		.amdhsa_exception_fp_ieee_inexact 0
		.amdhsa_exception_int_div_zero 0
	.end_amdhsa_kernel
	.section	.text._ZL16dequantize_blockILi32ELi2EXadL_ZL15dequantize_q5_0PKviiR7__half2EEfEvS1_PT2_i,"axG",@progbits,_ZL16dequantize_blockILi32ELi2EXadL_ZL15dequantize_q5_0PKviiR7__half2EEfEvS1_PT2_i,comdat
.Lfunc_end2:
	.size	_ZL16dequantize_blockILi32ELi2EXadL_ZL15dequantize_q5_0PKviiR7__half2EEfEvS1_PT2_i, .Lfunc_end2-_ZL16dequantize_blockILi32ELi2EXadL_ZL15dequantize_q5_0PKviiR7__half2EEfEvS1_PT2_i
                                        ; -- End function
	.section	.AMDGPU.csdata,"",@progbits
; Kernel info:
; codeLenInByte = 304
; NumSgprs: 11
; NumVgprs: 7
; NumAgprs: 0
; TotalNumVgprs: 7
; ScratchSize: 0
; MemoryBound: 0
; FloatMode: 240
; IeeeMode: 1
; LDSByteSize: 0 bytes/workgroup (compile time only)
; SGPRBlocks: 1
; VGPRBlocks: 0
; NumSGPRsForWavesPerEU: 11
; NumVGPRsForWavesPerEU: 7
; AccumOffset: 8
; Occupancy: 8
; WaveLimiterHint : 0
; COMPUTE_PGM_RSRC2:SCRATCH_EN: 0
; COMPUTE_PGM_RSRC2:USER_SGPR: 2
; COMPUTE_PGM_RSRC2:TRAP_HANDLER: 0
; COMPUTE_PGM_RSRC2:TGID_X_EN: 1
; COMPUTE_PGM_RSRC2:TGID_Y_EN: 0
; COMPUTE_PGM_RSRC2:TGID_Z_EN: 0
; COMPUTE_PGM_RSRC2:TIDIG_COMP_CNT: 0
; COMPUTE_PGM_RSRC3_GFX90A:ACCUM_OFFSET: 1
; COMPUTE_PGM_RSRC3_GFX90A:TG_SPLIT: 0
	.section	.text._ZL16dequantize_blockILi32ELi2EXadL_ZL15dequantize_q5_1PKviiR7__half2EEfEvS1_PT2_i,"axG",@progbits,_ZL16dequantize_blockILi32ELi2EXadL_ZL15dequantize_q5_1PKviiR7__half2EEfEvS1_PT2_i,comdat
	.globl	_ZL16dequantize_blockILi32ELi2EXadL_ZL15dequantize_q5_1PKviiR7__half2EEfEvS1_PT2_i ; -- Begin function _ZL16dequantize_blockILi32ELi2EXadL_ZL15dequantize_q5_1PKviiR7__half2EEfEvS1_PT2_i
	.p2align	8
	.type	_ZL16dequantize_blockILi32ELi2EXadL_ZL15dequantize_q5_1PKviiR7__half2EEfEvS1_PT2_i,@function
_ZL16dequantize_blockILi32ELi2EXadL_ZL15dequantize_q5_1PKviiR7__half2EEfEvS1_PT2_i: ; @_ZL16dequantize_blockILi32ELi2EXadL_ZL15dequantize_q5_1PKviiR7__half2EEfEvS1_PT2_i
; %bb.0:
	s_load_dword s3, s[0:1], 0x24
	s_load_dword s4, s[0:1], 0x10
	s_waitcnt lgkmcnt(0)
	s_and_b32 s3, s3, 0xffff
	s_mul_i32 s2, s2, s3
	v_add_lshl_u32 v0, s2, v0, 1
	v_cmp_gt_i32_e32 vcc, s4, v0
	s_and_saveexec_b64 s[2:3], vcc
	s_cbranch_execz .LBB3_2
; %bb.1:
	s_load_dwordx4 s[0:3], s[0:1], 0x0
	v_ashrrev_i32_e32 v1, 31, v0
	v_lshrrev_b32_e32 v1, 27, v1
	v_add_u32_e32 v1, v0, v1
	v_ashrrev_i32_e32 v2, 5, v1
	s_waitcnt lgkmcnt(0)
	v_mad_i64_i32 v[2:3], s[0:1], v2, 24, s[0:1]
	v_and_b32_e32 v6, 0xffffffe0, v1
	global_load_ushort v7, v[2:3], off offset:4
	global_load_ushort v8, v[2:3], off offset:6
	v_sub_u32_e32 v0, v0, v6
	v_ashrrev_i32_e32 v0, 1, v0
	v_ashrrev_i32_e32 v1, 31, v0
	v_lshl_add_u64 v[4:5], v[2:3], 0, v[0:1]
	global_load_ubyte v1, v[4:5], off offset:8
	global_load_dword v9, v[2:3], off
	v_add_u32_e32 v2, 12, v0
	s_waitcnt vmcnt(2)
	v_lshrrev_b16_e32 v3, 8, v8
	v_and_b32_e32 v4, 0xff, v8
	v_lshlrev_b32_e32 v3, 24, v3
	v_lshlrev_b32_e32 v4, 16, v4
	v_or3_b32 v3, v4, v7, v3
	v_lshrrev_b32_e32 v5, v0, v3
	s_waitcnt vmcnt(1)
	v_and_b32_e32 v4, 15, v1
	v_lshrrev_b16_e32 v1, 4, v1
	v_lshrrev_b32_e32 v2, v2, v3
	v_lshlrev_b32_e32 v3, 4, v5
	v_and_or_b32 v1, v2, 16, v1
	v_and_or_b32 v2, v3, 16, v4
	v_cvt_f32_ubyte0_e32 v1, v1
	v_cvt_f32_ubyte0_e32 v2, v2
	v_cvt_f16_f32_e32 v1, v1
	v_cvt_f16_f32_e32 v2, v2
	v_add_u32_e32 v0, v6, v0
	v_pack_b32_f16 v1, v2, v1
	s_waitcnt vmcnt(0)
	v_pk_fma_f16 v1, v9, v1, v9 op_sel:[0,0,1] op_sel_hi:[0,1,1]
	v_cvt_f32_f16_e32 v2, v1
	v_cvt_f32_f16_sdwa v3, v1 dst_sel:DWORD dst_unused:UNUSED_PAD src0_sel:WORD_1
	v_ashrrev_i32_e32 v1, 31, v0
	v_lshl_add_u64 v[0:1], v[0:1], 2, s[2:3]
	global_store_dword v[0:1], v2, off
	global_store_dword v[0:1], v3, off offset:64
.LBB3_2:
	s_endpgm
	.section	.rodata,"a",@progbits
	.p2align	6, 0x0
	.amdhsa_kernel _ZL16dequantize_blockILi32ELi2EXadL_ZL15dequantize_q5_1PKviiR7__half2EEfEvS1_PT2_i
		.amdhsa_group_segment_fixed_size 0
		.amdhsa_private_segment_fixed_size 0
		.amdhsa_kernarg_size 280
		.amdhsa_user_sgpr_count 2
		.amdhsa_user_sgpr_dispatch_ptr 0
		.amdhsa_user_sgpr_queue_ptr 0
		.amdhsa_user_sgpr_kernarg_segment_ptr 1
		.amdhsa_user_sgpr_dispatch_id 0
		.amdhsa_user_sgpr_kernarg_preload_length 0
		.amdhsa_user_sgpr_kernarg_preload_offset 0
		.amdhsa_user_sgpr_private_segment_size 0
		.amdhsa_uses_dynamic_stack 0
		.amdhsa_enable_private_segment 0
		.amdhsa_system_sgpr_workgroup_id_x 1
		.amdhsa_system_sgpr_workgroup_id_y 0
		.amdhsa_system_sgpr_workgroup_id_z 0
		.amdhsa_system_sgpr_workgroup_info 0
		.amdhsa_system_vgpr_workitem_id 0
		.amdhsa_next_free_vgpr 10
		.amdhsa_next_free_sgpr 5
		.amdhsa_accum_offset 12
		.amdhsa_reserve_vcc 1
		.amdhsa_float_round_mode_32 0
		.amdhsa_float_round_mode_16_64 0
		.amdhsa_float_denorm_mode_32 3
		.amdhsa_float_denorm_mode_16_64 3
		.amdhsa_dx10_clamp 1
		.amdhsa_ieee_mode 1
		.amdhsa_fp16_overflow 0
		.amdhsa_tg_split 0
		.amdhsa_exception_fp_ieee_invalid_op 0
		.amdhsa_exception_fp_denorm_src 0
		.amdhsa_exception_fp_ieee_div_zero 0
		.amdhsa_exception_fp_ieee_overflow 0
		.amdhsa_exception_fp_ieee_underflow 0
		.amdhsa_exception_fp_ieee_inexact 0
		.amdhsa_exception_int_div_zero 0
	.end_amdhsa_kernel
	.section	.text._ZL16dequantize_blockILi32ELi2EXadL_ZL15dequantize_q5_1PKviiR7__half2EEfEvS1_PT2_i,"axG",@progbits,_ZL16dequantize_blockILi32ELi2EXadL_ZL15dequantize_q5_1PKviiR7__half2EEfEvS1_PT2_i,comdat
.Lfunc_end3:
	.size	_ZL16dequantize_blockILi32ELi2EXadL_ZL15dequantize_q5_1PKviiR7__half2EEfEvS1_PT2_i, .Lfunc_end3-_ZL16dequantize_blockILi32ELi2EXadL_ZL15dequantize_q5_1PKviiR7__half2EEfEvS1_PT2_i
                                        ; -- End function
	.section	.AMDGPU.csdata,"",@progbits
; Kernel info:
; codeLenInByte = 308
; NumSgprs: 11
; NumVgprs: 10
; NumAgprs: 0
; TotalNumVgprs: 10
; ScratchSize: 0
; MemoryBound: 0
; FloatMode: 240
; IeeeMode: 1
; LDSByteSize: 0 bytes/workgroup (compile time only)
; SGPRBlocks: 1
; VGPRBlocks: 1
; NumSGPRsForWavesPerEU: 11
; NumVGPRsForWavesPerEU: 10
; AccumOffset: 12
; Occupancy: 8
; WaveLimiterHint : 0
; COMPUTE_PGM_RSRC2:SCRATCH_EN: 0
; COMPUTE_PGM_RSRC2:USER_SGPR: 2
; COMPUTE_PGM_RSRC2:TRAP_HANDLER: 0
; COMPUTE_PGM_RSRC2:TGID_X_EN: 1
; COMPUTE_PGM_RSRC2:TGID_Y_EN: 0
; COMPUTE_PGM_RSRC2:TGID_Z_EN: 0
; COMPUTE_PGM_RSRC2:TIDIG_COMP_CNT: 0
; COMPUTE_PGM_RSRC3_GFX90A:ACCUM_OFFSET: 2
; COMPUTE_PGM_RSRC3_GFX90A:TG_SPLIT: 0
	.section	.text._ZL16dequantize_blockILi32ELi1EXadL_ZL15dequantize_q8_0PKviiR7__half2EEfEvS1_PT2_i,"axG",@progbits,_ZL16dequantize_blockILi32ELi1EXadL_ZL15dequantize_q8_0PKviiR7__half2EEfEvS1_PT2_i,comdat
	.globl	_ZL16dequantize_blockILi32ELi1EXadL_ZL15dequantize_q8_0PKviiR7__half2EEfEvS1_PT2_i ; -- Begin function _ZL16dequantize_blockILi32ELi1EXadL_ZL15dequantize_q8_0PKviiR7__half2EEfEvS1_PT2_i
	.p2align	8
	.type	_ZL16dequantize_blockILi32ELi1EXadL_ZL15dequantize_q8_0PKviiR7__half2EEfEvS1_PT2_i,@function
_ZL16dequantize_blockILi32ELi1EXadL_ZL15dequantize_q8_0PKviiR7__half2EEfEvS1_PT2_i: ; @_ZL16dequantize_blockILi32ELi1EXadL_ZL15dequantize_q8_0PKviiR7__half2EEfEvS1_PT2_i
; %bb.0:
	s_load_dword s3, s[0:1], 0x24
	s_load_dword s4, s[0:1], 0x10
	s_waitcnt lgkmcnt(0)
	s_and_b32 s3, s3, 0xffff
	s_mul_i32 s2, s2, s3
	v_add_lshl_u32 v0, s2, v0, 1
	v_cmp_gt_i32_e32 vcc, s4, v0
	s_and_saveexec_b64 s[2:3], vcc
	s_cbranch_execz .LBB4_2
; %bb.1:
	s_load_dwordx4 s[0:3], s[0:1], 0x0
	v_ashrrev_i32_e32 v1, 31, v0
	v_lshrrev_b32_e32 v2, 27, v1
	v_add_u32_e32 v2, v0, v2
	v_ashrrev_i32_e32 v3, 5, v2
	v_and_b32_e32 v2, 0xffffffe0, v2
	v_sub_u32_e32 v2, v0, v2
	s_waitcnt lgkmcnt(0)
	v_mad_i64_i32 v[4:5], s[0:1], v3, 34, s[0:1]
	v_ashrrev_i32_e32 v3, 31, v2
	v_lshl_add_u64 v[2:3], v[4:5], 0, v[2:3]
	global_load_ushort v6, v[2:3], off offset:2
	global_load_ushort v7, v[4:5], off
	v_lshl_add_u64 v[0:1], v[0:1], 2, s[2:3]
	s_waitcnt vmcnt(1)
	v_cvt_f16_i16_sdwa v2, sext(v6) dst_sel:DWORD dst_unused:UNUSED_PAD src0_sel:BYTE_0
	v_cvt_f16_i16_sdwa v3, sext(v6) dst_sel:DWORD dst_unused:UNUSED_PAD src0_sel:BYTE_1
	v_pack_b32_f16 v2, v2, v3
	s_waitcnt vmcnt(0)
	v_pk_mul_f16 v3, v7, v2 op_sel_hi:[0,1]
	v_cvt_f32_f16_e32 v2, v3
	v_cvt_f32_f16_sdwa v3, v3 dst_sel:DWORD dst_unused:UNUSED_PAD src0_sel:WORD_1
	global_store_dwordx2 v[0:1], v[2:3], off
.LBB4_2:
	s_endpgm
	.section	.rodata,"a",@progbits
	.p2align	6, 0x0
	.amdhsa_kernel _ZL16dequantize_blockILi32ELi1EXadL_ZL15dequantize_q8_0PKviiR7__half2EEfEvS1_PT2_i
		.amdhsa_group_segment_fixed_size 0
		.amdhsa_private_segment_fixed_size 0
		.amdhsa_kernarg_size 280
		.amdhsa_user_sgpr_count 2
		.amdhsa_user_sgpr_dispatch_ptr 0
		.amdhsa_user_sgpr_queue_ptr 0
		.amdhsa_user_sgpr_kernarg_segment_ptr 1
		.amdhsa_user_sgpr_dispatch_id 0
		.amdhsa_user_sgpr_kernarg_preload_length 0
		.amdhsa_user_sgpr_kernarg_preload_offset 0
		.amdhsa_user_sgpr_private_segment_size 0
		.amdhsa_uses_dynamic_stack 0
		.amdhsa_enable_private_segment 0
		.amdhsa_system_sgpr_workgroup_id_x 1
		.amdhsa_system_sgpr_workgroup_id_y 0
		.amdhsa_system_sgpr_workgroup_id_z 0
		.amdhsa_system_sgpr_workgroup_info 0
		.amdhsa_system_vgpr_workitem_id 0
		.amdhsa_next_free_vgpr 8
		.amdhsa_next_free_sgpr 5
		.amdhsa_accum_offset 8
		.amdhsa_reserve_vcc 1
		.amdhsa_float_round_mode_32 0
		.amdhsa_float_round_mode_16_64 0
		.amdhsa_float_denorm_mode_32 3
		.amdhsa_float_denorm_mode_16_64 3
		.amdhsa_dx10_clamp 1
		.amdhsa_ieee_mode 1
		.amdhsa_fp16_overflow 0
		.amdhsa_tg_split 0
		.amdhsa_exception_fp_ieee_invalid_op 0
		.amdhsa_exception_fp_denorm_src 0
		.amdhsa_exception_fp_ieee_div_zero 0
		.amdhsa_exception_fp_ieee_overflow 0
		.amdhsa_exception_fp_ieee_underflow 0
		.amdhsa_exception_fp_ieee_inexact 0
		.amdhsa_exception_int_div_zero 0
	.end_amdhsa_kernel
	.section	.text._ZL16dequantize_blockILi32ELi1EXadL_ZL15dequantize_q8_0PKviiR7__half2EEfEvS1_PT2_i,"axG",@progbits,_ZL16dequantize_blockILi32ELi1EXadL_ZL15dequantize_q8_0PKviiR7__half2EEfEvS1_PT2_i,comdat
.Lfunc_end4:
	.size	_ZL16dequantize_blockILi32ELi1EXadL_ZL15dequantize_q8_0PKviiR7__half2EEfEvS1_PT2_i, .Lfunc_end4-_ZL16dequantize_blockILi32ELi1EXadL_ZL15dequantize_q8_0PKviiR7__half2EEfEvS1_PT2_i
                                        ; -- End function
	.section	.AMDGPU.csdata,"",@progbits
; Kernel info:
; codeLenInByte = 200
; NumSgprs: 11
; NumVgprs: 8
; NumAgprs: 0
; TotalNumVgprs: 8
; ScratchSize: 0
; MemoryBound: 0
; FloatMode: 240
; IeeeMode: 1
; LDSByteSize: 0 bytes/workgroup (compile time only)
; SGPRBlocks: 1
; VGPRBlocks: 0
; NumSGPRsForWavesPerEU: 11
; NumVGPRsForWavesPerEU: 8
; AccumOffset: 8
; Occupancy: 8
; WaveLimiterHint : 0
; COMPUTE_PGM_RSRC2:SCRATCH_EN: 0
; COMPUTE_PGM_RSRC2:USER_SGPR: 2
; COMPUTE_PGM_RSRC2:TRAP_HANDLER: 0
; COMPUTE_PGM_RSRC2:TGID_X_EN: 1
; COMPUTE_PGM_RSRC2:TGID_Y_EN: 0
; COMPUTE_PGM_RSRC2:TGID_Z_EN: 0
; COMPUTE_PGM_RSRC2:TIDIG_COMP_CNT: 0
; COMPUTE_PGM_RSRC3_GFX90A:ACCUM_OFFSET: 1
; COMPUTE_PGM_RSRC3_GFX90A:TG_SPLIT: 0
	.section	.text._ZL21dequantize_block_q2_KIfEvPKvPT_,"axG",@progbits,_ZL21dequantize_block_q2_KIfEvPKvPT_,comdat
	.globl	_ZL21dequantize_block_q2_KIfEvPKvPT_ ; -- Begin function _ZL21dequantize_block_q2_KIfEvPKvPT_
	.p2align	8
	.type	_ZL21dequantize_block_q2_KIfEvPKvPT_,@function
_ZL21dequantize_block_q2_KIfEvPKvPT_:   ; @_ZL21dequantize_block_q2_KIfEvPKvPT_
; %bb.0:
	s_load_dwordx4 s[4:7], s[0:1], 0x0
	s_mul_i32 s0, s2, 0x54
	v_lshrrev_b32_e32 v2, 5, v0
	v_bfe_u32 v1, v0, 4, 1
	s_mul_hi_u32 s1, s2, 0x54
	s_waitcnt lgkmcnt(0)
	s_add_u32 s0, s4, s0
	v_lshl_or_b32 v1, v2, 3, v1
	s_addc_u32 s1, s5, s1
	global_load_ubyte v4, v1, s[0:1]
	global_load_ubyte v5, v0, s[0:1] offset:16
	global_load_ubyte v6, v1, s[0:1] offset:2
	;; [unrolled: 1-line block ×4, first 2 shown]
	s_load_dword s3, s[0:1], 0x50
	s_mov_b32 s1, 0
	s_lshl_b32 s0, s2, 8
	s_lshl_b64 s[0:1], s[0:1], 2
	s_add_u32 s0, s6, s0
	v_mov_b32_e32 v1, 0
	v_and_b32_e32 v9, 31, v0
	v_lshlrev_b32_e32 v0, 9, v2
	s_addc_u32 s1, s7, s1
	v_lshl_add_u64 v[2:3], s[0:1], 0, v[0:1]
	v_lshlrev_b32_e32 v0, 2, v9
	v_lshl_add_u64 v[0:1], v[2:3], 0, v[0:1]
	s_waitcnt lgkmcnt(0)
	s_lshr_b32 s0, s3, 16
	s_waitcnt vmcnt(4)
	v_and_b32_e32 v2, 15, v4
	s_waitcnt vmcnt(3)
	v_and_b32_e32 v3, 3, v5
	v_lshrrev_b16_e32 v4, 4, v4
	s_waitcnt vmcnt(2)
	v_and_b32_e32 v9, 15, v6
	v_bfe_u32 v10, v5, 2, 2
	v_mul_u32_u24_sdwa v2, v3, v2 dst_sel:DWORD dst_unused:UNUSED_PAD src0_sel:DWORD src1_sel:WORD_0
	s_waitcnt vmcnt(1)
	v_and_b32_e32 v11, 15, v7
	v_bfe_u32 v12, v5, 4, 2
	v_cvt_f16_u16_e32 v3, v4
	v_mul_u32_u24_sdwa v4, v10, v9 dst_sel:DWORD dst_unused:UNUSED_PAD src0_sel:DWORD src1_sel:WORD_0
	v_cvt_f32_ubyte0_e32 v2, v2
	s_waitcnt vmcnt(0)
	v_and_b32_e32 v13, 15, v8
	v_lshrrev_b32_e32 v5, 6, v5
	v_mul_u32_u24_sdwa v9, v12, v11 dst_sel:DWORD dst_unused:UNUSED_PAD src0_sel:DWORD src1_sel:WORD_0
	v_cvt_f32_ubyte0_e32 v4, v4
	v_cvt_f16_f32_e32 v2, v2
	v_mul_u32_u24_sdwa v5, v5, v13 dst_sel:DWORD dst_unused:UNUSED_PAD src0_sel:DWORD src1_sel:WORD_0
	v_cvt_f32_ubyte0_e32 v9, v9
	v_cvt_f16_f32_e32 v4, v4
	v_lshrrev_b16_e32 v6, 4, v6
	v_cvt_f32_ubyte0_e32 v5, v5
	v_cvt_f16_f32_e32 v9, v9
	v_lshrrev_b16_e32 v7, 4, v7
	v_cvt_f16_u16_e32 v6, v6
	v_mul_f16_e32 v3, s0, v3
	v_cvt_f16_f32_e32 v5, v5
	v_lshrrev_b16_e32 v8, 4, v8
	v_cvt_f16_u16_e32 v7, v7
	v_mul_f16_e32 v6, s0, v6
	v_fma_f16 v2, s3, v2, -v3
	v_cvt_f16_u16_e32 v8, v8
	v_mul_f16_e32 v7, s0, v7
	v_fma_f16 v3, s3, v4, -v6
	v_cvt_f32_f16_e32 v2, v2
	v_mul_f16_e32 v8, s0, v8
	v_fma_f16 v4, s3, v9, -v7
	v_cvt_f32_f16_e32 v3, v3
	v_fma_f16 v5, s3, v5, -v8
	v_cvt_f32_f16_e32 v4, v4
	v_cvt_f32_f16_e32 v5, v5
	global_store_dword v[0:1], v2, off
	global_store_dword v[0:1], v3, off offset:128
	global_store_dword v[0:1], v4, off offset:256
	;; [unrolled: 1-line block ×3, first 2 shown]
	s_endpgm
	.section	.rodata,"a",@progbits
	.p2align	6, 0x0
	.amdhsa_kernel _ZL21dequantize_block_q2_KIfEvPKvPT_
		.amdhsa_group_segment_fixed_size 0
		.amdhsa_private_segment_fixed_size 0
		.amdhsa_kernarg_size 16
		.amdhsa_user_sgpr_count 2
		.amdhsa_user_sgpr_dispatch_ptr 0
		.amdhsa_user_sgpr_queue_ptr 0
		.amdhsa_user_sgpr_kernarg_segment_ptr 1
		.amdhsa_user_sgpr_dispatch_id 0
		.amdhsa_user_sgpr_kernarg_preload_length 0
		.amdhsa_user_sgpr_kernarg_preload_offset 0
		.amdhsa_user_sgpr_private_segment_size 0
		.amdhsa_uses_dynamic_stack 0
		.amdhsa_enable_private_segment 0
		.amdhsa_system_sgpr_workgroup_id_x 1
		.amdhsa_system_sgpr_workgroup_id_y 0
		.amdhsa_system_sgpr_workgroup_id_z 0
		.amdhsa_system_sgpr_workgroup_info 0
		.amdhsa_system_vgpr_workitem_id 0
		.amdhsa_next_free_vgpr 14
		.amdhsa_next_free_sgpr 8
		.amdhsa_accum_offset 16
		.amdhsa_reserve_vcc 0
		.amdhsa_float_round_mode_32 0
		.amdhsa_float_round_mode_16_64 0
		.amdhsa_float_denorm_mode_32 3
		.amdhsa_float_denorm_mode_16_64 3
		.amdhsa_dx10_clamp 1
		.amdhsa_ieee_mode 1
		.amdhsa_fp16_overflow 0
		.amdhsa_tg_split 0
		.amdhsa_exception_fp_ieee_invalid_op 0
		.amdhsa_exception_fp_denorm_src 0
		.amdhsa_exception_fp_ieee_div_zero 0
		.amdhsa_exception_fp_ieee_overflow 0
		.amdhsa_exception_fp_ieee_underflow 0
		.amdhsa_exception_fp_ieee_inexact 0
		.amdhsa_exception_int_div_zero 0
	.end_amdhsa_kernel
	.section	.text._ZL21dequantize_block_q2_KIfEvPKvPT_,"axG",@progbits,_ZL21dequantize_block_q2_KIfEvPKvPT_,comdat
.Lfunc_end5:
	.size	_ZL21dequantize_block_q2_KIfEvPKvPT_, .Lfunc_end5-_ZL21dequantize_block_q2_KIfEvPKvPT_
                                        ; -- End function
	.section	.AMDGPU.csdata,"",@progbits
; Kernel info:
; codeLenInByte = 420
; NumSgprs: 14
; NumVgprs: 14
; NumAgprs: 0
; TotalNumVgprs: 14
; ScratchSize: 0
; MemoryBound: 0
; FloatMode: 240
; IeeeMode: 1
; LDSByteSize: 0 bytes/workgroup (compile time only)
; SGPRBlocks: 1
; VGPRBlocks: 1
; NumSGPRsForWavesPerEU: 14
; NumVGPRsForWavesPerEU: 14
; AccumOffset: 16
; Occupancy: 8
; WaveLimiterHint : 0
; COMPUTE_PGM_RSRC2:SCRATCH_EN: 0
; COMPUTE_PGM_RSRC2:USER_SGPR: 2
; COMPUTE_PGM_RSRC2:TRAP_HANDLER: 0
; COMPUTE_PGM_RSRC2:TGID_X_EN: 1
; COMPUTE_PGM_RSRC2:TGID_Y_EN: 0
; COMPUTE_PGM_RSRC2:TGID_Z_EN: 0
; COMPUTE_PGM_RSRC2:TIDIG_COMP_CNT: 0
; COMPUTE_PGM_RSRC3_GFX90A:ACCUM_OFFSET: 3
; COMPUTE_PGM_RSRC3_GFX90A:TG_SPLIT: 0
	.section	.text._ZL21dequantize_block_q3_KIfEvPKvPT_,"axG",@progbits,_ZL21dequantize_block_q3_KIfEvPKvPT_,comdat
	.globl	_ZL21dequantize_block_q3_KIfEvPKvPT_ ; -- Begin function _ZL21dequantize_block_q3_KIfEvPKvPT_
	.p2align	8
	.type	_ZL21dequantize_block_q3_KIfEvPKvPT_,@function
_ZL21dequantize_block_q3_KIfEvPKvPT_:   ; @_ZL21dequantize_block_q3_KIfEvPKvPT_
; %bb.0:
	v_lshrrev_b32_e32 v8, 5, v0
	v_lshrrev_b32_e32 v6, 3, v0
	v_lshlrev_b32_e32 v1, 2, v8
	s_load_dwordx4 s[4:7], s[0:1], 0x0
	v_sub_u32_e32 v7, v6, v1
	v_lshlrev_b32_e32 v1, 1, v7
	v_bfe_u32 v9, v0, 2, 1
	v_lshl_add_u32 v11, v8, 3, v1
	v_or_b32_e32 v2, v11, v9
	v_cmp_lt_i32_e32 vcc, 3, v2
                                        ; implicit-def: $vgpr4_vgpr5
                                        ; implicit-def: $vgpr3
                                        ; implicit-def: $vgpr10
	s_and_saveexec_b64 s[0:1], vcc
	s_xor_b64 s[0:1], exec, s[0:1]
	s_cbranch_execz .LBB6_10
; %bb.1:
	v_cmp_lt_u32_e32 vcc, 7, v11
                                        ; implicit-def: $vgpr4_vgpr5
                                        ; implicit-def: $vgpr3
                                        ; implicit-def: $vgpr10
	s_and_saveexec_b64 s[8:9], vcc
	s_xor_b64 s[8:9], exec, s[8:9]
	s_cbranch_execz .LBB6_7
; %bb.2:
	s_mul_i32 s13, s2, 0x6e
	s_mul_hi_u32 s12, s2, 0x6e
	s_waitcnt lgkmcnt(0)
	s_add_u32 s10, s4, s13
	v_add_u32_e32 v3, -8, v2
	s_addc_u32 s11, s5, s12
	global_load_ubyte v3, v3, s[10:11] offset:96
	v_cmp_lt_u32_e32 vcc, 11, v11
	s_mov_b32 s3, 0
                                        ; implicit-def: $vgpr10
	s_waitcnt vmcnt(0)
	v_lshrrev_b16_e32 v3, 4, v3
	s_and_saveexec_b64 s[10:11], vcc
	s_xor_b64 s[10:11], exec, s[10:11]
	s_cbranch_execz .LBB6_4
; %bb.3:
	s_add_u32 s14, s4, s13
	v_add_u32_e32 v2, -4, v2
	s_addc_u32 s15, s5, s12
	global_load_ubyte v2, v2, s[14:15] offset:96
	s_waitcnt vmcnt(0)
	v_lshrrev_b16_e32 v10, 2, v2
                                        ; implicit-def: $vgpr2
.LBB6_4:
	s_or_saveexec_b64 s[10:11], s[10:11]
	v_mov_b64_e32 v[4:5], s[2:3]
	s_xor_b64 exec, exec, s[10:11]
	s_cbranch_execz .LBB6_6
; %bb.5:
	s_add_u32 s14, s4, s13
	s_addc_u32 s15, s5, s12
	global_load_ubyte v10, v2, s[14:15] offset:96
	v_mov_b64_e32 v[4:5], s[2:3]
.LBB6_6:
	s_or_b64 exec, exec, s[10:11]
                                        ; implicit-def: $vgpr2
.LBB6_7:
	s_andn2_saveexec_b64 s[8:9], s[8:9]
	s_cbranch_execz .LBB6_9
; %bb.8:
	s_mul_i32 s10, s2, 0x6e
	s_mul_hi_u32 s3, s2, 0x6e
	s_waitcnt lgkmcnt(0)
	s_add_u32 s10, s4, s10
	s_addc_u32 s11, s5, s3
	global_load_ubyte v3, v2, s[10:11] offset:96
	global_load_ubyte v4, v2, s[10:11] offset:100
	s_mov_b32 s3, 0
	s_waitcnt vmcnt(1)
	v_and_b32_e32 v3, 15, v3
	s_waitcnt vmcnt(0)
	v_lshlrev_b16_e32 v10, 2, v4
	v_mov_b64_e32 v[4:5], s[2:3]
.LBB6_9:
	s_or_b64 exec, exec, s[8:9]
                                        ; implicit-def: $vgpr2
.LBB6_10:
	s_andn2_saveexec_b64 s[0:1], s[0:1]
	s_cbranch_execz .LBB6_12
; %bb.11:
	s_mul_i32 s8, s2, 0x6e
	s_mul_hi_u32 s3, s2, 0x6e
	s_waitcnt lgkmcnt(0)
	s_add_u32 s8, s4, s8
	v_ashrrev_i32_e32 v3, 31, v2
	s_addc_u32 s9, s5, s3
	v_lshl_add_u64 v[2:3], s[8:9], 0, v[2:3]
	global_load_ubyte v4, v[2:3], off offset:96
	global_load_ubyte v5, v[2:3], off offset:104
	s_mov_b32 s3, 0
	s_waitcnt vmcnt(1)
	v_and_b32_e32 v3, 15, v4
	s_waitcnt vmcnt(0)
	v_lshlrev_b16_e32 v10, 4, v5
	v_mov_b64_e32 v[4:5], s[2:3]
.LBB6_12:
	s_or_b64 exec, exec, s[0:1]
	v_lshlrev_b32_e32 v2, 2, v0
	s_movk_i32 s3, 0x6e
	s_waitcnt lgkmcnt(0)
	v_mov_b64_e32 v[14:15], s[4:5]
	v_and_b32_e32 v2, 12, v2
	v_mad_u64_u32 v[14:15], s[0:1], v4, s3, v[14:15]
	v_lshl_or_b32 v12, v9, 4, v2
	v_mov_b32_e32 v2, v15
	v_mad_u64_u32 v[4:5], s[0:1], v5, s3, v[2:3]
	s_lshl_b32 s0, s2, 8
	s_mov_b32 s1, 0
	s_lshl_b64 s[0:1], s[0:1], 2
	s_add_u32 s0, s6, s0
	v_mov_b32_e32 v5, 0
	v_mov_b32_e32 v15, v4
	s_addc_u32 s1, s7, s1
	v_lshlrev_b32_e32 v4, 9, v8
	v_mov_b32_e32 v13, v5
	v_lshl_add_u64 v[8:9], s[0:1], 0, v[4:5]
	v_and_b32_e32 v4, 0x3e0, v0
	v_lshl_add_u64 v[16:17], v[14:15], 0, v[12:13]
	v_lshl_add_u64 v[18:19], v[16:17], 0, v[4:5]
	global_load_dword v0, v[18:19], off offset:32
	global_load_dword v2, v[16:17], off
	global_load_ushort v4, v[14:15], off offset:108
	s_waitcnt vmcnt(3)
	v_and_b32_e32 v10, 48, v10
	v_or_b32_e32 v3, v10, v3
	v_lshlrev_b32_e64 v10, v6, 1
	v_mov_b32_e32 v11, 32
	v_sub_u32_sdwa v3, v3, v11 dst_sel:DWORD dst_unused:UNUSED_PAD src0_sel:BYTE_0 src1_sel:DWORD
	v_lshlrev_b32_e32 v6, 5, v7
	v_cvt_f32_i32_e32 v3, v3
	v_cvt_f16_f32_e32 v3, v3
	s_waitcnt vmcnt(2)
	v_lshrrev_b32_sdwa v7, v1, v0 dst_sel:DWORD dst_unused:UNUSED_PAD src0_sel:DWORD src1_sel:BYTE_0
	s_waitcnt vmcnt(1)
	v_and_b32_e32 v14, v2, v10
	v_lshrrev_b32_sdwa v11, v1, v0 dst_sel:DWORD dst_unused:UNUSED_PAD src0_sel:DWORD src1_sel:BYTE_1
	v_lshrrev_b32_e32 v13, 8, v2
	v_lshrrev_b32_sdwa v15, v1, v0 dst_sel:DWORD dst_unused:UNUSED_PAD src0_sel:DWORD src1_sel:BYTE_3
	v_lshrrev_b32_sdwa v0, v1, v0 dst_sel:DWORD dst_unused:UNUSED_PAD src0_sel:DWORD src1_sel:BYTE_2
	v_and_b32_sdwa v1, v2, v10 dst_sel:DWORD dst_unused:UNUSED_PAD src0_sel:WORD_1 src1_sel:DWORD
	v_cmp_eq_u32_sdwa s[0:1], v14, v5 src0_sel:BYTE_0 src1_sel:DWORD
	v_and_b32_sdwa v2, v10, v2 dst_sel:DWORD dst_unused:UNUSED_PAD src0_sel:DWORD src1_sel:BYTE_3
	v_and_b32_e32 v10, v13, v10
	v_cndmask_b32_e64 v13, 0, -4, s[0:1]
	v_cmp_eq_u32_sdwa s[0:1], v1, v5 src0_sel:BYTE_0 src1_sel:DWORD
	v_cmp_eq_u32_e32 vcc, 0, v2
	v_and_or_b32 v7, v7, 3, v13
	v_cndmask_b32_e64 v1, 0, -4, s[0:1]
	v_cmp_eq_u32_sdwa s[0:1], v10, v5 src0_sel:BYTE_0 src1_sel:DWORD
	v_cndmask_b32_e64 v2, 0, -4, vcc
	v_and_or_b32 v0, v0, 3, v1
	v_cndmask_b32_e64 v10, 0, -4, s[0:1]
	v_and_or_b32 v1, v15, 3, v2
	v_and_or_b32 v2, v11, 3, v10
	v_cvt_f32_i32_e32 v7, v7
	v_cvt_f32_i32_e32 v1, v1
	v_cvt_f32_i32_e32 v0, v0
	v_cvt_f32_i32_e32 v2, v2
	v_cvt_f16_f32_e32 v10, v7
	v_cvt_f16_f32_e32 v1, v1
	;; [unrolled: 1-line block ×4, first 2 shown]
	s_waitcnt vmcnt(0)
	v_mul_f16_e32 v3, v4, v3
	v_ashrrev_i32_e32 v7, 31, v6
	v_pack_b32_f16 v0, v0, v1
	v_pack_b32_f16 v1, v10, v2
	v_pk_mul_f16 v4, v3, v0 op_sel_hi:[0,1]
	v_pk_mul_f16 v1, v3, v1 op_sel_hi:[0,1]
	v_cvt_f32_f16_e32 v2, v4
	v_cvt_f32_f16_e32 v0, v1
	v_cvt_f32_f16_sdwa v1, v1 dst_sel:DWORD dst_unused:UNUSED_PAD src0_sel:WORD_1
	v_cvt_f32_f16_sdwa v3, v4 dst_sel:DWORD dst_unused:UNUSED_PAD src0_sel:WORD_1
	v_lshl_add_u64 v[6:7], v[6:7], 2, v[8:9]
	v_lshlrev_b32_e32 v4, 2, v12
	v_lshl_add_u64 v[4:5], v[6:7], 0, v[4:5]
	global_store_dwordx4 v[4:5], v[0:3], off
	s_endpgm
	.section	.rodata,"a",@progbits
	.p2align	6, 0x0
	.amdhsa_kernel _ZL21dequantize_block_q3_KIfEvPKvPT_
		.amdhsa_group_segment_fixed_size 0
		.amdhsa_private_segment_fixed_size 0
		.amdhsa_kernarg_size 16
		.amdhsa_user_sgpr_count 2
		.amdhsa_user_sgpr_dispatch_ptr 0
		.amdhsa_user_sgpr_queue_ptr 0
		.amdhsa_user_sgpr_kernarg_segment_ptr 1
		.amdhsa_user_sgpr_dispatch_id 0
		.amdhsa_user_sgpr_kernarg_preload_length 0
		.amdhsa_user_sgpr_kernarg_preload_offset 0
		.amdhsa_user_sgpr_private_segment_size 0
		.amdhsa_uses_dynamic_stack 0
		.amdhsa_enable_private_segment 0
		.amdhsa_system_sgpr_workgroup_id_x 1
		.amdhsa_system_sgpr_workgroup_id_y 0
		.amdhsa_system_sgpr_workgroup_id_z 0
		.amdhsa_system_sgpr_workgroup_info 0
		.amdhsa_system_vgpr_workitem_id 0
		.amdhsa_next_free_vgpr 20
		.amdhsa_next_free_sgpr 16
		.amdhsa_accum_offset 20
		.amdhsa_reserve_vcc 1
		.amdhsa_float_round_mode_32 0
		.amdhsa_float_round_mode_16_64 0
		.amdhsa_float_denorm_mode_32 3
		.amdhsa_float_denorm_mode_16_64 3
		.amdhsa_dx10_clamp 1
		.amdhsa_ieee_mode 1
		.amdhsa_fp16_overflow 0
		.amdhsa_tg_split 0
		.amdhsa_exception_fp_ieee_invalid_op 0
		.amdhsa_exception_fp_denorm_src 0
		.amdhsa_exception_fp_ieee_div_zero 0
		.amdhsa_exception_fp_ieee_overflow 0
		.amdhsa_exception_fp_ieee_underflow 0
		.amdhsa_exception_fp_ieee_inexact 0
		.amdhsa_exception_int_div_zero 0
	.end_amdhsa_kernel
	.section	.text._ZL21dequantize_block_q3_KIfEvPKvPT_,"axG",@progbits,_ZL21dequantize_block_q3_KIfEvPKvPT_,comdat
.Lfunc_end6:
	.size	_ZL21dequantize_block_q3_KIfEvPKvPT_, .Lfunc_end6-_ZL21dequantize_block_q3_KIfEvPKvPT_
                                        ; -- End function
	.section	.AMDGPU.csdata,"",@progbits
; Kernel info:
; codeLenInByte = 864
; NumSgprs: 22
; NumVgprs: 20
; NumAgprs: 0
; TotalNumVgprs: 20
; ScratchSize: 0
; MemoryBound: 0
; FloatMode: 240
; IeeeMode: 1
; LDSByteSize: 0 bytes/workgroup (compile time only)
; SGPRBlocks: 2
; VGPRBlocks: 2
; NumSGPRsForWavesPerEU: 22
; NumVGPRsForWavesPerEU: 20
; AccumOffset: 20
; Occupancy: 8
; WaveLimiterHint : 0
; COMPUTE_PGM_RSRC2:SCRATCH_EN: 0
; COMPUTE_PGM_RSRC2:USER_SGPR: 2
; COMPUTE_PGM_RSRC2:TRAP_HANDLER: 0
; COMPUTE_PGM_RSRC2:TGID_X_EN: 1
; COMPUTE_PGM_RSRC2:TGID_Y_EN: 0
; COMPUTE_PGM_RSRC2:TGID_Z_EN: 0
; COMPUTE_PGM_RSRC2:TIDIG_COMP_CNT: 0
; COMPUTE_PGM_RSRC3_GFX90A:ACCUM_OFFSET: 4
; COMPUTE_PGM_RSRC3_GFX90A:TG_SPLIT: 0
	.section	.text._ZL21dequantize_block_q4_KIfEvPKvPT_,"axG",@progbits,_ZL21dequantize_block_q4_KIfEvPKvPT_,comdat
	.globl	_ZL21dequantize_block_q4_KIfEvPKvPT_ ; -- Begin function _ZL21dequantize_block_q4_KIfEvPKvPT_
	.p2align	8
	.type	_ZL21dequantize_block_q4_KIfEvPKvPT_,@function
_ZL21dequantize_block_q4_KIfEvPKvPT_:   ; @_ZL21dequantize_block_q4_KIfEvPKvPT_
; %bb.0:
	s_load_dwordx2 s[4:5], s[0:1], 0x0
	s_mul_i32 s6, s2, 0x90
	v_lshrrev_b32_e32 v1, 3, v0
	s_mul_hi_u32 s3, s2, 0x90
	v_lshlrev_b32_e32 v2, 1, v1
	s_waitcnt lgkmcnt(0)
	s_add_u32 s6, s4, s6
	s_addc_u32 s7, s5, s3
	v_mov_b32_e32 v3, 0
	v_cmp_lt_u32_e32 vcc, 15, v0
	v_lshl_add_u64 v[4:5], s[6:7], 0, v[2:3]
                                        ; implicit-def: $vgpr7
                                        ; implicit-def: $vgpr6
	s_and_saveexec_b64 s[4:5], vcc
	s_xor_b64 s[4:5], exec, s[4:5]
	s_cbranch_execz .LBB7_2
; %bb.1:
	global_load_ubyte v6, v[4:5], off offset:8
	global_load_ubyte v7, v[4:5], off
	global_load_ubyte v8, v[4:5], off offset:4
	s_waitcnt vmcnt(2)
	v_and_b32_e32 v4, 15, v6
	s_waitcnt vmcnt(1)
	v_lshrrev_b16_e32 v5, 2, v7
	v_lshrrev_b16_e32 v7, 4, v6
	s_waitcnt vmcnt(0)
	v_lshrrev_b16_e32 v6, 2, v8
	v_and_b32_e32 v5, 48, v5
	v_and_b32_e32 v8, 48, v6
	v_or_b32_e32 v6, v5, v4
	v_or_b32_e32 v7, v8, v7
                                        ; implicit-def: $vgpr4_vgpr5
.LBB7_2:
	s_andn2_saveexec_b64 s[4:5], s[4:5]
	s_cbranch_execz .LBB7_4
; %bb.3:
	global_load_ubyte v6, v[4:5], off offset:4
	global_load_ubyte v7, v[4:5], off offset:8
	s_waitcnt vmcnt(1)
	v_and_b32_e32 v6, 63, v6
	s_waitcnt vmcnt(0)
	v_and_b32_e32 v7, 63, v7
.LBB7_4:
	s_or_b64 exec, exec, s[4:5]
	s_load_dwordx2 s[4:5], s[0:1], 0x8
	s_load_dword s3, s[6:7], 0x0
	s_add_u32 s0, s6, 4
	s_addc_u32 s1, s7, 0
	v_lshl_add_u64 v[2:3], s[0:1], 0, v[2:3]
                                        ; implicit-def: $vgpr5
                                        ; implicit-def: $vgpr4
	s_and_saveexec_b64 s[0:1], vcc
	s_xor_b64 s[0:1], exec, s[0:1]
	s_cbranch_execz .LBB7_6
; %bb.5:
	global_load_ubyte v4, v[2:3], off offset:5
	global_load_ubyte v5, v[2:3], off offset:-3
	global_load_ubyte v8, v[2:3], off offset:1
	s_waitcnt vmcnt(2)
	v_and_b32_e32 v2, 15, v4
	s_waitcnt vmcnt(1)
	v_lshrrev_b16_e32 v3, 2, v5
	v_lshrrev_b16_e32 v5, 4, v4
	s_waitcnt vmcnt(0)
	v_lshrrev_b16_e32 v4, 2, v8
	v_and_b32_e32 v3, 48, v3
	v_and_b32_e32 v8, 48, v4
	v_or_b32_e32 v4, v3, v2
	v_or_b32_e32 v5, v8, v5
                                        ; implicit-def: $vgpr2_vgpr3
.LBB7_6:
	s_andn2_saveexec_b64 s[0:1], s[0:1]
	s_cbranch_execz .LBB7_8
; %bb.7:
	global_load_ubyte v4, v[2:3], off offset:1
	global_load_ubyte v5, v[2:3], off offset:5
	s_waitcnt vmcnt(1)
	v_and_b32_e32 v4, 63, v4
	s_waitcnt vmcnt(0)
	v_and_b32_e32 v5, 63, v5
.LBB7_8:
	s_or_b64 exec, exec, s[0:1]
	v_lshlrev_b32_e32 v8, 5, v1
	v_mov_b32_e32 v9, 0
	v_lshlrev_b32_e32 v0, 2, v0
	v_lshl_add_u64 v[2:3], s[6:7], 0, v[8:9]
	v_and_b32_e32 v8, 28, v0
	v_lshl_add_u64 v[2:3], v[2:3], 0, v[8:9]
	global_load_dword v2, v[2:3], off offset:16
	s_mov_b32 s1, 0
	s_lshl_b32 s0, s2, 8
	s_waitcnt lgkmcnt(0)
	s_lshr_b32 s6, s3, 16
	s_lshl_b64 s[0:1], s[0:1], 2
	s_add_u32 s0, s4, s0
	v_lshlrev_b32_e32 v0, 8, v1
	v_cvt_f16_u16_sdwa v4, v4 dst_sel:DWORD dst_unused:UNUSED_PAD src0_sel:BYTE_0
	v_mov_b32_e32 v1, v9
	s_addc_u32 s1, s5, s1
	v_cvt_f16_u16_sdwa v3, v7 dst_sel:DWORD dst_unused:UNUSED_PAD src0_sel:BYTE_0
	v_cvt_f16_u16_sdwa v6, v6 dst_sel:DWORD dst_unused:UNUSED_PAD src0_sel:BYTE_0
	v_mov_b32_e32 v7, 15
	v_mov_b32_e32 v12, 4
	v_mul_f16_e32 v13, s3, v4
	v_lshl_add_u64 v[10:11], s[0:1], 0, v[0:1]
	v_cvt_f16_u16_sdwa v5, v5 dst_sel:DWORD dst_unused:UNUSED_PAD src0_sel:BYTE_0
	v_mul_f16_e32 v3, s6, v3
	v_mul_f16_e32 v6, s3, v6
	;; [unrolled: 1-line block ×3, first 2 shown]
	v_lshlrev_b32_e32 v8, 2, v8
	v_lshl_add_u64 v[8:9], v[10:11], 0, v[8:9]
	s_waitcnt vmcnt(0)
	v_lshrrev_b32_e32 v0, 8, v2
	v_and_b32_e32 v1, 15, v2
	v_lshrrev_b16_e32 v4, 4, v2
	v_and_b32_sdwa v14, v2, v7 dst_sel:DWORD dst_unused:UNUSED_PAD src0_sel:WORD_1 src1_sel:DWORD
	v_lshrrev_b32_e32 v15, 20, v2
	v_and_b32_sdwa v7, v2, v7 dst_sel:DWORD dst_unused:UNUSED_PAD src0_sel:BYTE_3 src1_sel:DWORD
	v_lshrrev_b16_sdwa v2, v12, v2 dst_sel:DWORD dst_unused:UNUSED_PAD src0_sel:DWORD src1_sel:BYTE_3
	v_cvt_f16_u16_e32 v1, v1
	v_and_b32_e32 v4, 15, v4
	v_and_b32_e32 v12, 15, v0
	v_lshrrev_b16_e32 v0, 4, v0
	v_cvt_f16_u16_e32 v14, v14
	v_and_b32_e32 v15, 15, v15
	v_cvt_f16_u16_e32 v7, v7
	v_fma_f16 v1, v6, v1, -v3
	v_cvt_f16_u16_e32 v4, v4
	v_cvt_f16_u16_e32 v12, v12
	v_and_b32_e32 v16, 15, v0
	v_cvt_f16_u16_e32 v2, v2
	v_fma_f16 v14, v6, v14, -v3
	v_cvt_f16_u16_e32 v15, v15
	v_fma_f16 v7, v6, v7, -v3
	v_cvt_f32_f16_e32 v0, v1
	v_fma_f16 v1, v13, v4, -v5
	v_fma_f16 v6, v6, v12, -v3
	v_cvt_f16_u16_e32 v12, v16
	v_fma_f16 v17, v13, v2, -v5
	v_cvt_f32_f16_e32 v2, v14
	v_fma_f16 v14, v13, v15, -v5
	v_cvt_f32_f16_e32 v3, v7
	v_cvt_f32_f16_e32 v4, v1
	;; [unrolled: 1-line block ×3, first 2 shown]
	v_fma_f16 v5, v13, v12, -v5
	v_cvt_f32_f16_e32 v6, v14
	v_cvt_f32_f16_e32 v5, v5
	;; [unrolled: 1-line block ×3, first 2 shown]
	global_store_dwordx4 v[8:9], v[0:3], off
	global_store_dwordx4 v[8:9], v[4:7], off offset:128
	s_endpgm
	.section	.rodata,"a",@progbits
	.p2align	6, 0x0
	.amdhsa_kernel _ZL21dequantize_block_q4_KIfEvPKvPT_
		.amdhsa_group_segment_fixed_size 0
		.amdhsa_private_segment_fixed_size 0
		.amdhsa_kernarg_size 16
		.amdhsa_user_sgpr_count 2
		.amdhsa_user_sgpr_dispatch_ptr 0
		.amdhsa_user_sgpr_queue_ptr 0
		.amdhsa_user_sgpr_kernarg_segment_ptr 1
		.amdhsa_user_sgpr_dispatch_id 0
		.amdhsa_user_sgpr_kernarg_preload_length 0
		.amdhsa_user_sgpr_kernarg_preload_offset 0
		.amdhsa_user_sgpr_private_segment_size 0
		.amdhsa_uses_dynamic_stack 0
		.amdhsa_enable_private_segment 0
		.amdhsa_system_sgpr_workgroup_id_x 1
		.amdhsa_system_sgpr_workgroup_id_y 0
		.amdhsa_system_sgpr_workgroup_id_z 0
		.amdhsa_system_sgpr_workgroup_info 0
		.amdhsa_system_vgpr_workitem_id 0
		.amdhsa_next_free_vgpr 18
		.amdhsa_next_free_sgpr 8
		.amdhsa_accum_offset 20
		.amdhsa_reserve_vcc 1
		.amdhsa_float_round_mode_32 0
		.amdhsa_float_round_mode_16_64 0
		.amdhsa_float_denorm_mode_32 3
		.amdhsa_float_denorm_mode_16_64 3
		.amdhsa_dx10_clamp 1
		.amdhsa_ieee_mode 1
		.amdhsa_fp16_overflow 0
		.amdhsa_tg_split 0
		.amdhsa_exception_fp_ieee_invalid_op 0
		.amdhsa_exception_fp_denorm_src 0
		.amdhsa_exception_fp_ieee_div_zero 0
		.amdhsa_exception_fp_ieee_overflow 0
		.amdhsa_exception_fp_ieee_underflow 0
		.amdhsa_exception_fp_ieee_inexact 0
		.amdhsa_exception_int_div_zero 0
	.end_amdhsa_kernel
	.section	.text._ZL21dequantize_block_q4_KIfEvPKvPT_,"axG",@progbits,_ZL21dequantize_block_q4_KIfEvPKvPT_,comdat
.Lfunc_end7:
	.size	_ZL21dequantize_block_q4_KIfEvPKvPT_, .Lfunc_end7-_ZL21dequantize_block_q4_KIfEvPKvPT_
                                        ; -- End function
	.section	.AMDGPU.csdata,"",@progbits
; Kernel info:
; codeLenInByte = 704
; NumSgprs: 14
; NumVgprs: 18
; NumAgprs: 0
; TotalNumVgprs: 18
; ScratchSize: 0
; MemoryBound: 0
; FloatMode: 240
; IeeeMode: 1
; LDSByteSize: 0 bytes/workgroup (compile time only)
; SGPRBlocks: 1
; VGPRBlocks: 2
; NumSGPRsForWavesPerEU: 14
; NumVGPRsForWavesPerEU: 18
; AccumOffset: 20
; Occupancy: 8
; WaveLimiterHint : 1
; COMPUTE_PGM_RSRC2:SCRATCH_EN: 0
; COMPUTE_PGM_RSRC2:USER_SGPR: 2
; COMPUTE_PGM_RSRC2:TRAP_HANDLER: 0
; COMPUTE_PGM_RSRC2:TGID_X_EN: 1
; COMPUTE_PGM_RSRC2:TGID_Y_EN: 0
; COMPUTE_PGM_RSRC2:TGID_Z_EN: 0
; COMPUTE_PGM_RSRC2:TIDIG_COMP_CNT: 0
; COMPUTE_PGM_RSRC3_GFX90A:ACCUM_OFFSET: 4
; COMPUTE_PGM_RSRC3_GFX90A:TG_SPLIT: 0
	.section	.text._ZL21dequantize_block_q5_KIfEvPKvPT_,"axG",@progbits,_ZL21dequantize_block_q5_KIfEvPKvPT_,comdat
	.globl	_ZL21dequantize_block_q5_KIfEvPKvPT_ ; -- Begin function _ZL21dequantize_block_q5_KIfEvPKvPT_
	.p2align	8
	.type	_ZL21dequantize_block_q5_KIfEvPKvPT_,@function
_ZL21dequantize_block_q5_KIfEvPKvPT_:   ; @_ZL21dequantize_block_q5_KIfEvPKvPT_
; %bb.0:
	s_load_dwordx2 s[4:5], s[0:1], 0x0
	s_mul_i32 s6, s2, 0xb0
	v_lshrrev_b32_e32 v1, 4, v0
	s_mul_hi_u32 s3, s2, 0xb0
	v_lshlrev_b32_e32 v2, 1, v1
	s_waitcnt lgkmcnt(0)
	s_add_u32 s4, s4, s6
	s_addc_u32 s5, s5, s3
	v_mov_b32_e32 v3, 0
	v_cmp_lt_u32_e32 vcc, 31, v0
	v_lshl_add_u64 v[4:5], s[4:5], 0, v[2:3]
                                        ; implicit-def: $vgpr7
                                        ; implicit-def: $vgpr6
	s_and_saveexec_b64 s[6:7], vcc
	s_xor_b64 s[6:7], exec, s[6:7]
	s_cbranch_execz .LBB8_2
; %bb.1:
	global_load_ubyte v6, v[4:5], off offset:8
	global_load_ubyte v7, v[4:5], off
	global_load_ubyte v8, v[4:5], off offset:4
	s_waitcnt vmcnt(2)
	v_and_b32_e32 v4, 15, v6
	s_waitcnt vmcnt(1)
	v_lshrrev_b16_e32 v5, 2, v7
	v_lshrrev_b16_e32 v7, 4, v6
	s_waitcnt vmcnt(0)
	v_lshrrev_b16_e32 v6, 2, v8
	v_and_b32_e32 v5, 48, v5
	v_and_b32_e32 v8, 48, v6
	v_or_b32_e32 v6, v5, v4
	v_or_b32_e32 v7, v8, v7
                                        ; implicit-def: $vgpr4_vgpr5
.LBB8_2:
	s_andn2_saveexec_b64 s[6:7], s[6:7]
	s_cbranch_execz .LBB8_4
; %bb.3:
	global_load_ubyte v6, v[4:5], off offset:4
	global_load_ubyte v7, v[4:5], off offset:8
	s_waitcnt vmcnt(1)
	v_and_b32_e32 v6, 63, v6
	s_waitcnt vmcnt(0)
	v_and_b32_e32 v7, 63, v7
.LBB8_4:
	s_or_b64 exec, exec, s[6:7]
	s_load_dwordx2 s[6:7], s[0:1], 0x8
	s_load_dword s3, s[4:5], 0x0
	s_add_u32 s0, s4, 4
	s_addc_u32 s1, s5, 0
	v_lshl_add_u64 v[4:5], s[0:1], 0, v[2:3]
                                        ; implicit-def: $vgpr8
                                        ; implicit-def: $vgpr3
	s_and_saveexec_b64 s[0:1], vcc
	s_xor_b64 s[0:1], exec, s[0:1]
	s_cbranch_execz .LBB8_6
; %bb.5:
	global_load_ubyte v3, v[4:5], off offset:5
	global_load_ubyte v8, v[4:5], off offset:-3
	global_load_ubyte v9, v[4:5], off offset:1
	s_waitcnt vmcnt(2)
	v_and_b32_e32 v4, 15, v3
	s_waitcnt vmcnt(1)
	v_lshrrev_b16_e32 v5, 2, v8
	v_lshrrev_b16_e32 v8, 4, v3
	s_waitcnt vmcnt(0)
	v_lshrrev_b16_e32 v3, 2, v9
	v_and_b32_e32 v5, 48, v5
	v_and_b32_e32 v9, 48, v3
	v_or_b32_e32 v3, v5, v4
	v_or_b32_e32 v8, v9, v8
                                        ; implicit-def: $vgpr4_vgpr5
.LBB8_6:
	s_andn2_saveexec_b64 s[0:1], s[0:1]
	s_cbranch_execz .LBB8_8
; %bb.7:
	global_load_ubyte v3, v[4:5], off offset:1
	global_load_ubyte v8, v[4:5], off offset:5
	s_waitcnt vmcnt(1)
	v_and_b32_e32 v3, 63, v3
	s_waitcnt vmcnt(0)
	v_and_b32_e32 v8, 63, v8
.LBB8_8:
	s_or_b64 exec, exec, s[0:1]
	v_lshlrev_b32_e32 v0, 1, v0
	v_and_b32_e32 v4, 30, v0
	v_mov_b32_e32 v5, 0
	v_lshl_add_u64 v[10:11], s[4:5], 0, v[4:5]
	v_lshlrev_b32_e32 v12, 5, v1
	v_mov_b32_e32 v13, v5
	v_lshl_add_u64 v[10:11], v[10:11], 0, v[12:13]
	global_load_ushort v9, v[10:11], off offset:48
	global_load_ushort v12, v4, s[4:5] offset:16
	v_lshlrev_b32_e64 v10, v2, 1
	v_lshlrev_b32_e64 v2, v2, 2
	v_mov_b32_e32 v11, 15
	s_waitcnt lgkmcnt(0)
	s_lshr_b32 s4, s3, 16
	v_cvt_f16_u16_sdwa v7, v7 dst_sel:DWORD dst_unused:UNUSED_PAD src0_sel:BYTE_0
	v_cvt_f16_u16_sdwa v6, v6 dst_sel:DWORD dst_unused:UNUSED_PAD src0_sel:BYTE_0
	s_mov_b32 s1, 0
	s_lshl_b32 s0, s2, 8
	v_cvt_f16_u16_sdwa v3, v3 dst_sel:DWORD dst_unused:UNUSED_PAD src0_sel:BYTE_0
	v_cvt_f16_u16_sdwa v8, v8 dst_sel:DWORD dst_unused:UNUSED_PAD src0_sel:BYTE_0
	v_mul_f16_e32 v7, s4, v7
	v_mul_f16_e32 v6, s3, v6
	s_lshl_b64 s[0:1], s[0:1], 2
	v_mul_f16_e32 v3, s3, v3
	v_mul_f16_e32 v8, s4, v8
	s_add_u32 s0, s6, s0
	v_lshlrev_b32_e32 v0, 8, v1
	v_mov_b32_e32 v1, v5
	s_addc_u32 s1, s7, s1
	v_lshlrev_b32_e32 v4, 2, v4
	v_lshl_add_u64 v[0:1], s[0:1], 0, v[0:1]
	v_lshl_add_u64 v[0:1], v[0:1], 0, v[4:5]
	s_waitcnt vmcnt(1)
	v_lshrrev_b16_e32 v15, 4, v9
	s_waitcnt vmcnt(0)
	v_and_b32_sdwa v14, v10, v12 dst_sel:DWORD dst_unused:UNUSED_PAD src0_sel:DWORD src1_sel:BYTE_0
	v_and_b32_sdwa v10, v10, v12 dst_sel:DWORD dst_unused:UNUSED_PAD src0_sel:DWORD src1_sel:BYTE_1
	v_cmp_ne_u32_e32 vcc, 0, v14
	v_and_b32_sdwa v16, v2, v12 dst_sel:DWORD dst_unused:UNUSED_PAD src0_sel:DWORD src1_sel:BYTE_0
	v_and_b32_sdwa v2, v2, v12 dst_sel:DWORD dst_unused:UNUSED_PAD src0_sel:DWORD src1_sel:BYTE_1
	v_cndmask_b32_e64 v12, 0, 1, vcc
	v_cmp_ne_u32_e32 vcc, 0, v10
	v_and_b32_e32 v13, 15, v9
	v_and_b32_sdwa v11, v9, v11 dst_sel:DWORD dst_unused:UNUSED_PAD src0_sel:BYTE_1 src1_sel:DWORD
	v_cndmask_b32_e64 v10, 0, 1, vcc
	v_cmp_ne_u32_e32 vcc, 0, v16
	v_and_b32_e32 v14, 15, v15
	v_lshrrev_b16_e32 v9, 12, v9
	v_cndmask_b32_e64 v15, 0, 1, vcc
	v_cmp_ne_u32_e32 vcc, 0, v2
	v_lshl_or_b32 v12, v12, 4, v13
	v_lshl_or_b32 v10, v10, 4, v11
	v_cndmask_b32_e64 v2, 0, 1, vcc
	v_lshl_or_b32 v11, v15, 4, v14
	v_lshl_or_b32 v2, v2, 4, v9
	v_cvt_f32_ubyte0_e32 v9, v12
	v_cvt_f32_ubyte0_e32 v10, v10
	;; [unrolled: 1-line block ×4, first 2 shown]
	v_cvt_f16_f32_e32 v9, v9
	v_cvt_f16_f32_e32 v10, v10
	;; [unrolled: 1-line block ×4, first 2 shown]
	v_fma_f16 v9, v6, v9, -v7
	v_fma_f16 v6, v6, v10, -v7
	;; [unrolled: 1-line block ×4, first 2 shown]
	v_cvt_f32_f16_e32 v2, v9
	v_cvt_f32_f16_e32 v3, v6
	;; [unrolled: 1-line block ×4, first 2 shown]
	global_store_dwordx2 v[0:1], v[2:3], off
	global_store_dwordx2 v[0:1], v[6:7], off offset:128
	s_endpgm
	.section	.rodata,"a",@progbits
	.p2align	6, 0x0
	.amdhsa_kernel _ZL21dequantize_block_q5_KIfEvPKvPT_
		.amdhsa_group_segment_fixed_size 0
		.amdhsa_private_segment_fixed_size 0
		.amdhsa_kernarg_size 16
		.amdhsa_user_sgpr_count 2
		.amdhsa_user_sgpr_dispatch_ptr 0
		.amdhsa_user_sgpr_queue_ptr 0
		.amdhsa_user_sgpr_kernarg_segment_ptr 1
		.amdhsa_user_sgpr_dispatch_id 0
		.amdhsa_user_sgpr_kernarg_preload_length 0
		.amdhsa_user_sgpr_kernarg_preload_offset 0
		.amdhsa_user_sgpr_private_segment_size 0
		.amdhsa_uses_dynamic_stack 0
		.amdhsa_enable_private_segment 0
		.amdhsa_system_sgpr_workgroup_id_x 1
		.amdhsa_system_sgpr_workgroup_id_y 0
		.amdhsa_system_sgpr_workgroup_id_z 0
		.amdhsa_system_sgpr_workgroup_info 0
		.amdhsa_system_vgpr_workitem_id 0
		.amdhsa_next_free_vgpr 17
		.amdhsa_next_free_sgpr 8
		.amdhsa_accum_offset 20
		.amdhsa_reserve_vcc 1
		.amdhsa_float_round_mode_32 0
		.amdhsa_float_round_mode_16_64 0
		.amdhsa_float_denorm_mode_32 3
		.amdhsa_float_denorm_mode_16_64 3
		.amdhsa_dx10_clamp 1
		.amdhsa_ieee_mode 1
		.amdhsa_fp16_overflow 0
		.amdhsa_tg_split 0
		.amdhsa_exception_fp_ieee_invalid_op 0
		.amdhsa_exception_fp_denorm_src 0
		.amdhsa_exception_fp_ieee_div_zero 0
		.amdhsa_exception_fp_ieee_overflow 0
		.amdhsa_exception_fp_ieee_underflow 0
		.amdhsa_exception_fp_ieee_inexact 0
		.amdhsa_exception_int_div_zero 0
	.end_amdhsa_kernel
	.section	.text._ZL21dequantize_block_q5_KIfEvPKvPT_,"axG",@progbits,_ZL21dequantize_block_q5_KIfEvPKvPT_,comdat
.Lfunc_end8:
	.size	_ZL21dequantize_block_q5_KIfEvPKvPT_, .Lfunc_end8-_ZL21dequantize_block_q5_KIfEvPKvPT_
                                        ; -- End function
	.section	.AMDGPU.csdata,"",@progbits
; Kernel info:
; codeLenInByte = 760
; NumSgprs: 14
; NumVgprs: 17
; NumAgprs: 0
; TotalNumVgprs: 17
; ScratchSize: 0
; MemoryBound: 0
; FloatMode: 240
; IeeeMode: 1
; LDSByteSize: 0 bytes/workgroup (compile time only)
; SGPRBlocks: 1
; VGPRBlocks: 2
; NumSGPRsForWavesPerEU: 14
; NumVGPRsForWavesPerEU: 17
; AccumOffset: 20
; Occupancy: 8
; WaveLimiterHint : 1
; COMPUTE_PGM_RSRC2:SCRATCH_EN: 0
; COMPUTE_PGM_RSRC2:USER_SGPR: 2
; COMPUTE_PGM_RSRC2:TRAP_HANDLER: 0
; COMPUTE_PGM_RSRC2:TGID_X_EN: 1
; COMPUTE_PGM_RSRC2:TGID_Y_EN: 0
; COMPUTE_PGM_RSRC2:TGID_Z_EN: 0
; COMPUTE_PGM_RSRC2:TIDIG_COMP_CNT: 0
; COMPUTE_PGM_RSRC3_GFX90A:ACCUM_OFFSET: 4
; COMPUTE_PGM_RSRC3_GFX90A:TG_SPLIT: 0
	.section	.text._ZL21dequantize_block_q6_KIfEvPKvPT_,"axG",@progbits,_ZL21dequantize_block_q6_KIfEvPKvPT_,comdat
	.globl	_ZL21dequantize_block_q6_KIfEvPKvPT_ ; -- Begin function _ZL21dequantize_block_q6_KIfEvPKvPT_
	.p2align	8
	.type	_ZL21dequantize_block_q6_KIfEvPKvPT_,@function
_ZL21dequantize_block_q6_KIfEvPKvPT_:   ; @_ZL21dequantize_block_q6_KIfEvPKvPT_
; %bb.0:
	s_load_dwordx4 s[4:7], s[0:1], 0x0
	s_lshl_b32 s0, s2, 8
	s_mov_b32 s1, 0
	s_lshl_b64 s[0:1], s[0:1], 2
	v_lshrrev_b32_e32 v1, 5, v0
	s_waitcnt lgkmcnt(0)
	s_add_u32 s0, s6, s0
	s_addc_u32 s1, s7, s1
	v_lshlrev_b32_e32 v4, 9, v1
	v_mov_b32_e32 v5, 0
	v_and_b32_e32 v2, 31, v0
	v_lshl_add_u64 v[6:7], s[0:1], 0, v[4:5]
	s_mul_hi_u32 s1, s2, 0xd2
	s_mulk_i32 s2, 0xd2
	s_add_u32 s0, s4, s2
	v_lshlrev_b32_e32 v4, 2, v2
	s_addc_u32 s1, s5, s1
	v_lshl_add_u64 v[6:7], v[6:7], 0, v[4:5]
	v_lshlrev_b32_e32 v4, 6, v1
	global_load_ubyte v10, v0, s[0:1] offset:128
	v_mov_b32_e32 v3, v5
	v_lshl_add_u64 v[8:9], s[0:1], 0, v[4:5]
	v_lshl_add_u64 v[2:3], v[8:9], 0, v[2:3]
	global_load_ubyte v4, v[2:3], off
	global_load_ubyte v8, v[2:3], off offset:32
	v_bfe_u32 v0, v0, 4, 1
	v_lshl_or_b32 v0, v1, 3, v0
	global_load_sbyte v1, v0, s[0:1] offset:192
	global_load_sbyte v2, v0, s[0:1] offset:194
	;; [unrolled: 1-line block ×4, first 2 shown]
	global_load_ushort v11, v5, s[0:1] offset:208
	v_mov_b32_e32 v0, 32
	s_waitcnt vmcnt(7)
	v_lshlrev_b16_e32 v5, 4, v10
	v_lshlrev_b16_e32 v12, 2, v10
	v_and_b32_e32 v5, 48, v5
	s_waitcnt vmcnt(6)
	v_and_b32_e32 v14, 15, v4
	v_and_b32_e32 v13, 48, v10
	v_lshrrev_b16_e32 v10, 2, v10
	v_and_b32_e32 v12, 48, v12
	s_waitcnt vmcnt(5)
	v_and_b32_e32 v15, 15, v8
	v_or_b32_e32 v5, v14, v5
	v_and_b32_e32 v10, 48, v10
	v_lshrrev_b16_e32 v4, 4, v4
	v_lshrrev_b16_e32 v8, 4, v8
	v_or_b32_e32 v12, v15, v12
	v_sub_u32_sdwa v5, v5, v0 dst_sel:DWORD dst_unused:UNUSED_PAD src0_sel:WORD_0 src1_sel:DWORD
	v_or_b32_e32 v4, v4, v13
	v_or_b32_e32 v8, v8, v10
	v_sub_u32_sdwa v10, v12, v0 dst_sel:DWORD dst_unused:UNUSED_PAD src0_sel:WORD_0 src1_sel:DWORD
	s_waitcnt vmcnt(4)
	v_mul_i32_i24_e32 v1, v5, v1
	v_sub_u32_sdwa v4, v4, v0 dst_sel:DWORD dst_unused:UNUSED_PAD src0_sel:WORD_0 src1_sel:DWORD
	s_waitcnt vmcnt(3)
	v_mul_i32_i24_e32 v2, v10, v2
	v_cvt_f32_i32_e32 v1, v1
	v_sub_u32_sdwa v0, v8, v0 dst_sel:DWORD dst_unused:UNUSED_PAD src0_sel:WORD_0 src1_sel:DWORD
	s_waitcnt vmcnt(2)
	v_mul_i32_i24_e32 v3, v4, v3
	v_cvt_f32_i32_e32 v2, v2
	s_waitcnt vmcnt(1)
	v_mul_i32_i24_e32 v0, v0, v9
	v_cvt_f32_i32_e32 v3, v3
	v_cvt_f32_i32_e32 v0, v0
	v_cvt_f16_f32_e32 v1, v1
	v_cvt_f16_f32_e32 v2, v2
	;; [unrolled: 1-line block ×4, first 2 shown]
	s_waitcnt vmcnt(0)
	v_mul_f16_e32 v1, v11, v1
	v_mul_f16_e32 v2, v11, v2
	v_cvt_f32_f16_e32 v1, v1
	v_mul_f16_e32 v3, v11, v3
	v_cvt_f32_f16_e32 v2, v2
	;; [unrolled: 2-line block ×3, first 2 shown]
	v_cvt_f32_f16_e32 v0, v0
	global_store_dword v[6:7], v1, off
	global_store_dword v[6:7], v2, off offset:128
	global_store_dword v[6:7], v3, off offset:256
	;; [unrolled: 1-line block ×3, first 2 shown]
	s_endpgm
	.section	.rodata,"a",@progbits
	.p2align	6, 0x0
	.amdhsa_kernel _ZL21dequantize_block_q6_KIfEvPKvPT_
		.amdhsa_group_segment_fixed_size 0
		.amdhsa_private_segment_fixed_size 0
		.amdhsa_kernarg_size 16
		.amdhsa_user_sgpr_count 2
		.amdhsa_user_sgpr_dispatch_ptr 0
		.amdhsa_user_sgpr_queue_ptr 0
		.amdhsa_user_sgpr_kernarg_segment_ptr 1
		.amdhsa_user_sgpr_dispatch_id 0
		.amdhsa_user_sgpr_kernarg_preload_length 0
		.amdhsa_user_sgpr_kernarg_preload_offset 0
		.amdhsa_user_sgpr_private_segment_size 0
		.amdhsa_uses_dynamic_stack 0
		.amdhsa_enable_private_segment 0
		.amdhsa_system_sgpr_workgroup_id_x 1
		.amdhsa_system_sgpr_workgroup_id_y 0
		.amdhsa_system_sgpr_workgroup_id_z 0
		.amdhsa_system_sgpr_workgroup_info 0
		.amdhsa_system_vgpr_workitem_id 0
		.amdhsa_next_free_vgpr 16
		.amdhsa_next_free_sgpr 8
		.amdhsa_accum_offset 16
		.amdhsa_reserve_vcc 0
		.amdhsa_float_round_mode_32 0
		.amdhsa_float_round_mode_16_64 0
		.amdhsa_float_denorm_mode_32 3
		.amdhsa_float_denorm_mode_16_64 3
		.amdhsa_dx10_clamp 1
		.amdhsa_ieee_mode 1
		.amdhsa_fp16_overflow 0
		.amdhsa_tg_split 0
		.amdhsa_exception_fp_ieee_invalid_op 0
		.amdhsa_exception_fp_denorm_src 0
		.amdhsa_exception_fp_ieee_div_zero 0
		.amdhsa_exception_fp_ieee_overflow 0
		.amdhsa_exception_fp_ieee_underflow 0
		.amdhsa_exception_fp_ieee_inexact 0
		.amdhsa_exception_int_div_zero 0
	.end_amdhsa_kernel
	.section	.text._ZL21dequantize_block_q6_KIfEvPKvPT_,"axG",@progbits,_ZL21dequantize_block_q6_KIfEvPKvPT_,comdat
.Lfunc_end9:
	.size	_ZL21dequantize_block_q6_KIfEvPKvPT_, .Lfunc_end9-_ZL21dequantize_block_q6_KIfEvPKvPT_
                                        ; -- End function
	.section	.AMDGPU.csdata,"",@progbits
; Kernel info:
; codeLenInByte = 436
; NumSgprs: 14
; NumVgprs: 16
; NumAgprs: 0
; TotalNumVgprs: 16
; ScratchSize: 0
; MemoryBound: 0
; FloatMode: 240
; IeeeMode: 1
; LDSByteSize: 0 bytes/workgroup (compile time only)
; SGPRBlocks: 1
; VGPRBlocks: 1
; NumSGPRsForWavesPerEU: 14
; NumVGPRsForWavesPerEU: 16
; AccumOffset: 16
; Occupancy: 8
; WaveLimiterHint : 0
; COMPUTE_PGM_RSRC2:SCRATCH_EN: 0
; COMPUTE_PGM_RSRC2:USER_SGPR: 2
; COMPUTE_PGM_RSRC2:TRAP_HANDLER: 0
; COMPUTE_PGM_RSRC2:TGID_X_EN: 1
; COMPUTE_PGM_RSRC2:TGID_Y_EN: 0
; COMPUTE_PGM_RSRC2:TGID_Z_EN: 0
; COMPUTE_PGM_RSRC2:TIDIG_COMP_CNT: 0
; COMPUTE_PGM_RSRC3_GFX90A:ACCUM_OFFSET: 3
; COMPUTE_PGM_RSRC3_GFX90A:TG_SPLIT: 0
	.section	.text._ZL24dequantize_block_iq2_xxsIfEvPKvPT_,"axG",@progbits,_ZL24dequantize_block_iq2_xxsIfEvPKvPT_,comdat
	.globl	_ZL24dequantize_block_iq2_xxsIfEvPKvPT_ ; -- Begin function _ZL24dequantize_block_iq2_xxsIfEvPKvPT_
	.p2align	8
	.type	_ZL24dequantize_block_iq2_xxsIfEvPKvPT_,@function
_ZL24dequantize_block_iq2_xxsIfEvPKvPT_: ; @_ZL24dequantize_block_iq2_xxsIfEvPKvPT_
; %bb.0:
	s_load_dwordx4 s[4:7], s[0:1], 0x0
	s_lshl_b32 s0, s2, 8
	s_mov_b32 s1, 0
	s_lshl_b64 s[0:1], s[0:1], 2
	v_and_b32_e32 v1, 7, v0
	s_waitcnt lgkmcnt(0)
	s_add_u32 s0, s6, s0
	s_addc_u32 s1, s7, s1
	v_lshlrev_b32_e32 v2, 7, v1
	v_mov_b32_e32 v3, 0
	v_lshl_add_u64 v[4:5], s[0:1], 0, v[2:3]
	v_and_b32_e32 v2, 0x3f8, v0
	s_mul_hi_u32 s1, s2, 0x42
	s_mulk_i32 s2, 0x42
	v_lshlrev_b32_e32 v2, 2, v2
	s_add_u32 s0, s4, s2
	v_lshl_add_u64 v[8:9], v[4:5], 0, v[2:3]
	s_addc_u32 s1, s5, s1
	v_lshlrev_b32_e32 v2, 3, v1
	global_load_dword v6, v2, s[0:1] offset:6
	v_lshrrev_b32_e32 v0, 3, v0
	v_lshl_add_u64 v[4:5], s[0:1], 0, v[2:3]
	v_mov_b32_e32 v1, v3
	v_lshl_add_u64 v[4:5], v[4:5], 0, v[0:1]
	global_load_ubyte v1, v[4:5], off offset:2
	global_load_ushort v2, v3, s[0:1]
	v_mul_u32_u24_e32 v0, 7, v0
	s_getpc_b64 s[0:1]
	s_add_u32 s0, s0, _ZL12ksigns_iq2xs@rel32@lo+4
	s_addc_u32 s1, s1, _ZL12ksigns_iq2xs@rel32@hi+12
	s_waitcnt vmcnt(2)
	v_bfe_u32 v7, v6, v0, 7
	global_load_sbyte v10, v7, s[0:1]
	s_getpc_b64 s[0:1]
	s_add_u32 s0, s0, _ZL11iq2xxs_grid@rel32@lo+4
	s_addc_u32 s1, s1, _ZL11iq2xxs_grid@rel32@hi+12
	v_lshrrev_b32_e32 v3, 28, v6
	s_waitcnt vmcnt(2)
	v_lshlrev_b32_e32 v0, 3, v1
	global_load_dwordx2 v[0:1], v0, s[0:1]
	s_waitcnt vmcnt(2)
	v_cvt_f32_f16_e32 v2, v2
	v_cvt_f32_ubyte0_e32 v3, v3
	v_add_f32_e32 v3, 0.5, v3
	v_mul_f32_e32 v2, v3, v2
	v_mul_f32_e32 v2, 0x3e800000, v2
	s_waitcnt vmcnt(1)
	v_and_b32_e32 v3, 1, v10
	v_and_b32_e32 v4, 2, v10
	v_cmp_eq_u16_e32 vcc, 0, v3
	v_and_b32_e32 v5, 4, v10
	s_waitcnt vmcnt(0)
	v_cvt_f32_ubyte0_e32 v13, v0
	v_cvt_f32_ubyte1_e32 v14, v0
	v_cvt_f32_ubyte2_e32 v15, v0
	v_cvt_f32_ubyte3_e32 v0, v0
	v_mul_f32_e32 v13, v2, v13
	v_cvt_f32_ubyte0_e32 v16, v1
	v_cvt_f32_ubyte1_e32 v17, v1
	v_cvt_f32_ubyte2_e32 v18, v1
	v_cvt_f32_ubyte3_e32 v1, v1
	v_mul_f32_e32 v14, v2, v14
	v_mul_f32_e32 v19, v2, v0
	v_cndmask_b32_e64 v0, -v13, v13, vcc
	v_cmp_eq_u16_e32 vcc, 0, v4
	v_and_b32_e32 v6, 8, v10
	v_mul_f32_e32 v15, v2, v15
	v_mul_f32_e32 v20, v2, v1
	v_cndmask_b32_e64 v1, -v14, v14, vcc
	v_cmp_eq_u16_e32 vcc, 0, v5
	v_and_b32_e32 v11, 16, v10
	v_mul_f32_e32 v16, v2, v16
	v_mul_f32_e32 v17, v2, v17
	;; [unrolled: 1-line block ×3, first 2 shown]
	v_cndmask_b32_e64 v2, -v15, v15, vcc
	v_cmp_eq_u16_e32 vcc, 0, v6
	v_and_b32_e32 v12, 32, v10
	s_nop 0
	v_cndmask_b32_e64 v3, -v19, v19, vcc
	v_cmp_eq_u16_e32 vcc, 0, v11
	s_nop 1
	v_cndmask_b32_e64 v4, -v16, v16, vcc
	v_cmp_eq_u16_e32 vcc, 0, v12
	s_nop 1
	v_cndmask_b32_e64 v5, -v17, v17, vcc
	v_cmp_gt_u32_e32 vcc, 64, v7
	s_nop 1
	v_cndmask_b32_e64 v6, -v18, v18, vcc
	v_cmp_gt_i16_e32 vcc, 0, v10
	s_nop 1
	v_cndmask_b32_e64 v7, v20, -v20, vcc
	global_store_dwordx4 v[8:9], v[0:3], off
	global_store_dwordx4 v[8:9], v[4:7], off offset:16
	s_endpgm
	.section	.rodata,"a",@progbits
	.p2align	6, 0x0
	.amdhsa_kernel _ZL24dequantize_block_iq2_xxsIfEvPKvPT_
		.amdhsa_group_segment_fixed_size 0
		.amdhsa_private_segment_fixed_size 0
		.amdhsa_kernarg_size 16
		.amdhsa_user_sgpr_count 2
		.amdhsa_user_sgpr_dispatch_ptr 0
		.amdhsa_user_sgpr_queue_ptr 0
		.amdhsa_user_sgpr_kernarg_segment_ptr 1
		.amdhsa_user_sgpr_dispatch_id 0
		.amdhsa_user_sgpr_kernarg_preload_length 0
		.amdhsa_user_sgpr_kernarg_preload_offset 0
		.amdhsa_user_sgpr_private_segment_size 0
		.amdhsa_uses_dynamic_stack 0
		.amdhsa_enable_private_segment 0
		.amdhsa_system_sgpr_workgroup_id_x 1
		.amdhsa_system_sgpr_workgroup_id_y 0
		.amdhsa_system_sgpr_workgroup_id_z 0
		.amdhsa_system_sgpr_workgroup_info 0
		.amdhsa_system_vgpr_workitem_id 0
		.amdhsa_next_free_vgpr 21
		.amdhsa_next_free_sgpr 8
		.amdhsa_accum_offset 24
		.amdhsa_reserve_vcc 1
		.amdhsa_float_round_mode_32 0
		.amdhsa_float_round_mode_16_64 0
		.amdhsa_float_denorm_mode_32 3
		.amdhsa_float_denorm_mode_16_64 3
		.amdhsa_dx10_clamp 1
		.amdhsa_ieee_mode 1
		.amdhsa_fp16_overflow 0
		.amdhsa_tg_split 0
		.amdhsa_exception_fp_ieee_invalid_op 0
		.amdhsa_exception_fp_denorm_src 0
		.amdhsa_exception_fp_ieee_div_zero 0
		.amdhsa_exception_fp_ieee_overflow 0
		.amdhsa_exception_fp_ieee_underflow 0
		.amdhsa_exception_fp_ieee_inexact 0
		.amdhsa_exception_int_div_zero 0
	.end_amdhsa_kernel
	.section	.text._ZL24dequantize_block_iq2_xxsIfEvPKvPT_,"axG",@progbits,_ZL24dequantize_block_iq2_xxsIfEvPKvPT_,comdat
.Lfunc_end10:
	.size	_ZL24dequantize_block_iq2_xxsIfEvPKvPT_, .Lfunc_end10-_ZL24dequantize_block_iq2_xxsIfEvPKvPT_
                                        ; -- End function
	.section	.AMDGPU.csdata,"",@progbits
; Kernel info:
; codeLenInByte = 488
; NumSgprs: 14
; NumVgprs: 21
; NumAgprs: 0
; TotalNumVgprs: 21
; ScratchSize: 0
; MemoryBound: 0
; FloatMode: 240
; IeeeMode: 1
; LDSByteSize: 0 bytes/workgroup (compile time only)
; SGPRBlocks: 1
; VGPRBlocks: 2
; NumSGPRsForWavesPerEU: 14
; NumVGPRsForWavesPerEU: 21
; AccumOffset: 24
; Occupancy: 8
; WaveLimiterHint : 0
; COMPUTE_PGM_RSRC2:SCRATCH_EN: 0
; COMPUTE_PGM_RSRC2:USER_SGPR: 2
; COMPUTE_PGM_RSRC2:TRAP_HANDLER: 0
; COMPUTE_PGM_RSRC2:TGID_X_EN: 1
; COMPUTE_PGM_RSRC2:TGID_Y_EN: 0
; COMPUTE_PGM_RSRC2:TGID_Z_EN: 0
; COMPUTE_PGM_RSRC2:TIDIG_COMP_CNT: 0
; COMPUTE_PGM_RSRC3_GFX90A:ACCUM_OFFSET: 5
; COMPUTE_PGM_RSRC3_GFX90A:TG_SPLIT: 0
	.section	.text._ZL23dequantize_block_iq2_xsIfEvPKvPT_,"axG",@progbits,_ZL23dequantize_block_iq2_xsIfEvPKvPT_,comdat
	.globl	_ZL23dequantize_block_iq2_xsIfEvPKvPT_ ; -- Begin function _ZL23dequantize_block_iq2_xsIfEvPKvPT_
	.p2align	8
	.type	_ZL23dequantize_block_iq2_xsIfEvPKvPT_,@function
_ZL23dequantize_block_iq2_xsIfEvPKvPT_: ; @_ZL23dequantize_block_iq2_xsIfEvPKvPT_
; %bb.0:
	s_load_dwordx4 s[4:7], s[0:1], 0x0
	s_lshl_b32 s0, s2, 8
	s_mov_b32 s1, 0
	s_lshl_b64 s[0:1], s[0:1], 2
	v_and_b32_e32 v6, 7, v0
	s_waitcnt lgkmcnt(0)
	s_add_u32 s0, s6, s0
	s_addc_u32 s1, s7, s1
	v_lshlrev_b32_e32 v2, 7, v6
	v_mov_b32_e32 v3, 0
	v_lshl_add_u64 v[4:5], s[0:1], 0, v[2:3]
	v_and_b32_e32 v1, 0x3f8, v0
	s_mul_hi_u32 s1, s2, 0x4a
	s_mulk_i32 s2, 0x4a
	v_lshlrev_b32_e32 v2, 2, v1
	s_add_u32 s0, s4, s2
	v_lshl_add_u64 v[8:9], v[4:5], 0, v[2:3]
	s_addc_u32 s1, s5, s1
	v_lshlrev_b32_e32 v2, 3, v6
	v_lshrrev_b32_e32 v7, 2, v0
	v_lshl_add_u64 v[4:5], s[0:1], 0, v[2:3]
	v_and_b32_e32 v2, 0xfe, v7
	v_lshl_add_u64 v[0:1], v[4:5], 0, v[2:3]
	global_load_ushort v10, v[0:1], off offset:2
	global_load_ushort v4, v3, s[0:1]
	global_load_ubyte v5, v6, s[0:1] offset:66
	v_mov_b32_e32 v0, 3
	s_getpc_b64 s[2:3]
	s_add_u32 s2, s2, _ZL10iq2xs_grid@rel32@lo+4
	s_addc_u32 s3, s3, _ZL10iq2xs_grid@rel32@hi+12
	s_getpc_b64 s[4:5]
	s_add_u32 s4, s4, _ZL12ksigns_iq2xs@rel32@lo+4
	s_addc_u32 s5, s5, _ZL12ksigns_iq2xs@rel32@hi+12
	s_waitcnt vmcnt(2)
	v_and_b32_e32 v1, 0x1ff, v10
	v_lshrrev_b16_e32 v2, 9, v10
	v_lshlrev_b32_sdwa v6, v0, v1 dst_sel:DWORD dst_unused:UNUSED_PAD src0_sel:DWORD src1_sel:WORD_0
	v_lshl_add_u64 v[0:1], v[2:3], 0, s[4:5]
	global_load_dwordx2 v[2:3], v6, s[2:3]
	global_load_sbyte v11, v[0:1], off
	v_and_b32_e32 v0, 0xfc, v7
	s_waitcnt vmcnt(3)
	v_cvt_f32_f16_e32 v1, v4
	s_waitcnt vmcnt(2)
	v_bfe_u32 v0, v5, v0, 4
	v_cvt_f32_ubyte0_e32 v0, v0
	v_add_f32_e32 v0, 0.5, v0
	v_mul_f32_e32 v0, v0, v1
	v_mul_f32_e32 v0, 0x3e800000, v0
	s_waitcnt vmcnt(1)
	v_cvt_f32_ubyte0_e32 v1, v2
	s_waitcnt vmcnt(0)
	v_and_b32_e32 v4, 1, v11
	v_cvt_f32_ubyte1_e32 v5, v2
	v_and_b32_e32 v6, 2, v11
	v_cvt_f32_ubyte2_e32 v7, v2
	v_cvt_f32_ubyte3_e32 v2, v2
	v_cvt_f32_ubyte0_e32 v14, v3
	v_cvt_f32_ubyte1_e32 v16, v3
	v_cvt_f32_ubyte2_e32 v18, v3
	v_cvt_f32_ubyte3_e32 v3, v3
	v_mul_f32_e32 v1, v0, v1
	v_cmp_eq_u16_e32 vcc, 0, v4
	v_and_b32_e32 v12, 4, v11
	v_mul_f32_e32 v5, v0, v5
	v_mul_f32_e32 v7, v0, v7
	;; [unrolled: 1-line block ×7, first 2 shown]
	v_cndmask_b32_e64 v0, -v1, v1, vcc
	v_cmp_eq_u16_e32 vcc, 0, v6
	v_and_b32_e32 v13, 8, v11
	v_and_b32_e32 v15, 16, v11
	v_cndmask_b32_e64 v1, -v5, v5, vcc
	v_cmp_eq_u16_e32 vcc, 0, v12
	v_and_b32_e32 v17, 32, v11
	s_nop 0
	v_cndmask_b32_e64 v2, -v7, v7, vcc
	v_cmp_eq_u16_e32 vcc, 0, v13
	s_nop 1
	v_cndmask_b32_e64 v3, -v19, v19, vcc
	v_cmp_eq_u16_e32 vcc, 0, v15
	;; [unrolled: 3-line block ×3, first 2 shown]
	s_nop 1
	v_cndmask_b32_e64 v5, -v16, v16, vcc
	v_cmp_gt_i16_e32 vcc, 0, v10
	s_nop 1
	v_cndmask_b32_e64 v6, v18, -v18, vcc
	v_cmp_gt_i16_e32 vcc, 0, v11
	s_nop 1
	v_cndmask_b32_e64 v7, v20, -v20, vcc
	global_store_dwordx4 v[8:9], v[0:3], off
	global_store_dwordx4 v[8:9], v[4:7], off offset:16
	s_endpgm
	.section	.rodata,"a",@progbits
	.p2align	6, 0x0
	.amdhsa_kernel _ZL23dequantize_block_iq2_xsIfEvPKvPT_
		.amdhsa_group_segment_fixed_size 0
		.amdhsa_private_segment_fixed_size 0
		.amdhsa_kernarg_size 16
		.amdhsa_user_sgpr_count 2
		.amdhsa_user_sgpr_dispatch_ptr 0
		.amdhsa_user_sgpr_queue_ptr 0
		.amdhsa_user_sgpr_kernarg_segment_ptr 1
		.amdhsa_user_sgpr_dispatch_id 0
		.amdhsa_user_sgpr_kernarg_preload_length 0
		.amdhsa_user_sgpr_kernarg_preload_offset 0
		.amdhsa_user_sgpr_private_segment_size 0
		.amdhsa_uses_dynamic_stack 0
		.amdhsa_enable_private_segment 0
		.amdhsa_system_sgpr_workgroup_id_x 1
		.amdhsa_system_sgpr_workgroup_id_y 0
		.amdhsa_system_sgpr_workgroup_id_z 0
		.amdhsa_system_sgpr_workgroup_info 0
		.amdhsa_system_vgpr_workitem_id 0
		.amdhsa_next_free_vgpr 21
		.amdhsa_next_free_sgpr 8
		.amdhsa_accum_offset 24
		.amdhsa_reserve_vcc 1
		.amdhsa_float_round_mode_32 0
		.amdhsa_float_round_mode_16_64 0
		.amdhsa_float_denorm_mode_32 3
		.amdhsa_float_denorm_mode_16_64 3
		.amdhsa_dx10_clamp 1
		.amdhsa_ieee_mode 1
		.amdhsa_fp16_overflow 0
		.amdhsa_tg_split 0
		.amdhsa_exception_fp_ieee_invalid_op 0
		.amdhsa_exception_fp_denorm_src 0
		.amdhsa_exception_fp_ieee_div_zero 0
		.amdhsa_exception_fp_ieee_overflow 0
		.amdhsa_exception_fp_ieee_underflow 0
		.amdhsa_exception_fp_ieee_inexact 0
		.amdhsa_exception_int_div_zero 0
	.end_amdhsa_kernel
	.section	.text._ZL23dequantize_block_iq2_xsIfEvPKvPT_,"axG",@progbits,_ZL23dequantize_block_iq2_xsIfEvPKvPT_,comdat
.Lfunc_end11:
	.size	_ZL23dequantize_block_iq2_xsIfEvPKvPT_, .Lfunc_end11-_ZL23dequantize_block_iq2_xsIfEvPKvPT_
                                        ; -- End function
	.section	.AMDGPU.csdata,"",@progbits
; Kernel info:
; codeLenInByte = 524
; NumSgprs: 14
; NumVgprs: 21
; NumAgprs: 0
; TotalNumVgprs: 21
; ScratchSize: 0
; MemoryBound: 0
; FloatMode: 240
; IeeeMode: 1
; LDSByteSize: 0 bytes/workgroup (compile time only)
; SGPRBlocks: 1
; VGPRBlocks: 2
; NumSGPRsForWavesPerEU: 14
; NumVGPRsForWavesPerEU: 21
; AccumOffset: 24
; Occupancy: 8
; WaveLimiterHint : 0
; COMPUTE_PGM_RSRC2:SCRATCH_EN: 0
; COMPUTE_PGM_RSRC2:USER_SGPR: 2
; COMPUTE_PGM_RSRC2:TRAP_HANDLER: 0
; COMPUTE_PGM_RSRC2:TGID_X_EN: 1
; COMPUTE_PGM_RSRC2:TGID_Y_EN: 0
; COMPUTE_PGM_RSRC2:TGID_Z_EN: 0
; COMPUTE_PGM_RSRC2:TIDIG_COMP_CNT: 0
; COMPUTE_PGM_RSRC3_GFX90A:ACCUM_OFFSET: 5
; COMPUTE_PGM_RSRC3_GFX90A:TG_SPLIT: 0
	.section	.text._ZL24dequantize_block_iq3_xxsIfEvPKvPT_,"axG",@progbits,_ZL24dequantize_block_iq3_xxsIfEvPKvPT_,comdat
	.globl	_ZL24dequantize_block_iq3_xxsIfEvPKvPT_ ; -- Begin function _ZL24dequantize_block_iq3_xxsIfEvPKvPT_
	.p2align	8
	.type	_ZL24dequantize_block_iq3_xxsIfEvPKvPT_,@function
_ZL24dequantize_block_iq3_xxsIfEvPKvPT_: ; @_ZL24dequantize_block_iq3_xxsIfEvPKvPT_
; %bb.0:
	s_load_dwordx4 s[4:7], s[0:1], 0x0
	s_lshl_b32 s0, s2, 8
	s_mov_b32 s1, 0
	s_lshl_b64 s[0:1], s[0:1], 2
	v_and_b32_e32 v7, 7, v0
	s_waitcnt lgkmcnt(0)
	s_add_u32 s0, s6, s0
	s_addc_u32 s1, s7, s1
	v_lshlrev_b32_e32 v2, 7, v7
	v_mov_b32_e32 v3, 0
	v_lshrrev_b32_e32 v6, 3, v0
	v_lshl_add_u64 v[4:5], s[0:1], 0, v[2:3]
	v_and_b32_e32 v0, 0x3f8, v0
	s_mul_hi_u32 s1, s2, 0x62
	s_mulk_i32 s2, 0x62
	v_lshlrev_b32_e32 v2, 2, v0
	s_add_u32 s0, s4, s2
	v_lshl_add_u64 v[8:9], v[4:5], 0, v[2:3]
	s_addc_u32 s1, s5, s1
	v_lshlrev_b32_e32 v2, 3, v7
	v_lshl_add_u64 v[0:1], s[0:1], 0, v[2:3]
	v_lshlrev_b32_e32 v2, 1, v6
	v_lshl_add_u64 v[0:1], v[0:1], 0, v[2:3]
	v_lshlrev_b32_e32 v4, 2, v7
	global_load_ushort v2, v[0:1], off offset:2
	global_load_ushort v5, v3, s[0:1]
	global_load_dword v7, v4, s[0:1] offset:66
	v_mov_b32_e32 v0, 2
	s_getpc_b64 s[0:1]
	s_add_u32 s0, s0, _ZL11iq3xxs_grid@rel32@lo+4
	s_addc_u32 s1, s1, _ZL11iq3xxs_grid@rel32@hi+12
	v_mul_u32_u24_e32 v1, 7, v6
	s_getpc_b64 s[2:3]
	s_add_u32 s2, s2, _ZL12ksigns_iq2xs@rel32@lo+4
	s_addc_u32 s3, s3, _ZL12ksigns_iq2xs@rel32@hi+12
	s_waitcnt vmcnt(2)
	v_lshlrev_b32_sdwa v3, v0, v2 dst_sel:DWORD dst_unused:UNUSED_PAD src0_sel:DWORD src1_sel:BYTE_0
	v_lshlrev_b32_sdwa v0, v0, v2 dst_sel:DWORD dst_unused:UNUSED_PAD src0_sel:DWORD src1_sel:BYTE_1
	s_waitcnt vmcnt(0)
	v_bfe_u32 v6, v7, v1, 7
	global_load_dword v1, v3, s[0:1]
	global_load_sbyte v10, v6, s[2:3]
	global_load_dword v2, v0, s[0:1]
	v_cvt_f32_f16_e32 v0, v5
	v_lshrrev_b32_e32 v3, 28, v7
	v_cvt_f32_ubyte0_e32 v3, v3
	v_add_f32_e32 v3, 0.5, v3
	v_mul_f32_e32 v0, v3, v0
	v_mul_f32_e32 v0, 0.5, v0
	s_waitcnt vmcnt(2)
	v_cvt_f32_ubyte0_e32 v3, v1
	s_waitcnt vmcnt(1)
	v_and_b32_e32 v4, 1, v10
	s_waitcnt vmcnt(0)
	v_cvt_f32_ubyte0_e32 v5, v2
	v_and_b32_e32 v7, 16, v10
	v_cvt_f32_ubyte1_e32 v11, v1
	v_cvt_f32_ubyte1_e32 v13, v2
	v_cvt_f32_ubyte2_e32 v15, v1
	v_cvt_f32_ubyte2_e32 v17, v2
	v_cvt_f32_ubyte3_e32 v1, v1
	v_cvt_f32_ubyte3_e32 v2, v2
	v_mul_f32_e32 v3, v0, v3
	v_cmp_eq_u16_e32 vcc, 0, v4
	v_and_b32_e32 v12, 2, v10
	v_mul_f32_e32 v5, v0, v5
	v_mul_f32_e32 v11, v0, v11
	v_mul_f32_e32 v13, v0, v13
	v_mul_f32_e32 v15, v0, v15
	v_mul_f32_e32 v17, v0, v17
	v_mul_f32_e32 v19, v0, v1
	v_mul_f32_e32 v20, v0, v2
	v_cndmask_b32_e64 v0, -v3, v3, vcc
	v_cmp_eq_u16_e32 vcc, 0, v7
	v_and_b32_e32 v14, 32, v10
	v_and_b32_e32 v16, 4, v10
	v_cndmask_b32_e64 v4, -v5, v5, vcc
	v_cmp_eq_u16_e32 vcc, 0, v12
	v_and_b32_e32 v18, 8, v10
	s_nop 0
	v_cndmask_b32_e64 v1, -v11, v11, vcc
	v_cmp_eq_u16_e32 vcc, 0, v14
	s_nop 1
	v_cndmask_b32_e64 v5, -v13, v13, vcc
	v_cmp_eq_u16_e32 vcc, 0, v16
	s_nop 1
	v_cndmask_b32_e64 v2, -v15, v15, vcc
	v_cmp_gt_u32_e32 vcc, 64, v6
	s_nop 1
	v_cndmask_b32_e64 v6, -v17, v17, vcc
	v_cmp_eq_u16_e32 vcc, 0, v18
	s_nop 1
	v_cndmask_b32_e64 v3, -v19, v19, vcc
	v_cmp_gt_i16_e32 vcc, 0, v10
	s_nop 1
	v_cndmask_b32_e64 v7, v20, -v20, vcc
	global_store_dwordx4 v[8:9], v[0:3], off
	global_store_dwordx4 v[8:9], v[4:7], off offset:16
	s_endpgm
	.section	.rodata,"a",@progbits
	.p2align	6, 0x0
	.amdhsa_kernel _ZL24dequantize_block_iq3_xxsIfEvPKvPT_
		.amdhsa_group_segment_fixed_size 0
		.amdhsa_private_segment_fixed_size 0
		.amdhsa_kernarg_size 16
		.amdhsa_user_sgpr_count 2
		.amdhsa_user_sgpr_dispatch_ptr 0
		.amdhsa_user_sgpr_queue_ptr 0
		.amdhsa_user_sgpr_kernarg_segment_ptr 1
		.amdhsa_user_sgpr_dispatch_id 0
		.amdhsa_user_sgpr_kernarg_preload_length 0
		.amdhsa_user_sgpr_kernarg_preload_offset 0
		.amdhsa_user_sgpr_private_segment_size 0
		.amdhsa_uses_dynamic_stack 0
		.amdhsa_enable_private_segment 0
		.amdhsa_system_sgpr_workgroup_id_x 1
		.amdhsa_system_sgpr_workgroup_id_y 0
		.amdhsa_system_sgpr_workgroup_id_z 0
		.amdhsa_system_sgpr_workgroup_info 0
		.amdhsa_system_vgpr_workitem_id 0
		.amdhsa_next_free_vgpr 21
		.amdhsa_next_free_sgpr 8
		.amdhsa_accum_offset 24
		.amdhsa_reserve_vcc 1
		.amdhsa_float_round_mode_32 0
		.amdhsa_float_round_mode_16_64 0
		.amdhsa_float_denorm_mode_32 3
		.amdhsa_float_denorm_mode_16_64 3
		.amdhsa_dx10_clamp 1
		.amdhsa_ieee_mode 1
		.amdhsa_fp16_overflow 0
		.amdhsa_tg_split 0
		.amdhsa_exception_fp_ieee_invalid_op 0
		.amdhsa_exception_fp_denorm_src 0
		.amdhsa_exception_fp_ieee_div_zero 0
		.amdhsa_exception_fp_ieee_overflow 0
		.amdhsa_exception_fp_ieee_underflow 0
		.amdhsa_exception_fp_ieee_inexact 0
		.amdhsa_exception_int_div_zero 0
	.end_amdhsa_kernel
	.section	.text._ZL24dequantize_block_iq3_xxsIfEvPKvPT_,"axG",@progbits,_ZL24dequantize_block_iq3_xxsIfEvPKvPT_,comdat
.Lfunc_end12:
	.size	_ZL24dequantize_block_iq3_xxsIfEvPKvPT_, .Lfunc_end12-_ZL24dequantize_block_iq3_xxsIfEvPKvPT_
                                        ; -- End function
	.section	.AMDGPU.csdata,"",@progbits
; Kernel info:
; codeLenInByte = 516
; NumSgprs: 14
; NumVgprs: 21
; NumAgprs: 0
; TotalNumVgprs: 21
; ScratchSize: 0
; MemoryBound: 0
; FloatMode: 240
; IeeeMode: 1
; LDSByteSize: 0 bytes/workgroup (compile time only)
; SGPRBlocks: 1
; VGPRBlocks: 2
; NumSGPRsForWavesPerEU: 14
; NumVGPRsForWavesPerEU: 21
; AccumOffset: 24
; Occupancy: 8
; WaveLimiterHint : 0
; COMPUTE_PGM_RSRC2:SCRATCH_EN: 0
; COMPUTE_PGM_RSRC2:USER_SGPR: 2
; COMPUTE_PGM_RSRC2:TRAP_HANDLER: 0
; COMPUTE_PGM_RSRC2:TGID_X_EN: 1
; COMPUTE_PGM_RSRC2:TGID_Y_EN: 0
; COMPUTE_PGM_RSRC2:TGID_Z_EN: 0
; COMPUTE_PGM_RSRC2:TIDIG_COMP_CNT: 0
; COMPUTE_PGM_RSRC3_GFX90A:ACCUM_OFFSET: 5
; COMPUTE_PGM_RSRC3_GFX90A:TG_SPLIT: 0
	.section	.text._ZL22dequantize_block_iq1_sIfEvPKvPT_,"axG",@progbits,_ZL22dequantize_block_iq1_sIfEvPKvPT_,comdat
	.globl	_ZL22dequantize_block_iq1_sIfEvPKvPT_ ; -- Begin function _ZL22dequantize_block_iq1_sIfEvPKvPT_
	.p2align	8
	.type	_ZL22dequantize_block_iq1_sIfEvPKvPT_,@function
_ZL22dequantize_block_iq1_sIfEvPKvPT_:  ; @_ZL22dequantize_block_iq1_sIfEvPKvPT_
; %bb.0:
	s_load_dwordx4 s[4:7], s[0:1], 0x0
	s_mov_b32 s3, 0
	s_lshl_b64 s[0:1], s[2:3], 10
	s_mul_hi_u32 s3, s2, 50
	s_mul_i32 s2, s2, 50
	s_waitcnt lgkmcnt(0)
	s_add_u32 s0, s6, s0
	s_addc_u32 s1, s7, s1
	v_and_b32_e32 v6, 7, v0
	s_add_u32 s2, s4, s2
	v_mov_b32_e32 v3, 0
	s_addc_u32 s3, s5, s3
	v_lshlrev_b32_e32 v1, 1, v6
	v_lshrrev_b32_e32 v2, 3, v0
	global_load_ushort v7, v1, s[2:3] offset:34
	v_lshlrev_b32_e32 v4, 2, v6
	v_mov_b32_e32 v5, v3
	v_lshl_add_u64 v[4:5], v[4:5], 0, v[2:3]
	v_lshl_add_u64 v[4:5], s[2:3], 0, v[4:5]
	global_load_ubyte v1, v[4:5], off offset:2
	global_load_ushort v10, v3, s[2:3]
	v_mul_u32_u24_e32 v2, 3, v2
	s_movk_i32 s4, 0x700
	s_getpc_b64 s[2:3]
	s_add_u32 s2, s2, _ZL13iq1s_grid_gpu@rel32@lo+4
	s_addc_u32 s3, s3, _ZL13iq1s_grid_gpu@rel32@hi+12
	v_mov_b32_e32 v5, 0xbf900000
	v_mov_b32_e32 v11, 0xbf600000
	s_waitcnt vmcnt(2)
	v_lshrrev_b32_sdwa v2, v2, v7 dst_sel:DWORD dst_unused:UNUSED_PAD src0_sel:DWORD src1_sel:WORD_0
	v_lshlrev_b32_e32 v2, 8, v2
	v_cmp_lt_i16_e32 vcc, -1, v7
	s_waitcnt vmcnt(1)
	v_and_or_b32 v1, v2, s4, v1
	v_lshlrev_b32_e32 v1, 3, v1
	global_load_dword v4, v1, s[2:3]
	v_mov_b32_e32 v1, v3
	v_and_b32_e32 v2, 0x3f8, v0
	v_lshlrev_b32_e32 v0, 7, v6
	v_lshlrev_b32_e32 v2, 2, v2
	v_lshl_add_u64 v[0:1], s[0:1], 0, v[0:1]
	v_lshl_add_u64 v[8:9], v[0:1], 0, v[2:3]
	s_waitcnt vmcnt(1)
	v_cvt_f32_f16_e32 v1, v10
	v_lshrrev_b16_e32 v2, 11, v7
	v_and_b32_e32 v2, 14, v2
	v_or_b32_e32 v2, 1, v2
	v_cvt_f32_ubyte0_e32 v2, v2
	v_cndmask_b32_e32 v0, v5, v11, vcc
	v_mul_f32_e32 v6, v1, v2
	s_waitcnt vmcnt(0)
	v_and_b32_e32 v1, 0xf0f0f0f, v4
	v_bfe_u32 v2, v4, 8, 4
	v_and_b32_e32 v5, 15, v4
	v_bfe_u32 v7, v4, 16, 4
	v_bfe_u32 v10, v4, 12, 4
	;; [unrolled: 1-line block ×3, first 2 shown]
	v_lshrrev_b32_e32 v13, 28, v4
	v_bfe_u32 v14, v4, 20, 4
	v_cvt_f32_ubyte0_e32 v3, v2
	v_cvt_f32_ubyte0_e32 v2, v5
	v_cvt_f32_ubyte3_e32 v5, v1
	v_cvt_f32_ubyte0_e32 v4, v7
	v_cvt_f32_ubyte0_e32 v11, v10
	;; [unrolled: 1-line block ×5, first 2 shown]
	v_pk_add_f32 v[2:3], v[0:1], v[2:3] op_sel_hi:[0,1]
	v_pk_add_f32 v[4:5], v[0:1], v[4:5] op_sel_hi:[0,1]
	;; [unrolled: 1-line block ×4, first 2 shown]
	v_pk_mul_f32 v[0:1], v[6:7], v[2:3] op_sel_hi:[0,1]
	v_pk_mul_f32 v[2:3], v[6:7], v[4:5] op_sel_hi:[0,1]
	v_pk_mul_f32 v[4:5], v[6:7], v[10:11] op_sel_hi:[0,1]
	v_pk_mul_f32 v[6:7], v[6:7], v[12:13] op_sel_hi:[0,1]
	global_store_dwordx4 v[8:9], v[0:3], off
	global_store_dwordx4 v[8:9], v[4:7], off offset:16
	s_endpgm
	.section	.rodata,"a",@progbits
	.p2align	6, 0x0
	.amdhsa_kernel _ZL22dequantize_block_iq1_sIfEvPKvPT_
		.amdhsa_group_segment_fixed_size 0
		.amdhsa_private_segment_fixed_size 0
		.amdhsa_kernarg_size 16
		.amdhsa_user_sgpr_count 2
		.amdhsa_user_sgpr_dispatch_ptr 0
		.amdhsa_user_sgpr_queue_ptr 0
		.amdhsa_user_sgpr_kernarg_segment_ptr 1
		.amdhsa_user_sgpr_dispatch_id 0
		.amdhsa_user_sgpr_kernarg_preload_length 0
		.amdhsa_user_sgpr_kernarg_preload_offset 0
		.amdhsa_user_sgpr_private_segment_size 0
		.amdhsa_uses_dynamic_stack 0
		.amdhsa_enable_private_segment 0
		.amdhsa_system_sgpr_workgroup_id_x 1
		.amdhsa_system_sgpr_workgroup_id_y 0
		.amdhsa_system_sgpr_workgroup_id_z 0
		.amdhsa_system_sgpr_workgroup_info 0
		.amdhsa_system_vgpr_workitem_id 0
		.amdhsa_next_free_vgpr 15
		.amdhsa_next_free_sgpr 8
		.amdhsa_accum_offset 16
		.amdhsa_reserve_vcc 1
		.amdhsa_float_round_mode_32 0
		.amdhsa_float_round_mode_16_64 0
		.amdhsa_float_denorm_mode_32 3
		.amdhsa_float_denorm_mode_16_64 3
		.amdhsa_dx10_clamp 1
		.amdhsa_ieee_mode 1
		.amdhsa_fp16_overflow 0
		.amdhsa_tg_split 0
		.amdhsa_exception_fp_ieee_invalid_op 0
		.amdhsa_exception_fp_denorm_src 0
		.amdhsa_exception_fp_ieee_div_zero 0
		.amdhsa_exception_fp_ieee_overflow 0
		.amdhsa_exception_fp_ieee_underflow 0
		.amdhsa_exception_fp_ieee_inexact 0
		.amdhsa_exception_int_div_zero 0
	.end_amdhsa_kernel
	.section	.text._ZL22dequantize_block_iq1_sIfEvPKvPT_,"axG",@progbits,_ZL22dequantize_block_iq1_sIfEvPKvPT_,comdat
.Lfunc_end13:
	.size	_ZL22dequantize_block_iq1_sIfEvPKvPT_, .Lfunc_end13-_ZL22dequantize_block_iq1_sIfEvPKvPT_
                                        ; -- End function
	.section	.AMDGPU.csdata,"",@progbits
; Kernel info:
; codeLenInByte = 440
; NumSgprs: 14
; NumVgprs: 15
; NumAgprs: 0
; TotalNumVgprs: 15
; ScratchSize: 0
; MemoryBound: 0
; FloatMode: 240
; IeeeMode: 1
; LDSByteSize: 0 bytes/workgroup (compile time only)
; SGPRBlocks: 1
; VGPRBlocks: 1
; NumSGPRsForWavesPerEU: 14
; NumVGPRsForWavesPerEU: 15
; AccumOffset: 16
; Occupancy: 8
; WaveLimiterHint : 0
; COMPUTE_PGM_RSRC2:SCRATCH_EN: 0
; COMPUTE_PGM_RSRC2:USER_SGPR: 2
; COMPUTE_PGM_RSRC2:TRAP_HANDLER: 0
; COMPUTE_PGM_RSRC2:TGID_X_EN: 1
; COMPUTE_PGM_RSRC2:TGID_Y_EN: 0
; COMPUTE_PGM_RSRC2:TGID_Z_EN: 0
; COMPUTE_PGM_RSRC2:TIDIG_COMP_CNT: 0
; COMPUTE_PGM_RSRC3_GFX90A:ACCUM_OFFSET: 3
; COMPUTE_PGM_RSRC3_GFX90A:TG_SPLIT: 0
	.section	.text._ZL23dequantize_block_iq4_nlIfEvPKvPT_,"axG",@progbits,_ZL23dequantize_block_iq4_nlIfEvPKvPT_,comdat
	.globl	_ZL23dequantize_block_iq4_nlIfEvPKvPT_ ; -- Begin function _ZL23dequantize_block_iq4_nlIfEvPKvPT_
	.p2align	8
	.type	_ZL23dequantize_block_iq4_nlIfEvPKvPT_,@function
_ZL23dequantize_block_iq4_nlIfEvPKvPT_: ; @_ZL23dequantize_block_iq4_nlIfEvPKvPT_
; %bb.0:
	s_load_dwordx4 s[4:7], s[0:1], 0x0
	s_lshl_b32 s0, s2, 3
	s_mul_i32 s1, s2, 0x90
	s_mul_hi_u32 s3, s0, 18
	v_and_b32_e32 v1, 7, v0
	s_waitcnt lgkmcnt(0)
	s_add_u32 s0, s4, s1
	s_addc_u32 s1, s5, s3
	s_lshl_b32 s2, s2, 8
	s_mov_b32 s3, 0
	s_lshl_b64 s[4:5], s[2:3], 2
	s_add_u32 s4, s6, s4
	s_addc_u32 s5, s7, s5
	v_lshlrev_b32_e32 v2, 7, v1
	v_mov_b32_e32 v3, 0
	v_lshrrev_b32_e32 v0, 1, v0
	v_lshl_add_u64 v[4:5], s[4:5], 0, v[2:3]
	v_and_b32_e32 v2, 0x1fc, v0
	v_mad_u64_u32 v[0:1], s[0:1], v1, 18, s[0:1]
	v_lshl_add_u64 v[6:7], v[0:1], 0, v[2:3]
	global_load_dword v9, v[6:7], off offset:2
	global_load_ushort v12, v[0:1], off
	v_mov_b32_e32 v0, 4
	s_getpc_b64 s[0:1]
	s_add_u32 s0, s0, _ZL13kvalues_iq4nl@rel32@lo+4
	s_addc_u32 s1, s1, _ZL13kvalues_iq4nl@rel32@hi+12
	v_lshlrev_b32_e32 v8, 2, v2
	v_mov_b32_e32 v1, s3
	v_mov_b32_e32 v7, s3
	s_waitcnt vmcnt(1)
	v_lshrrev_b32_e32 v6, 8, v9
	v_lshrrev_b16_e32 v10, 4, v9
	v_lshrrev_b16_sdwa v2, v0, v9 dst_sel:DWORD dst_unused:UNUSED_PAD src0_sel:DWORD src1_sel:BYTE_3
	v_and_b32_e32 v0, 15, v10
	v_lshrrev_b16_e32 v6, 4, v6
	v_and_b32_e32 v13, 15, v9
	v_lshl_add_u64 v[10:11], v[2:3], 0, s[0:1]
	v_and_b32_e32 v0, 0xffff, v0
	v_and_b32_e32 v2, 15, v6
	v_bfe_u32 v14, v9, 8, 4
	v_bfe_u32 v15, v9, 16, 4
	v_bfe_u32 v16, v9, 20, 4
	v_bfe_u32 v17, v9, 24, 4
	v_lshl_add_u64 v[0:1], v[0:1], 0, s[0:1]
	global_load_sbyte v18, v13, s[0:1]
	global_load_sbyte v19, v[0:1], off
	global_load_sbyte v20, v14, s[0:1]
	global_load_sbyte v21, v15, s[0:1]
	;; [unrolled: 1-line block ×4, first 2 shown]
	v_and_b32_e32 v6, 0xffff, v2
	v_lshl_add_u64 v[0:1], v[6:7], 0, s[0:1]
	global_load_sbyte v7, v[10:11], off
	global_load_sbyte v13, v[0:1], off
	v_mov_b32_e32 v9, v3
	v_lshl_add_u64 v[8:9], v[4:5], 0, v[8:9]
	s_waitcnt vmcnt(8)
	v_cvt_f32_f16_e32 v4, v12
	s_waitcnt vmcnt(7)
	v_cvt_f32_i32_e32 v0, v18
	s_waitcnt vmcnt(6)
	v_cvt_f32_i32_e32 v10, v19
	;; [unrolled: 2-line block ×6, first 2 shown]
	v_pk_mul_f32 v[0:1], v[4:5], v[0:1] op_sel_hi:[0,1]
	s_waitcnt vmcnt(1)
	v_cvt_f32_i32_e32 v7, v7
	s_waitcnt vmcnt(0)
	v_cvt_f32_i32_e32 v11, v13
	v_pk_mul_f32 v[2:3], v[4:5], v[2:3] op_sel_hi:[0,1]
	v_pk_mul_f32 v[6:7], v[4:5], v[6:7] op_sel_hi:[0,1]
	;; [unrolled: 1-line block ×3, first 2 shown]
	global_store_dwordx4 v[8:9], v[0:3], off
	global_store_dwordx4 v[8:9], v[4:7], off offset:64
	s_endpgm
	.section	.rodata,"a",@progbits
	.p2align	6, 0x0
	.amdhsa_kernel _ZL23dequantize_block_iq4_nlIfEvPKvPT_
		.amdhsa_group_segment_fixed_size 0
		.amdhsa_private_segment_fixed_size 0
		.amdhsa_kernarg_size 16
		.amdhsa_user_sgpr_count 2
		.amdhsa_user_sgpr_dispatch_ptr 0
		.amdhsa_user_sgpr_queue_ptr 0
		.amdhsa_user_sgpr_kernarg_segment_ptr 1
		.amdhsa_user_sgpr_dispatch_id 0
		.amdhsa_user_sgpr_kernarg_preload_length 0
		.amdhsa_user_sgpr_kernarg_preload_offset 0
		.amdhsa_user_sgpr_private_segment_size 0
		.amdhsa_uses_dynamic_stack 0
		.amdhsa_enable_private_segment 0
		.amdhsa_system_sgpr_workgroup_id_x 1
		.amdhsa_system_sgpr_workgroup_id_y 0
		.amdhsa_system_sgpr_workgroup_id_z 0
		.amdhsa_system_sgpr_workgroup_info 0
		.amdhsa_system_vgpr_workitem_id 0
		.amdhsa_next_free_vgpr 24
		.amdhsa_next_free_sgpr 8
		.amdhsa_accum_offset 24
		.amdhsa_reserve_vcc 0
		.amdhsa_float_round_mode_32 0
		.amdhsa_float_round_mode_16_64 0
		.amdhsa_float_denorm_mode_32 3
		.amdhsa_float_denorm_mode_16_64 3
		.amdhsa_dx10_clamp 1
		.amdhsa_ieee_mode 1
		.amdhsa_fp16_overflow 0
		.amdhsa_tg_split 0
		.amdhsa_exception_fp_ieee_invalid_op 0
		.amdhsa_exception_fp_denorm_src 0
		.amdhsa_exception_fp_ieee_div_zero 0
		.amdhsa_exception_fp_ieee_overflow 0
		.amdhsa_exception_fp_ieee_underflow 0
		.amdhsa_exception_fp_ieee_inexact 0
		.amdhsa_exception_int_div_zero 0
	.end_amdhsa_kernel
	.section	.text._ZL23dequantize_block_iq4_nlIfEvPKvPT_,"axG",@progbits,_ZL23dequantize_block_iq4_nlIfEvPKvPT_,comdat
.Lfunc_end14:
	.size	_ZL23dequantize_block_iq4_nlIfEvPKvPT_, .Lfunc_end14-_ZL23dequantize_block_iq4_nlIfEvPKvPT_
                                        ; -- End function
	.section	.AMDGPU.csdata,"",@progbits
; Kernel info:
; codeLenInByte = 464
; NumSgprs: 14
; NumVgprs: 24
; NumAgprs: 0
; TotalNumVgprs: 24
; ScratchSize: 0
; MemoryBound: 0
; FloatMode: 240
; IeeeMode: 1
; LDSByteSize: 0 bytes/workgroup (compile time only)
; SGPRBlocks: 1
; VGPRBlocks: 2
; NumSGPRsForWavesPerEU: 14
; NumVGPRsForWavesPerEU: 24
; AccumOffset: 24
; Occupancy: 8
; WaveLimiterHint : 0
; COMPUTE_PGM_RSRC2:SCRATCH_EN: 0
; COMPUTE_PGM_RSRC2:USER_SGPR: 2
; COMPUTE_PGM_RSRC2:TRAP_HANDLER: 0
; COMPUTE_PGM_RSRC2:TGID_X_EN: 1
; COMPUTE_PGM_RSRC2:TGID_Y_EN: 0
; COMPUTE_PGM_RSRC2:TGID_Z_EN: 0
; COMPUTE_PGM_RSRC2:TIDIG_COMP_CNT: 0
; COMPUTE_PGM_RSRC3_GFX90A:ACCUM_OFFSET: 5
; COMPUTE_PGM_RSRC3_GFX90A:TG_SPLIT: 0
	.section	.text._ZL22dequantize_block_iq3_sIfEvPKvPT_,"axG",@progbits,_ZL22dequantize_block_iq3_sIfEvPKvPT_,comdat
	.globl	_ZL22dequantize_block_iq3_sIfEvPKvPT_ ; -- Begin function _ZL22dequantize_block_iq3_sIfEvPKvPT_
	.p2align	8
	.type	_ZL22dequantize_block_iq3_sIfEvPKvPT_,@function
_ZL22dequantize_block_iq3_sIfEvPKvPT_:  ; @_ZL22dequantize_block_iq3_sIfEvPKvPT_
; %bb.0:
	s_load_dwordx4 s[4:7], s[0:1], 0x0
	s_lshl_b32 s0, s2, 8
	s_mov_b32 s1, 0
	s_lshl_b64 s[0:1], s[0:1], 2
	v_and_b32_e32 v8, 7, v0
	s_waitcnt lgkmcnt(0)
	s_add_u32 s0, s6, s0
	s_addc_u32 s1, s7, s1
	v_lshlrev_b32_e32 v4, 7, v8
	v_mov_b32_e32 v5, 0
	v_lshl_add_u64 v[2:3], s[0:1], 0, v[4:5]
	v_and_b32_e32 v4, 0x3f8, v0
	s_mul_hi_u32 s1, s2, 0x6e
	s_mulk_i32 s2, 0x6e
	v_lshlrev_b32_e32 v4, 2, v4
	s_add_u32 s0, s4, s2
	v_lshrrev_b32_e32 v1, 3, v0
	v_lshl_add_u64 v[2:3], v[2:3], 0, v[4:5]
	s_addc_u32 s1, s5, s1
	v_lshlrev_b32_e32 v4, 3, v8
	v_lshl_add_u64 v[6:7], s[0:1], 0, v[4:5]
	v_lshlrev_b32_e32 v4, 1, v1
	v_bfe_u32 v9, v0, 1, 2
	v_lshl_add_u32 v1, v8, 2, v1
	v_lshl_add_u64 v[6:7], v[6:7], 0, v[4:5]
	global_load_ubyte v9, v9, s[0:1] offset:106
	s_nop 0
	global_load_sbyte v11, v1, s[0:1] offset:74
	global_load_ushort v10, v[6:7], off offset:2
	global_load_ubyte v12, v8, s[0:1] offset:66
	global_load_ushort v13, v5, s[0:1]
	v_sub_u32_e32 v1, 8, v4
	s_movk_i32 s2, 0x100
	v_sub_u32_e32 v4, 7, v4
	s_getpc_b64 s[0:1]
	s_add_u32 s0, s0, _ZL10iq3xs_grid@rel32@lo+4
	s_addc_u32 s1, s1, _ZL10iq3xs_grid@rel32@hi+12
	v_lshlrev_b32_e32 v0, 2, v0
	v_and_b32_e32 v0, 4, v0
	s_waitcnt vmcnt(3)
	v_and_b32_e32 v7, 16, v11
	s_waitcnt vmcnt(2)
	;; [unrolled: 2-line block ×3, first 2 shown]
	v_lshlrev_b32_e32 v1, v1, v12
	v_lshrrev_b16_e32 v6, 8, v10
	v_lshlrev_b32_e32 v4, v4, v12
	v_and_or_b32 v1, v1, s2, v5
	v_and_or_b32 v4, v4, s2, v6
	v_lshlrev_b32_e32 v1, 2, v1
	v_lshlrev_b32_e32 v4, 2, v4
	global_load_dword v5, v1, s[0:1]
	global_load_dword v6, v4, s[0:1]
	s_waitcnt vmcnt(2)
	v_cvt_f32_f16_e32 v1, v13
	v_bfe_u32 v0, v9, v0, 4
	v_cvt_f32_ubyte0_e32 v0, v0
	v_add_f32_e32 v0, 0.5, v0
	v_mul_f32_e32 v0, v0, v1
	v_and_b32_e32 v4, 1, v11
	v_mul_f32_e32 v0, 0.5, v0
	v_cmp_eq_u16_e32 vcc, 0, v4
	v_and_b32_e32 v9, 2, v11
	v_and_b32_e32 v10, 32, v11
	;; [unrolled: 1-line block ×5, first 2 shown]
	s_waitcnt vmcnt(1)
	v_cvt_f32_ubyte0_e32 v1, v5
	s_waitcnt vmcnt(0)
	v_cvt_f32_ubyte0_e32 v8, v6
	v_mul_f32_e32 v1, v0, v1
	v_cvt_f32_ubyte1_e32 v15, v5
	v_mul_f32_e32 v8, v0, v8
	v_cndmask_b32_e64 v4, -v1, v1, vcc
	v_cmp_eq_u16_e32 vcc, 0, v7
	v_cvt_f32_ubyte1_e32 v16, v6
	v_cvt_f32_ubyte2_e32 v17, v5
	v_cvt_f32_ubyte3_e32 v5, v5
	v_mul_f32_e32 v15, v0, v15
	v_cndmask_b32_e64 v8, -v8, v8, vcc
	v_cmp_eq_u16_e32 vcc, 0, v9
	v_mul_f32_e32 v16, v0, v16
	v_mul_f32_e32 v19, v0, v5
	v_cndmask_b32_e64 v5, -v15, v15, vcc
	v_cmp_eq_u16_e32 vcc, 0, v10
	v_cvt_f32_ubyte2_e32 v18, v6
	v_cvt_f32_ubyte3_e32 v6, v6
	v_mul_f32_e32 v17, v0, v17
	v_cndmask_b32_e64 v9, -v16, v16, vcc
	v_cmp_eq_u16_e32 vcc, 0, v12
	v_mul_f32_e32 v18, v0, v18
	v_mul_f32_e32 v0, v0, v6
	v_cndmask_b32_e64 v6, -v17, v17, vcc
	v_cmp_eq_u16_e32 vcc, 0, v13
	s_nop 1
	v_cndmask_b32_e64 v10, -v18, v18, vcc
	v_cmp_eq_u16_e32 vcc, 0, v14
	s_nop 1
	v_cndmask_b32_e64 v7, -v19, v19, vcc
	v_cmp_gt_i16_e32 vcc, 0, v11
	s_nop 1
	v_cndmask_b32_e64 v11, v0, -v0, vcc
	global_store_dwordx4 v[2:3], v[4:7], off
	global_store_dwordx4 v[2:3], v[8:11], off offset:16
	s_endpgm
	.section	.rodata,"a",@progbits
	.p2align	6, 0x0
	.amdhsa_kernel _ZL22dequantize_block_iq3_sIfEvPKvPT_
		.amdhsa_group_segment_fixed_size 0
		.amdhsa_private_segment_fixed_size 0
		.amdhsa_kernarg_size 16
		.amdhsa_user_sgpr_count 2
		.amdhsa_user_sgpr_dispatch_ptr 0
		.amdhsa_user_sgpr_queue_ptr 0
		.amdhsa_user_sgpr_kernarg_segment_ptr 1
		.amdhsa_user_sgpr_dispatch_id 0
		.amdhsa_user_sgpr_kernarg_preload_length 0
		.amdhsa_user_sgpr_kernarg_preload_offset 0
		.amdhsa_user_sgpr_private_segment_size 0
		.amdhsa_uses_dynamic_stack 0
		.amdhsa_enable_private_segment 0
		.amdhsa_system_sgpr_workgroup_id_x 1
		.amdhsa_system_sgpr_workgroup_id_y 0
		.amdhsa_system_sgpr_workgroup_id_z 0
		.amdhsa_system_sgpr_workgroup_info 0
		.amdhsa_system_vgpr_workitem_id 0
		.amdhsa_next_free_vgpr 20
		.amdhsa_next_free_sgpr 8
		.amdhsa_accum_offset 20
		.amdhsa_reserve_vcc 1
		.amdhsa_float_round_mode_32 0
		.amdhsa_float_round_mode_16_64 0
		.amdhsa_float_denorm_mode_32 3
		.amdhsa_float_denorm_mode_16_64 3
		.amdhsa_dx10_clamp 1
		.amdhsa_ieee_mode 1
		.amdhsa_fp16_overflow 0
		.amdhsa_tg_split 0
		.amdhsa_exception_fp_ieee_invalid_op 0
		.amdhsa_exception_fp_denorm_src 0
		.amdhsa_exception_fp_ieee_div_zero 0
		.amdhsa_exception_fp_ieee_overflow 0
		.amdhsa_exception_fp_ieee_underflow 0
		.amdhsa_exception_fp_ieee_inexact 0
		.amdhsa_exception_int_div_zero 0
	.end_amdhsa_kernel
	.section	.text._ZL22dequantize_block_iq3_sIfEvPKvPT_,"axG",@progbits,_ZL22dequantize_block_iq3_sIfEvPKvPT_,comdat
.Lfunc_end15:
	.size	_ZL22dequantize_block_iq3_sIfEvPKvPT_, .Lfunc_end15-_ZL22dequantize_block_iq3_sIfEvPKvPT_
                                        ; -- End function
	.section	.AMDGPU.csdata,"",@progbits
; Kernel info:
; codeLenInByte = 552
; NumSgprs: 14
; NumVgprs: 20
; NumAgprs: 0
; TotalNumVgprs: 20
; ScratchSize: 0
; MemoryBound: 0
; FloatMode: 240
; IeeeMode: 1
; LDSByteSize: 0 bytes/workgroup (compile time only)
; SGPRBlocks: 1
; VGPRBlocks: 2
; NumSGPRsForWavesPerEU: 14
; NumVGPRsForWavesPerEU: 20
; AccumOffset: 20
; Occupancy: 8
; WaveLimiterHint : 0
; COMPUTE_PGM_RSRC2:SCRATCH_EN: 0
; COMPUTE_PGM_RSRC2:USER_SGPR: 2
; COMPUTE_PGM_RSRC2:TRAP_HANDLER: 0
; COMPUTE_PGM_RSRC2:TGID_X_EN: 1
; COMPUTE_PGM_RSRC2:TGID_Y_EN: 0
; COMPUTE_PGM_RSRC2:TGID_Z_EN: 0
; COMPUTE_PGM_RSRC2:TIDIG_COMP_CNT: 0
; COMPUTE_PGM_RSRC3_GFX90A:ACCUM_OFFSET: 4
; COMPUTE_PGM_RSRC3_GFX90A:TG_SPLIT: 0
	.section	.text._ZL22dequantize_block_iq2_sIfEvPKvPT_,"axG",@progbits,_ZL22dequantize_block_iq2_sIfEvPKvPT_,comdat
	.globl	_ZL22dequantize_block_iq2_sIfEvPKvPT_ ; -- Begin function _ZL22dequantize_block_iq2_sIfEvPKvPT_
	.p2align	8
	.type	_ZL22dequantize_block_iq2_sIfEvPKvPT_,@function
_ZL22dequantize_block_iq2_sIfEvPKvPT_:  ; @_ZL22dequantize_block_iq2_sIfEvPKvPT_
; %bb.0:
	s_load_dwordx4 s[4:7], s[0:1], 0x0
	s_lshl_b32 s0, s2, 8
	s_mov_b32 s1, 0
	s_lshl_b64 s[0:1], s[0:1], 2
	v_and_b32_e32 v1, 7, v0
	s_waitcnt lgkmcnt(0)
	s_add_u32 s0, s6, s0
	s_addc_u32 s1, s7, s1
	v_lshlrev_b32_e32 v6, 7, v1
	v_mov_b32_e32 v7, 0
	v_lshl_add_u64 v[2:3], s[0:1], 0, v[6:7]
	v_and_b32_e32 v5, 0x3f8, v0
	s_mul_hi_u32 s1, s2, 0x52
	s_mulk_i32 s2, 0x52
	v_lshlrev_b32_e32 v6, 2, v5
	s_add_u32 s0, s4, s2
	v_lshrrev_b32_e32 v4, 3, v0
	v_lshl_add_u64 v[2:3], v[2:3], 0, v[6:7]
	s_addc_u32 s1, s5, s1
	v_lshlrev_b32_e32 v6, 2, v1
	v_add_u32_e32 v5, v6, v4
	global_load_ubyte v10, v1, s[0:1] offset:66
	global_load_ubyte v11, v5, s[0:1] offset:2
	v_mov_b32_e32 v5, v7
	s_add_u32 s2, s0, 2
	v_lshl_add_u64 v[8:9], v[4:5], 0, v[6:7]
	s_addc_u32 s3, s1, 0
	v_lshl_add_u64 v[8:9], s[2:3], 0, v[8:9]
	global_load_ushort v6, v7, s[0:1]
	global_load_sbyte v12, v[8:9], off offset:32
	global_load_ubyte v13, v1, s[0:1] offset:74
	v_lshlrev_b32_e32 v1, 1, v4
	v_sub_u32_e32 v1, 8, v1
	s_movk_i32 s2, 0x300
	s_getpc_b64 s[0:1]
	s_add_u32 s0, s0, _ZL9iq2s_grid@rel32@lo+4
	s_addc_u32 s1, s1, _ZL9iq2s_grid@rel32@hi+12
	v_lshrrev_b32_e32 v0, 2, v0
	v_and_b32_e32 v0, 0xfc, v0
	s_waitcnt vmcnt(4)
	v_lshlrev_b32_e32 v1, v1, v10
	s_waitcnt vmcnt(3)
	v_and_or_b32 v1, v1, s2, v11
	v_lshlrev_b32_e32 v1, 3, v1
	global_load_dwordx2 v[4:5], v1, s[0:1]
	s_waitcnt vmcnt(3)
	v_cvt_f32_f16_e32 v1, v6
	s_waitcnt vmcnt(2)
	v_and_b32_e32 v6, 1, v12
	s_waitcnt vmcnt(1)
	v_bfe_u32 v0, v13, v0, 4
	v_cvt_f32_ubyte0_e32 v0, v0
	v_add_f32_e32 v0, 0.5, v0
	v_mul_f32_e32 v0, v0, v1
	v_mul_f32_e32 v0, 0x3e800000, v0
	v_and_b32_e32 v7, 2, v12
	v_cmp_eq_u16_e32 vcc, 0, v6
	v_and_b32_e32 v8, 4, v12
	v_and_b32_e32 v9, 8, v12
	;; [unrolled: 1-line block ×5, first 2 shown]
	s_waitcnt vmcnt(0)
	v_cvt_f32_ubyte0_e32 v1, v4
	v_cvt_f32_ubyte1_e32 v14, v4
	v_cvt_f32_ubyte2_e32 v15, v4
	v_cvt_f32_ubyte3_e32 v4, v4
	v_mul_f32_e32 v1, v0, v1
	v_cvt_f32_ubyte0_e32 v16, v5
	v_cvt_f32_ubyte1_e32 v17, v5
	v_cvt_f32_ubyte2_e32 v18, v5
	v_cvt_f32_ubyte3_e32 v5, v5
	v_mul_f32_e32 v14, v0, v14
	v_mul_f32_e32 v19, v0, v4
	v_cndmask_b32_e64 v4, -v1, v1, vcc
	v_cmp_eq_u16_e32 vcc, 0, v7
	v_mul_f32_e32 v15, v0, v15
	v_mul_f32_e32 v16, v0, v16
	;; [unrolled: 1-line block ×5, first 2 shown]
	v_cndmask_b32_e64 v5, -v14, v14, vcc
	v_cmp_eq_u16_e32 vcc, 0, v8
	s_nop 1
	v_cndmask_b32_e64 v6, -v15, v15, vcc
	v_cmp_eq_u16_e32 vcc, 0, v9
	s_nop 1
	;; [unrolled: 3-line block ×5, first 2 shown]
	v_cndmask_b32_e64 v10, -v18, v18, vcc
	v_cmp_gt_i16_e32 vcc, 0, v12
	s_nop 1
	v_cndmask_b32_e64 v11, v0, -v0, vcc
	global_store_dwordx4 v[2:3], v[4:7], off
	global_store_dwordx4 v[2:3], v[8:11], off offset:16
	s_endpgm
	.section	.rodata,"a",@progbits
	.p2align	6, 0x0
	.amdhsa_kernel _ZL22dequantize_block_iq2_sIfEvPKvPT_
		.amdhsa_group_segment_fixed_size 0
		.amdhsa_private_segment_fixed_size 0
		.amdhsa_kernarg_size 16
		.amdhsa_user_sgpr_count 2
		.amdhsa_user_sgpr_dispatch_ptr 0
		.amdhsa_user_sgpr_queue_ptr 0
		.amdhsa_user_sgpr_kernarg_segment_ptr 1
		.amdhsa_user_sgpr_dispatch_id 0
		.amdhsa_user_sgpr_kernarg_preload_length 0
		.amdhsa_user_sgpr_kernarg_preload_offset 0
		.amdhsa_user_sgpr_private_segment_size 0
		.amdhsa_uses_dynamic_stack 0
		.amdhsa_enable_private_segment 0
		.amdhsa_system_sgpr_workgroup_id_x 1
		.amdhsa_system_sgpr_workgroup_id_y 0
		.amdhsa_system_sgpr_workgroup_id_z 0
		.amdhsa_system_sgpr_workgroup_info 0
		.amdhsa_system_vgpr_workitem_id 0
		.amdhsa_next_free_vgpr 20
		.amdhsa_next_free_sgpr 8
		.amdhsa_accum_offset 20
		.amdhsa_reserve_vcc 1
		.amdhsa_float_round_mode_32 0
		.amdhsa_float_round_mode_16_64 0
		.amdhsa_float_denorm_mode_32 3
		.amdhsa_float_denorm_mode_16_64 3
		.amdhsa_dx10_clamp 1
		.amdhsa_ieee_mode 1
		.amdhsa_fp16_overflow 0
		.amdhsa_tg_split 0
		.amdhsa_exception_fp_ieee_invalid_op 0
		.amdhsa_exception_fp_denorm_src 0
		.amdhsa_exception_fp_ieee_div_zero 0
		.amdhsa_exception_fp_ieee_overflow 0
		.amdhsa_exception_fp_ieee_underflow 0
		.amdhsa_exception_fp_ieee_inexact 0
		.amdhsa_exception_int_div_zero 0
	.end_amdhsa_kernel
	.section	.text._ZL22dequantize_block_iq2_sIfEvPKvPT_,"axG",@progbits,_ZL22dequantize_block_iq2_sIfEvPKvPT_,comdat
.Lfunc_end16:
	.size	_ZL22dequantize_block_iq2_sIfEvPKvPT_, .Lfunc_end16-_ZL22dequantize_block_iq2_sIfEvPKvPT_
                                        ; -- End function
	.section	.AMDGPU.csdata,"",@progbits
; Kernel info:
; codeLenInByte = 528
; NumSgprs: 14
; NumVgprs: 20
; NumAgprs: 0
; TotalNumVgprs: 20
; ScratchSize: 0
; MemoryBound: 0
; FloatMode: 240
; IeeeMode: 1
; LDSByteSize: 0 bytes/workgroup (compile time only)
; SGPRBlocks: 1
; VGPRBlocks: 2
; NumSGPRsForWavesPerEU: 14
; NumVGPRsForWavesPerEU: 20
; AccumOffset: 20
; Occupancy: 8
; WaveLimiterHint : 0
; COMPUTE_PGM_RSRC2:SCRATCH_EN: 0
; COMPUTE_PGM_RSRC2:USER_SGPR: 2
; COMPUTE_PGM_RSRC2:TRAP_HANDLER: 0
; COMPUTE_PGM_RSRC2:TGID_X_EN: 1
; COMPUTE_PGM_RSRC2:TGID_Y_EN: 0
; COMPUTE_PGM_RSRC2:TGID_Z_EN: 0
; COMPUTE_PGM_RSRC2:TIDIG_COMP_CNT: 0
; COMPUTE_PGM_RSRC3_GFX90A:ACCUM_OFFSET: 4
; COMPUTE_PGM_RSRC3_GFX90A:TG_SPLIT: 0
	.section	.text._ZL23dequantize_block_iq4_xsIfEvPKvPT_,"axG",@progbits,_ZL23dequantize_block_iq4_xsIfEvPKvPT_,comdat
	.globl	_ZL23dequantize_block_iq4_xsIfEvPKvPT_ ; -- Begin function _ZL23dequantize_block_iq4_xsIfEvPKvPT_
	.p2align	8
	.type	_ZL23dequantize_block_iq4_xsIfEvPKvPT_,@function
_ZL23dequantize_block_iq4_xsIfEvPKvPT_: ; @_ZL23dequantize_block_iq4_xsIfEvPKvPT_
; %bb.0:
	s_load_dwordx4 s[4:7], s[0:1], 0x0
	s_lshl_b32 s0, s2, 8
	s_mov_b32 s1, 0
	s_lshl_b64 s[8:9], s[0:1], 2
	v_and_b32_e32 v1, 7, v0
	s_waitcnt lgkmcnt(0)
	s_add_u32 s6, s6, s8
	s_addc_u32 s7, s7, s9
	s_mul_hi_u32 s0, s2, 0x88
	s_mulk_i32 s2, 0x88
	v_lshlrev_b32_e32 v2, 7, v1
	v_mov_b32_e32 v3, 0
	s_add_u32 s2, s4, s2
	v_lshl_add_u64 v[4:5], s[6:7], 0, v[2:3]
	v_lshrrev_b32_e32 v2, 1, v0
	s_addc_u32 s3, s5, s0
	v_lshlrev_b32_e32 v6, 4, v1
	v_mov_b32_e32 v7, v3
	v_and_b32_e32 v2, 0x1fc, v2
	v_lshl_add_u64 v[6:7], s[2:3], 0, v[6:7]
	v_lshl_add_u64 v[6:7], v[6:7], 0, v[2:3]
	global_load_dword v6, v[6:7], off offset:8
	v_bfe_u32 v7, v0, 1, 2
	global_load_dword v11, v3, s[2:3]
	global_load_ubyte v14, v7, s[2:3] offset:4
	v_mov_b32_e32 v8, 4
	v_mov_b32_e32 v7, s1
	;; [unrolled: 1-line block ×3, first 2 shown]
	v_lshlrev_b32_e32 v10, 2, v2
	s_getpc_b64 s[0:1]
	s_add_u32 s0, s0, _ZL13kvalues_iq4nl@rel32@lo+4
	s_addc_u32 s1, s1, _ZL13kvalues_iq4nl@rel32@hi+12
	v_lshlrev_b32_e32 v0, 2, v0
	v_lshlrev_b32_e32 v1, 1, v1
	v_and_b32_e32 v0, 4, v0
	s_waitcnt vmcnt(2)
	v_lshrrev_b32_e32 v12, 8, v6
	v_lshrrev_b16_e32 v13, 4, v6
	v_and_b32_e32 v15, 15, v6
	v_bfe_u32 v16, v6, 8, 4
	v_bfe_u32 v17, v6, 16, 4
	;; [unrolled: 1-line block ×4, first 2 shown]
	v_lshrrev_b16_sdwa v2, v8, v6 dst_sel:DWORD dst_unused:UNUSED_PAD src0_sel:DWORD src1_sel:BYTE_3
	v_and_b32_e32 v6, 15, v13
	v_lshrrev_b16_e32 v8, 4, v12
	v_lshl_add_u64 v[12:13], v[2:3], 0, s[0:1]
	v_and_b32_e32 v6, 0xffff, v6
	v_and_b32_e32 v2, 15, v8
	v_lshl_add_u64 v[6:7], v[6:7], 0, s[0:1]
	global_load_sbyte v20, v15, s[0:1]
	global_load_sbyte v21, v[6:7], off
	global_load_sbyte v22, v16, s[0:1]
	global_load_sbyte v23, v17, s[0:1]
	;; [unrolled: 1-line block ×4, first 2 shown]
	v_and_b32_e32 v8, 0xffff, v2
	v_lshl_add_u64 v[6:7], v[8:9], 0, s[0:1]
	global_load_sbyte v15, v[12:13], off
	global_load_sbyte v16, v[6:7], off
	s_waitcnt vmcnt(9)
	v_lshrrev_b32_sdwa v1, v1, v11 dst_sel:DWORD dst_unused:UNUSED_PAD src0_sel:DWORD src1_sel:WORD_1
	s_waitcnt vmcnt(8)
	v_bfe_u32 v0, v14, v0, 4
	v_lshlrev_b32_e32 v1, 4, v1
	v_and_or_b32 v0, v1, 48, v0
	v_subrev_u32_e32 v0, 32, v0
	v_cvt_f32_f16_e32 v2, v11
	v_cvt_f32_i32_e32 v0, v0
	v_mov_b32_e32 v11, v3
	v_lshl_add_u64 v[8:9], v[4:5], 0, v[10:11]
	v_mul_f32_e32 v4, v2, v0
	s_waitcnt vmcnt(7)
	v_cvt_f32_i32_e32 v0, v20
	s_waitcnt vmcnt(6)
	v_cvt_f32_i32_e32 v10, v21
	;; [unrolled: 2-line block ×6, first 2 shown]
	v_pk_mul_f32 v[0:1], v[4:5], v[0:1] op_sel_hi:[0,1]
	s_waitcnt vmcnt(1)
	v_cvt_f32_i32_e32 v7, v15
	s_waitcnt vmcnt(0)
	v_cvt_f32_i32_e32 v11, v16
	v_pk_mul_f32 v[2:3], v[4:5], v[2:3] op_sel_hi:[0,1]
	v_pk_mul_f32 v[6:7], v[4:5], v[6:7] op_sel_hi:[0,1]
	;; [unrolled: 1-line block ×3, first 2 shown]
	global_store_dwordx4 v[8:9], v[0:3], off
	global_store_dwordx4 v[8:9], v[4:7], off offset:64
	s_endpgm
	.section	.rodata,"a",@progbits
	.p2align	6, 0x0
	.amdhsa_kernel _ZL23dequantize_block_iq4_xsIfEvPKvPT_
		.amdhsa_group_segment_fixed_size 0
		.amdhsa_private_segment_fixed_size 0
		.amdhsa_kernarg_size 16
		.amdhsa_user_sgpr_count 2
		.amdhsa_user_sgpr_dispatch_ptr 0
		.amdhsa_user_sgpr_queue_ptr 0
		.amdhsa_user_sgpr_kernarg_segment_ptr 1
		.amdhsa_user_sgpr_dispatch_id 0
		.amdhsa_user_sgpr_kernarg_preload_length 0
		.amdhsa_user_sgpr_kernarg_preload_offset 0
		.amdhsa_user_sgpr_private_segment_size 0
		.amdhsa_uses_dynamic_stack 0
		.amdhsa_enable_private_segment 0
		.amdhsa_system_sgpr_workgroup_id_x 1
		.amdhsa_system_sgpr_workgroup_id_y 0
		.amdhsa_system_sgpr_workgroup_id_z 0
		.amdhsa_system_sgpr_workgroup_info 0
		.amdhsa_system_vgpr_workitem_id 0
		.amdhsa_next_free_vgpr 26
		.amdhsa_next_free_sgpr 10
		.amdhsa_accum_offset 28
		.amdhsa_reserve_vcc 0
		.amdhsa_float_round_mode_32 0
		.amdhsa_float_round_mode_16_64 0
		.amdhsa_float_denorm_mode_32 3
		.amdhsa_float_denorm_mode_16_64 3
		.amdhsa_dx10_clamp 1
		.amdhsa_ieee_mode 1
		.amdhsa_fp16_overflow 0
		.amdhsa_tg_split 0
		.amdhsa_exception_fp_ieee_invalid_op 0
		.amdhsa_exception_fp_denorm_src 0
		.amdhsa_exception_fp_ieee_div_zero 0
		.amdhsa_exception_fp_ieee_overflow 0
		.amdhsa_exception_fp_ieee_underflow 0
		.amdhsa_exception_fp_ieee_inexact 0
		.amdhsa_exception_int_div_zero 0
	.end_amdhsa_kernel
	.section	.text._ZL23dequantize_block_iq4_xsIfEvPKvPT_,"axG",@progbits,_ZL23dequantize_block_iq4_xsIfEvPKvPT_,comdat
.Lfunc_end17:
	.size	_ZL23dequantize_block_iq4_xsIfEvPKvPT_, .Lfunc_end17-_ZL23dequantize_block_iq4_xsIfEvPKvPT_
                                        ; -- End function
	.section	.AMDGPU.csdata,"",@progbits
; Kernel info:
; codeLenInByte = 540
; NumSgprs: 16
; NumVgprs: 26
; NumAgprs: 0
; TotalNumVgprs: 26
; ScratchSize: 0
; MemoryBound: 0
; FloatMode: 240
; IeeeMode: 1
; LDSByteSize: 0 bytes/workgroup (compile time only)
; SGPRBlocks: 1
; VGPRBlocks: 3
; NumSGPRsForWavesPerEU: 16
; NumVGPRsForWavesPerEU: 26
; AccumOffset: 28
; Occupancy: 8
; WaveLimiterHint : 0
; COMPUTE_PGM_RSRC2:SCRATCH_EN: 0
; COMPUTE_PGM_RSRC2:USER_SGPR: 2
; COMPUTE_PGM_RSRC2:TRAP_HANDLER: 0
; COMPUTE_PGM_RSRC2:TGID_X_EN: 1
; COMPUTE_PGM_RSRC2:TGID_Y_EN: 0
; COMPUTE_PGM_RSRC2:TGID_Z_EN: 0
; COMPUTE_PGM_RSRC2:TIDIG_COMP_CNT: 0
; COMPUTE_PGM_RSRC3_GFX90A:ACCUM_OFFSET: 6
; COMPUTE_PGM_RSRC3_GFX90A:TG_SPLIT: 0
	.section	.text._ZL22dequantize_block_iq1_mIfEvPKvPT_,"axG",@progbits,_ZL22dequantize_block_iq1_mIfEvPKvPT_,comdat
	.globl	_ZL22dequantize_block_iq1_mIfEvPKvPT_ ; -- Begin function _ZL22dequantize_block_iq1_mIfEvPKvPT_
	.p2align	8
	.type	_ZL22dequantize_block_iq1_mIfEvPKvPT_,@function
_ZL22dequantize_block_iq1_mIfEvPKvPT_:  ; @_ZL22dequantize_block_iq1_mIfEvPKvPT_
; %bb.0:
	s_load_dwordx4 s[4:7], s[0:1], 0x0
	s_mov_b32 s3, 0
	s_lshl_b64 s[0:1], s[2:3], 10
	v_mov_b32_e32 v3, 0
	v_and_b32_e32 v10, 7, v0
	s_waitcnt lgkmcnt(0)
	s_add_u32 s0, s6, s0
	s_addc_u32 s1, s7, s1
	s_mul_hi_u32 s3, s2, 56
	s_mul_i32 s2, s2, 56
	s_add_u32 s2, s4, s2
	v_lshlrev_b32_e32 v4, 1, v10
	v_mov_b32_e32 v5, v3
	v_lshrrev_b32_e32 v6, 4, v0
	v_mov_b32_e32 v7, v3
	s_addc_u32 s3, s5, s3
	v_lshl_add_u64 v[4:5], v[4:5], 0, v[6:7]
	v_lshl_add_u64 v[6:7], s[2:3], 0, v[4:5]
	v_lshrrev_b32_e32 v2, 3, v0
	global_load_ubyte v1, v[6:7], off offset:32
	v_lshlrev_b32_e32 v6, 2, v10
	v_mov_b32_e32 v7, v3
	v_lshl_add_u64 v[6:7], v[6:7], 0, v[2:3]
	v_lshl_add_u64 v[6:7], s[2:3], 0, v[6:7]
	global_load_ubyte v2, v[6:7], off
	global_load_dwordx2 v[8:9], v3, s[2:3] offset:48
	v_lshrrev_b32_e32 v5, 1, v4
	v_lshrrev_b32_e32 v6, 1, v0
	v_and_b32_e32 v5, 62, v5
	v_and_b32_e32 v6, 4, v6
	global_load_ushort v5, v5, s[2:3] offset:48
	s_movk_i32 s4, 0x700
	s_getpc_b64 s[2:3]
	s_add_u32 s2, s2, _ZL13iq1s_grid_gpu@rel32@lo+4
	s_addc_u32 s3, s3, _ZL13iq1s_grid_gpu@rel32@hi+12
	v_mov_b32_e32 v12, 0xffff
	v_and_b32_e32 v4, 3, v4
	v_mul_u32_u24_e32 v4, 3, v4
	v_mov_b32_e32 v13, 0xbf900000
	v_mov_b32_e32 v14, 0xbf600000
	s_waitcnt vmcnt(3)
	v_lshrrev_b32_e32 v6, v6, v1
	v_lshlrev_b32_e32 v1, 8, v6
	s_waitcnt vmcnt(2)
	v_and_or_b32 v1, v1, s4, v2
	v_lshlrev_b32_e32 v1, 3, v1
	global_load_dword v7, v1, s[2:3]
	v_mov_b32_e32 v1, v3
	v_and_b32_e32 v2, 0x3f8, v0
	v_lshlrev_b32_e32 v0, 7, v10
	v_lshlrev_b32_e32 v2, 2, v2
	v_lshl_add_u64 v[0:1], s[0:1], 0, v[0:1]
	v_lshl_add_u64 v[10:11], v[0:1], 0, v[2:3]
	s_waitcnt vmcnt(2)
	v_and_b32_sdwa v0, v12, v8 dst_sel:DWORD dst_unused:UNUSED_PAD src0_sel:DWORD src1_sel:WORD_1
	s_mov_b32 s2, 0x40008
	v_lshl_or_b32 v0, v9, 16, v0
	v_pk_lshrrev_b16 v0, s2, v0
	v_bfe_u32 v1, v8, 12, 4
	v_and_b32_e32 v0, 0xf0000f0, v0
	s_mov_b32 s3, 0xf000
	v_or_b32_e32 v1, v0, v1
	v_and_b32_sdwa v2, v9, s3 dst_sel:DWORD dst_unused:UNUSED_PAD src0_sel:WORD_1 src1_sel:DWORD
	v_or_b32_sdwa v0, v1, v0 dst_sel:DWORD dst_unused:UNUSED_PAD src0_sel:DWORD src1_sel:WORD_1
	v_or_b32_e32 v0, v0, v2
	s_waitcnt vmcnt(1)
	v_lshrrev_b32_e32 v3, v4, v5
	v_cvt_f32_f16_e32 v1, v0
	v_lshlrev_b32_e32 v3, 1, v3
	v_and_or_b32 v3, v3, 14, 1
	v_and_b32_e32 v4, 8, v6
	v_cvt_f32_ubyte0_e32 v2, v3
	v_cmp_eq_u32_e32 vcc, 0, v4
	v_mul_f32_e32 v6, v1, v2
	s_waitcnt vmcnt(0)
	v_and_b32_e32 v1, 0xf0f0f0f, v7
	v_bfe_u32 v2, v7, 8, 4
	v_and_b32_e32 v4, 15, v7
	v_bfe_u32 v8, v7, 16, 4
	v_cndmask_b32_e32 v0, v13, v14, vcc
	v_bfe_u32 v9, v7, 12, 4
	v_bfe_u32 v12, v7, 4, 4
	v_lshrrev_b32_e32 v13, 28, v7
	v_bfe_u32 v7, v7, 20, 4
	v_cvt_f32_ubyte0_e32 v3, v2
	v_cvt_f32_ubyte0_e32 v2, v4
	v_cvt_f32_ubyte3_e32 v5, v1
	v_cvt_f32_ubyte0_e32 v4, v8
	v_cvt_f32_ubyte0_e32 v9, v9
	;; [unrolled: 1-line block ×5, first 2 shown]
	v_pk_add_f32 v[2:3], v[0:1], v[2:3] op_sel_hi:[0,1]
	v_pk_add_f32 v[4:5], v[0:1], v[4:5] op_sel_hi:[0,1]
	;; [unrolled: 1-line block ×4, first 2 shown]
	v_pk_mul_f32 v[0:1], v[6:7], v[2:3] op_sel_hi:[0,1]
	v_pk_mul_f32 v[2:3], v[6:7], v[4:5] op_sel_hi:[0,1]
	;; [unrolled: 1-line block ×4, first 2 shown]
	global_store_dwordx4 v[10:11], v[0:3], off
	global_store_dwordx4 v[10:11], v[4:7], off offset:16
	s_endpgm
	.section	.rodata,"a",@progbits
	.p2align	6, 0x0
	.amdhsa_kernel _ZL22dequantize_block_iq1_mIfEvPKvPT_
		.amdhsa_group_segment_fixed_size 0
		.amdhsa_private_segment_fixed_size 0
		.amdhsa_kernarg_size 16
		.amdhsa_user_sgpr_count 2
		.amdhsa_user_sgpr_dispatch_ptr 0
		.amdhsa_user_sgpr_queue_ptr 0
		.amdhsa_user_sgpr_kernarg_segment_ptr 1
		.amdhsa_user_sgpr_dispatch_id 0
		.amdhsa_user_sgpr_kernarg_preload_length 0
		.amdhsa_user_sgpr_kernarg_preload_offset 0
		.amdhsa_user_sgpr_private_segment_size 0
		.amdhsa_uses_dynamic_stack 0
		.amdhsa_enable_private_segment 0
		.amdhsa_system_sgpr_workgroup_id_x 1
		.amdhsa_system_sgpr_workgroup_id_y 0
		.amdhsa_system_sgpr_workgroup_id_z 0
		.amdhsa_system_sgpr_workgroup_info 0
		.amdhsa_system_vgpr_workitem_id 0
		.amdhsa_next_free_vgpr 15
		.amdhsa_next_free_sgpr 8
		.amdhsa_accum_offset 16
		.amdhsa_reserve_vcc 1
		.amdhsa_float_round_mode_32 0
		.amdhsa_float_round_mode_16_64 0
		.amdhsa_float_denorm_mode_32 3
		.amdhsa_float_denorm_mode_16_64 3
		.amdhsa_dx10_clamp 1
		.amdhsa_ieee_mode 1
		.amdhsa_fp16_overflow 0
		.amdhsa_tg_split 0
		.amdhsa_exception_fp_ieee_invalid_op 0
		.amdhsa_exception_fp_denorm_src 0
		.amdhsa_exception_fp_ieee_div_zero 0
		.amdhsa_exception_fp_ieee_overflow 0
		.amdhsa_exception_fp_ieee_underflow 0
		.amdhsa_exception_fp_ieee_inexact 0
		.amdhsa_exception_int_div_zero 0
	.end_amdhsa_kernel
	.section	.text._ZL22dequantize_block_iq1_mIfEvPKvPT_,"axG",@progbits,_ZL22dequantize_block_iq1_mIfEvPKvPT_,comdat
.Lfunc_end18:
	.size	_ZL22dequantize_block_iq1_mIfEvPKvPT_, .Lfunc_end18-_ZL22dequantize_block_iq1_mIfEvPKvPT_
                                        ; -- End function
	.section	.AMDGPU.csdata,"",@progbits
; Kernel info:
; codeLenInByte = 592
; NumSgprs: 14
; NumVgprs: 15
; NumAgprs: 0
; TotalNumVgprs: 15
; ScratchSize: 0
; MemoryBound: 0
; FloatMode: 240
; IeeeMode: 1
; LDSByteSize: 0 bytes/workgroup (compile time only)
; SGPRBlocks: 1
; VGPRBlocks: 1
; NumSGPRsForWavesPerEU: 14
; NumVGPRsForWavesPerEU: 15
; AccumOffset: 16
; Occupancy: 8
; WaveLimiterHint : 0
; COMPUTE_PGM_RSRC2:SCRATCH_EN: 0
; COMPUTE_PGM_RSRC2:USER_SGPR: 2
; COMPUTE_PGM_RSRC2:TRAP_HANDLER: 0
; COMPUTE_PGM_RSRC2:TGID_X_EN: 1
; COMPUTE_PGM_RSRC2:TGID_Y_EN: 0
; COMPUTE_PGM_RSRC2:TGID_Z_EN: 0
; COMPUTE_PGM_RSRC2:TIDIG_COMP_CNT: 0
; COMPUTE_PGM_RSRC3_GFX90A:ACCUM_OFFSET: 3
; COMPUTE_PGM_RSRC3_GFX90A:TG_SPLIT: 0
	.section	.text._ZL16dequantize_blockILi32ELi2EXadL_ZL15dequantize_q4_0PKviiR7__half2EEN3c104HalfEEvS1_PT2_i,"axG",@progbits,_ZL16dequantize_blockILi32ELi2EXadL_ZL15dequantize_q4_0PKviiR7__half2EEN3c104HalfEEvS1_PT2_i,comdat
	.globl	_ZL16dequantize_blockILi32ELi2EXadL_ZL15dequantize_q4_0PKviiR7__half2EEN3c104HalfEEvS1_PT2_i ; -- Begin function _ZL16dequantize_blockILi32ELi2EXadL_ZL15dequantize_q4_0PKviiR7__half2EEN3c104HalfEEvS1_PT2_i
	.p2align	8
	.type	_ZL16dequantize_blockILi32ELi2EXadL_ZL15dequantize_q4_0PKviiR7__half2EEN3c104HalfEEvS1_PT2_i,@function
_ZL16dequantize_blockILi32ELi2EXadL_ZL15dequantize_q4_0PKviiR7__half2EEN3c104HalfEEvS1_PT2_i: ; @_ZL16dequantize_blockILi32ELi2EXadL_ZL15dequantize_q4_0PKviiR7__half2EEN3c104HalfEEvS1_PT2_i
; %bb.0:
	s_load_dword s3, s[0:1], 0x24
	s_load_dword s4, s[0:1], 0x10
	s_waitcnt lgkmcnt(0)
	s_and_b32 s3, s3, 0xffff
	s_mul_i32 s2, s2, s3
	v_add_lshl_u32 v0, s2, v0, 1
	v_cmp_gt_i32_e32 vcc, s4, v0
	s_and_saveexec_b64 s[2:3], vcc
	s_cbranch_execz .LBB19_2
; %bb.1:
	v_ashrrev_i32_e32 v1, 31, v0
	s_load_dwordx4 s[0:3], s[0:1], 0x0
	v_lshrrev_b32_e32 v1, 27, v1
	v_add_u32_e32 v1, v0, v1
	v_and_b32_e32 v6, 0xffffffe0, v1
	v_sub_u32_e32 v0, v0, v6
	v_ashrrev_i32_e32 v2, 5, v1
	v_ashrrev_i32_e32 v0, 1, v0
	s_waitcnt lgkmcnt(0)
	v_mad_i64_i32 v[2:3], s[0:1], v2, 18, s[0:1]
	v_ashrrev_i32_e32 v1, 31, v0
	v_lshl_add_u64 v[4:5], v[2:3], 0, v[0:1]
	global_load_ubyte v1, v[4:5], off offset:2
	global_load_ushort v7, v[2:3], off
	s_mov_b32 s0, 0xc800
	v_add_u32_e32 v0, v6, v0
	s_waitcnt vmcnt(1)
	v_and_b32_e32 v2, 15, v1
	v_lshrrev_b32_e32 v1, 4, v1
	v_cvt_f32_ubyte0_e32 v2, v2
	v_cvt_f32_ubyte0_e32 v1, v1
	v_cvt_f16_f32_e32 v2, v2
	v_cvt_f16_f32_e32 v3, v1
	v_ashrrev_i32_e32 v1, 31, v0
	v_lshl_add_u64 v[0:1], v[0:1], 1, s[2:3]
	v_pack_b32_f16 v2, v2, v3
	v_pk_add_f16 v2, v2, s0 op_sel_hi:[1,0]
	s_waitcnt vmcnt(0)
	v_pk_mul_f16 v2, v7, v2 op_sel_hi:[0,1]
	global_store_short v[0:1], v2, off
	global_store_short_d16_hi v[0:1], v2, off offset:32
.LBB19_2:
	s_endpgm
	.section	.rodata,"a",@progbits
	.p2align	6, 0x0
	.amdhsa_kernel _ZL16dequantize_blockILi32ELi2EXadL_ZL15dequantize_q4_0PKviiR7__half2EEN3c104HalfEEvS1_PT2_i
		.amdhsa_group_segment_fixed_size 0
		.amdhsa_private_segment_fixed_size 0
		.amdhsa_kernarg_size 280
		.amdhsa_user_sgpr_count 2
		.amdhsa_user_sgpr_dispatch_ptr 0
		.amdhsa_user_sgpr_queue_ptr 0
		.amdhsa_user_sgpr_kernarg_segment_ptr 1
		.amdhsa_user_sgpr_dispatch_id 0
		.amdhsa_user_sgpr_kernarg_preload_length 0
		.amdhsa_user_sgpr_kernarg_preload_offset 0
		.amdhsa_user_sgpr_private_segment_size 0
		.amdhsa_uses_dynamic_stack 0
		.amdhsa_enable_private_segment 0
		.amdhsa_system_sgpr_workgroup_id_x 1
		.amdhsa_system_sgpr_workgroup_id_y 0
		.amdhsa_system_sgpr_workgroup_id_z 0
		.amdhsa_system_sgpr_workgroup_info 0
		.amdhsa_system_vgpr_workitem_id 0
		.amdhsa_next_free_vgpr 8
		.amdhsa_next_free_sgpr 5
		.amdhsa_accum_offset 8
		.amdhsa_reserve_vcc 1
		.amdhsa_float_round_mode_32 0
		.amdhsa_float_round_mode_16_64 0
		.amdhsa_float_denorm_mode_32 3
		.amdhsa_float_denorm_mode_16_64 3
		.amdhsa_dx10_clamp 1
		.amdhsa_ieee_mode 1
		.amdhsa_fp16_overflow 0
		.amdhsa_tg_split 0
		.amdhsa_exception_fp_ieee_invalid_op 0
		.amdhsa_exception_fp_denorm_src 0
		.amdhsa_exception_fp_ieee_div_zero 0
		.amdhsa_exception_fp_ieee_overflow 0
		.amdhsa_exception_fp_ieee_underflow 0
		.amdhsa_exception_fp_ieee_inexact 0
		.amdhsa_exception_int_div_zero 0
	.end_amdhsa_kernel
	.section	.text._ZL16dequantize_blockILi32ELi2EXadL_ZL15dequantize_q4_0PKviiR7__half2EEN3c104HalfEEvS1_PT2_i,"axG",@progbits,_ZL16dequantize_blockILi32ELi2EXadL_ZL15dequantize_q4_0PKviiR7__half2EEN3c104HalfEEvS1_PT2_i,comdat
.Lfunc_end19:
	.size	_ZL16dequantize_blockILi32ELi2EXadL_ZL15dequantize_q4_0PKviiR7__half2EEN3c104HalfEEvS1_PT2_i, .Lfunc_end19-_ZL16dequantize_blockILi32ELi2EXadL_ZL15dequantize_q4_0PKviiR7__half2EEN3c104HalfEEvS1_PT2_i
                                        ; -- End function
	.section	.AMDGPU.csdata,"",@progbits
; Kernel info:
; codeLenInByte = 232
; NumSgprs: 11
; NumVgprs: 8
; NumAgprs: 0
; TotalNumVgprs: 8
; ScratchSize: 0
; MemoryBound: 0
; FloatMode: 240
; IeeeMode: 1
; LDSByteSize: 0 bytes/workgroup (compile time only)
; SGPRBlocks: 1
; VGPRBlocks: 0
; NumSGPRsForWavesPerEU: 11
; NumVGPRsForWavesPerEU: 8
; AccumOffset: 8
; Occupancy: 8
; WaveLimiterHint : 0
; COMPUTE_PGM_RSRC2:SCRATCH_EN: 0
; COMPUTE_PGM_RSRC2:USER_SGPR: 2
; COMPUTE_PGM_RSRC2:TRAP_HANDLER: 0
; COMPUTE_PGM_RSRC2:TGID_X_EN: 1
; COMPUTE_PGM_RSRC2:TGID_Y_EN: 0
; COMPUTE_PGM_RSRC2:TGID_Z_EN: 0
; COMPUTE_PGM_RSRC2:TIDIG_COMP_CNT: 0
; COMPUTE_PGM_RSRC3_GFX90A:ACCUM_OFFSET: 1
; COMPUTE_PGM_RSRC3_GFX90A:TG_SPLIT: 0
	.section	.text._ZL16dequantize_blockILi32ELi2EXadL_ZL15dequantize_q4_1PKviiR7__half2EEN3c104HalfEEvS1_PT2_i,"axG",@progbits,_ZL16dequantize_blockILi32ELi2EXadL_ZL15dequantize_q4_1PKviiR7__half2EEN3c104HalfEEvS1_PT2_i,comdat
	.globl	_ZL16dequantize_blockILi32ELi2EXadL_ZL15dequantize_q4_1PKviiR7__half2EEN3c104HalfEEvS1_PT2_i ; -- Begin function _ZL16dequantize_blockILi32ELi2EXadL_ZL15dequantize_q4_1PKviiR7__half2EEN3c104HalfEEvS1_PT2_i
	.p2align	8
	.type	_ZL16dequantize_blockILi32ELi2EXadL_ZL15dequantize_q4_1PKviiR7__half2EEN3c104HalfEEvS1_PT2_i,@function
_ZL16dequantize_blockILi32ELi2EXadL_ZL15dequantize_q4_1PKviiR7__half2EEN3c104HalfEEvS1_PT2_i: ; @_ZL16dequantize_blockILi32ELi2EXadL_ZL15dequantize_q4_1PKviiR7__half2EEN3c104HalfEEvS1_PT2_i
; %bb.0:
	s_load_dword s3, s[0:1], 0x24
	s_load_dword s4, s[0:1], 0x10
	s_waitcnt lgkmcnt(0)
	s_and_b32 s3, s3, 0xffff
	s_mul_i32 s2, s2, s3
	v_add_lshl_u32 v0, s2, v0, 1
	v_cmp_gt_i32_e32 vcc, s4, v0
	s_and_saveexec_b64 s[2:3], vcc
	s_cbranch_execz .LBB20_2
; %bb.1:
	v_ashrrev_i32_e32 v1, 31, v0
	s_load_dwordx4 s[0:3], s[0:1], 0x0
	v_lshrrev_b32_e32 v1, 27, v1
	v_add_u32_e32 v1, v0, v1
	v_and_b32_e32 v6, 0xffffffe0, v1
	v_sub_u32_e32 v0, v0, v6
	v_ashrrev_i32_e32 v2, 5, v1
	v_ashrrev_i32_e32 v0, 1, v0
	s_waitcnt lgkmcnt(0)
	v_mad_i64_i32 v[2:3], s[0:1], v2, 20, s[0:1]
	v_ashrrev_i32_e32 v1, 31, v0
	v_lshl_add_u64 v[4:5], v[2:3], 0, v[0:1]
	global_load_ubyte v1, v[4:5], off offset:4
	global_load_dword v7, v[2:3], off
	v_add_u32_e32 v0, v6, v0
	s_waitcnt vmcnt(1)
	v_and_b32_e32 v2, 15, v1
	v_lshrrev_b32_e32 v1, 4, v1
	v_cvt_f32_ubyte0_e32 v2, v2
	v_cvt_f32_ubyte0_e32 v1, v1
	v_cvt_f16_f32_e32 v2, v2
	v_cvt_f16_f32_e32 v3, v1
	v_ashrrev_i32_e32 v1, 31, v0
	v_lshl_add_u64 v[0:1], v[0:1], 1, s[2:3]
	v_pack_b32_f16 v2, v2, v3
	s_waitcnt vmcnt(0)
	v_pk_fma_f16 v2, v7, v2, v7 op_sel:[0,0,1] op_sel_hi:[0,1,1]
	global_store_short v[0:1], v2, off
	global_store_short_d16_hi v[0:1], v2, off offset:32
.LBB20_2:
	s_endpgm
	.section	.rodata,"a",@progbits
	.p2align	6, 0x0
	.amdhsa_kernel _ZL16dequantize_blockILi32ELi2EXadL_ZL15dequantize_q4_1PKviiR7__half2EEN3c104HalfEEvS1_PT2_i
		.amdhsa_group_segment_fixed_size 0
		.amdhsa_private_segment_fixed_size 0
		.amdhsa_kernarg_size 280
		.amdhsa_user_sgpr_count 2
		.amdhsa_user_sgpr_dispatch_ptr 0
		.amdhsa_user_sgpr_queue_ptr 0
		.amdhsa_user_sgpr_kernarg_segment_ptr 1
		.amdhsa_user_sgpr_dispatch_id 0
		.amdhsa_user_sgpr_kernarg_preload_length 0
		.amdhsa_user_sgpr_kernarg_preload_offset 0
		.amdhsa_user_sgpr_private_segment_size 0
		.amdhsa_uses_dynamic_stack 0
		.amdhsa_enable_private_segment 0
		.amdhsa_system_sgpr_workgroup_id_x 1
		.amdhsa_system_sgpr_workgroup_id_y 0
		.amdhsa_system_sgpr_workgroup_id_z 0
		.amdhsa_system_sgpr_workgroup_info 0
		.amdhsa_system_vgpr_workitem_id 0
		.amdhsa_next_free_vgpr 8
		.amdhsa_next_free_sgpr 5
		.amdhsa_accum_offset 8
		.amdhsa_reserve_vcc 1
		.amdhsa_float_round_mode_32 0
		.amdhsa_float_round_mode_16_64 0
		.amdhsa_float_denorm_mode_32 3
		.amdhsa_float_denorm_mode_16_64 3
		.amdhsa_dx10_clamp 1
		.amdhsa_ieee_mode 1
		.amdhsa_fp16_overflow 0
		.amdhsa_tg_split 0
		.amdhsa_exception_fp_ieee_invalid_op 0
		.amdhsa_exception_fp_denorm_src 0
		.amdhsa_exception_fp_ieee_div_zero 0
		.amdhsa_exception_fp_ieee_overflow 0
		.amdhsa_exception_fp_ieee_underflow 0
		.amdhsa_exception_fp_ieee_inexact 0
		.amdhsa_exception_int_div_zero 0
	.end_amdhsa_kernel
	.section	.text._ZL16dequantize_blockILi32ELi2EXadL_ZL15dequantize_q4_1PKviiR7__half2EEN3c104HalfEEvS1_PT2_i,"axG",@progbits,_ZL16dequantize_blockILi32ELi2EXadL_ZL15dequantize_q4_1PKviiR7__half2EEN3c104HalfEEvS1_PT2_i,comdat
.Lfunc_end20:
	.size	_ZL16dequantize_blockILi32ELi2EXadL_ZL15dequantize_q4_1PKviiR7__half2EEN3c104HalfEEvS1_PT2_i, .Lfunc_end20-_ZL16dequantize_blockILi32ELi2EXadL_ZL15dequantize_q4_1PKviiR7__half2EEN3c104HalfEEvS1_PT2_i
                                        ; -- End function
	.section	.AMDGPU.csdata,"",@progbits
; Kernel info:
; codeLenInByte = 216
; NumSgprs: 11
; NumVgprs: 8
; NumAgprs: 0
; TotalNumVgprs: 8
; ScratchSize: 0
; MemoryBound: 0
; FloatMode: 240
; IeeeMode: 1
; LDSByteSize: 0 bytes/workgroup (compile time only)
; SGPRBlocks: 1
; VGPRBlocks: 0
; NumSGPRsForWavesPerEU: 11
; NumVGPRsForWavesPerEU: 8
; AccumOffset: 8
; Occupancy: 8
; WaveLimiterHint : 0
; COMPUTE_PGM_RSRC2:SCRATCH_EN: 0
; COMPUTE_PGM_RSRC2:USER_SGPR: 2
; COMPUTE_PGM_RSRC2:TRAP_HANDLER: 0
; COMPUTE_PGM_RSRC2:TGID_X_EN: 1
; COMPUTE_PGM_RSRC2:TGID_Y_EN: 0
; COMPUTE_PGM_RSRC2:TGID_Z_EN: 0
; COMPUTE_PGM_RSRC2:TIDIG_COMP_CNT: 0
; COMPUTE_PGM_RSRC3_GFX90A:ACCUM_OFFSET: 1
; COMPUTE_PGM_RSRC3_GFX90A:TG_SPLIT: 0
	.section	.text._ZL16dequantize_blockILi32ELi2EXadL_ZL15dequantize_q5_0PKviiR7__half2EEN3c104HalfEEvS1_PT2_i,"axG",@progbits,_ZL16dequantize_blockILi32ELi2EXadL_ZL15dequantize_q5_0PKviiR7__half2EEN3c104HalfEEvS1_PT2_i,comdat
	.globl	_ZL16dequantize_blockILi32ELi2EXadL_ZL15dequantize_q5_0PKviiR7__half2EEN3c104HalfEEvS1_PT2_i ; -- Begin function _ZL16dequantize_blockILi32ELi2EXadL_ZL15dequantize_q5_0PKviiR7__half2EEN3c104HalfEEvS1_PT2_i
	.p2align	8
	.type	_ZL16dequantize_blockILi32ELi2EXadL_ZL15dequantize_q5_0PKviiR7__half2EEN3c104HalfEEvS1_PT2_i,@function
_ZL16dequantize_blockILi32ELi2EXadL_ZL15dequantize_q5_0PKviiR7__half2EEN3c104HalfEEvS1_PT2_i: ; @_ZL16dequantize_blockILi32ELi2EXadL_ZL15dequantize_q5_0PKviiR7__half2EEN3c104HalfEEvS1_PT2_i
; %bb.0:
	s_load_dword s3, s[0:1], 0x24
	s_load_dword s4, s[0:1], 0x10
	s_waitcnt lgkmcnt(0)
	s_and_b32 s3, s3, 0xffff
	s_mul_i32 s2, s2, s3
	v_add_lshl_u32 v0, s2, v0, 1
	v_cmp_gt_i32_e32 vcc, s4, v0
	s_and_saveexec_b64 s[2:3], vcc
	s_cbranch_execz .LBB21_2
; %bb.1:
	s_load_dwordx4 s[0:3], s[0:1], 0x0
	v_ashrrev_i32_e32 v1, 31, v0
	v_lshrrev_b32_e32 v1, 27, v1
	v_add_u32_e32 v1, v0, v1
	v_and_b32_e32 v4, 0xffffffe0, v1
	v_ashrrev_i32_e32 v2, 5, v1
	v_sub_u32_e32 v3, v0, v4
	s_waitcnt lgkmcnt(0)
	v_mad_i64_i32 v[0:1], s[0:1], v2, 22, s[0:1]
	v_ashrrev_i32_e32 v2, 1, v3
	global_load_dword v5, v[0:1], off
	global_load_ushort v6, v[0:1], off offset:4
	v_ashrrev_i32_e32 v3, 31, v2
	v_lshl_add_u64 v[0:1], v[0:1], 0, v[2:3]
	global_load_ubyte v0, v[0:1], off offset:6
	s_mov_b32 s0, 0x1000706
	v_add_u32_e32 v1, 12, v2
	s_mov_b32 s1, 0xcc00
	s_waitcnt vmcnt(1)
	v_perm_b32 v3, v5, v6, s0
	v_lshrrev_b32_e32 v6, v2, v3
	v_lshrrev_b32_e32 v1, v1, v3
	v_lshlrev_b32_e32 v3, 4, v6
	s_waitcnt vmcnt(0)
	v_and_b32_e32 v6, 15, v0
	v_lshrrev_b16_e32 v0, 4, v0
	v_and_or_b32 v3, v3, 16, v6
	v_and_or_b32 v0, v1, 16, v0
	v_cvt_f32_ubyte0_e32 v1, v3
	v_cvt_f32_ubyte0_e32 v0, v0
	v_cvt_f16_f32_e32 v3, v1
	v_cvt_f16_f32_e32 v6, v0
	v_add_u32_e32 v0, v4, v2
	v_ashrrev_i32_e32 v1, 31, v0
	v_lshl_add_u64 v[0:1], v[0:1], 1, s[2:3]
	v_pack_b32_f16 v2, v3, v6
	v_pk_add_f16 v2, v2, s1 op_sel_hi:[1,0]
	s_nop 0
	v_pk_mul_f16 v2, v5, v2 op_sel_hi:[0,1]
	global_store_short v[0:1], v2, off
	global_store_short_d16_hi v[0:1], v2, off offset:32
.LBB21_2:
	s_endpgm
	.section	.rodata,"a",@progbits
	.p2align	6, 0x0
	.amdhsa_kernel _ZL16dequantize_blockILi32ELi2EXadL_ZL15dequantize_q5_0PKviiR7__half2EEN3c104HalfEEvS1_PT2_i
		.amdhsa_group_segment_fixed_size 0
		.amdhsa_private_segment_fixed_size 0
		.amdhsa_kernarg_size 280
		.amdhsa_user_sgpr_count 2
		.amdhsa_user_sgpr_dispatch_ptr 0
		.amdhsa_user_sgpr_queue_ptr 0
		.amdhsa_user_sgpr_kernarg_segment_ptr 1
		.amdhsa_user_sgpr_dispatch_id 0
		.amdhsa_user_sgpr_kernarg_preload_length 0
		.amdhsa_user_sgpr_kernarg_preload_offset 0
		.amdhsa_user_sgpr_private_segment_size 0
		.amdhsa_uses_dynamic_stack 0
		.amdhsa_enable_private_segment 0
		.amdhsa_system_sgpr_workgroup_id_x 1
		.amdhsa_system_sgpr_workgroup_id_y 0
		.amdhsa_system_sgpr_workgroup_id_z 0
		.amdhsa_system_sgpr_workgroup_info 0
		.amdhsa_system_vgpr_workitem_id 0
		.amdhsa_next_free_vgpr 7
		.amdhsa_next_free_sgpr 5
		.amdhsa_accum_offset 8
		.amdhsa_reserve_vcc 1
		.amdhsa_float_round_mode_32 0
		.amdhsa_float_round_mode_16_64 0
		.amdhsa_float_denorm_mode_32 3
		.amdhsa_float_denorm_mode_16_64 3
		.amdhsa_dx10_clamp 1
		.amdhsa_ieee_mode 1
		.amdhsa_fp16_overflow 0
		.amdhsa_tg_split 0
		.amdhsa_exception_fp_ieee_invalid_op 0
		.amdhsa_exception_fp_denorm_src 0
		.amdhsa_exception_fp_ieee_div_zero 0
		.amdhsa_exception_fp_ieee_overflow 0
		.amdhsa_exception_fp_ieee_underflow 0
		.amdhsa_exception_fp_ieee_inexact 0
		.amdhsa_exception_int_div_zero 0
	.end_amdhsa_kernel
	.section	.text._ZL16dequantize_blockILi32ELi2EXadL_ZL15dequantize_q5_0PKviiR7__half2EEN3c104HalfEEvS1_PT2_i,"axG",@progbits,_ZL16dequantize_blockILi32ELi2EXadL_ZL15dequantize_q5_0PKviiR7__half2EEN3c104HalfEEvS1_PT2_i,comdat
.Lfunc_end21:
	.size	_ZL16dequantize_blockILi32ELi2EXadL_ZL15dequantize_q5_0PKviiR7__half2EEN3c104HalfEEvS1_PT2_i, .Lfunc_end21-_ZL16dequantize_blockILi32ELi2EXadL_ZL15dequantize_q5_0PKviiR7__half2EEN3c104HalfEEvS1_PT2_i
                                        ; -- End function
	.section	.AMDGPU.csdata,"",@progbits
; Kernel info:
; codeLenInByte = 292
; NumSgprs: 11
; NumVgprs: 7
; NumAgprs: 0
; TotalNumVgprs: 7
; ScratchSize: 0
; MemoryBound: 0
; FloatMode: 240
; IeeeMode: 1
; LDSByteSize: 0 bytes/workgroup (compile time only)
; SGPRBlocks: 1
; VGPRBlocks: 0
; NumSGPRsForWavesPerEU: 11
; NumVGPRsForWavesPerEU: 7
; AccumOffset: 8
; Occupancy: 8
; WaveLimiterHint : 0
; COMPUTE_PGM_RSRC2:SCRATCH_EN: 0
; COMPUTE_PGM_RSRC2:USER_SGPR: 2
; COMPUTE_PGM_RSRC2:TRAP_HANDLER: 0
; COMPUTE_PGM_RSRC2:TGID_X_EN: 1
; COMPUTE_PGM_RSRC2:TGID_Y_EN: 0
; COMPUTE_PGM_RSRC2:TGID_Z_EN: 0
; COMPUTE_PGM_RSRC2:TIDIG_COMP_CNT: 0
; COMPUTE_PGM_RSRC3_GFX90A:ACCUM_OFFSET: 1
; COMPUTE_PGM_RSRC3_GFX90A:TG_SPLIT: 0
	.section	.text._ZL16dequantize_blockILi32ELi2EXadL_ZL15dequantize_q5_1PKviiR7__half2EEN3c104HalfEEvS1_PT2_i,"axG",@progbits,_ZL16dequantize_blockILi32ELi2EXadL_ZL15dequantize_q5_1PKviiR7__half2EEN3c104HalfEEvS1_PT2_i,comdat
	.globl	_ZL16dequantize_blockILi32ELi2EXadL_ZL15dequantize_q5_1PKviiR7__half2EEN3c104HalfEEvS1_PT2_i ; -- Begin function _ZL16dequantize_blockILi32ELi2EXadL_ZL15dequantize_q5_1PKviiR7__half2EEN3c104HalfEEvS1_PT2_i
	.p2align	8
	.type	_ZL16dequantize_blockILi32ELi2EXadL_ZL15dequantize_q5_1PKviiR7__half2EEN3c104HalfEEvS1_PT2_i,@function
_ZL16dequantize_blockILi32ELi2EXadL_ZL15dequantize_q5_1PKviiR7__half2EEN3c104HalfEEvS1_PT2_i: ; @_ZL16dequantize_blockILi32ELi2EXadL_ZL15dequantize_q5_1PKviiR7__half2EEN3c104HalfEEvS1_PT2_i
; %bb.0:
	s_load_dword s3, s[0:1], 0x24
	s_load_dword s4, s[0:1], 0x10
	s_waitcnt lgkmcnt(0)
	s_and_b32 s3, s3, 0xffff
	s_mul_i32 s2, s2, s3
	v_add_lshl_u32 v0, s2, v0, 1
	v_cmp_gt_i32_e32 vcc, s4, v0
	s_and_saveexec_b64 s[2:3], vcc
	s_cbranch_execz .LBB22_2
; %bb.1:
	s_load_dwordx4 s[0:3], s[0:1], 0x0
	v_ashrrev_i32_e32 v1, 31, v0
	v_lshrrev_b32_e32 v1, 27, v1
	v_add_u32_e32 v1, v0, v1
	v_ashrrev_i32_e32 v2, 5, v1
	s_waitcnt lgkmcnt(0)
	v_mad_i64_i32 v[2:3], s[0:1], v2, 24, s[0:1]
	v_and_b32_e32 v6, 0xffffffe0, v1
	global_load_ushort v7, v[2:3], off offset:4
	global_load_ushort v8, v[2:3], off offset:6
	v_sub_u32_e32 v0, v0, v6
	v_ashrrev_i32_e32 v0, 1, v0
	v_ashrrev_i32_e32 v1, 31, v0
	v_lshl_add_u64 v[4:5], v[2:3], 0, v[0:1]
	global_load_ubyte v1, v[4:5], off offset:8
	global_load_dword v9, v[2:3], off
	v_add_u32_e32 v2, 12, v0
	s_waitcnt vmcnt(2)
	v_lshrrev_b16_e32 v3, 8, v8
	v_and_b32_e32 v4, 0xff, v8
	v_lshlrev_b32_e32 v3, 24, v3
	v_lshlrev_b32_e32 v4, 16, v4
	v_or3_b32 v3, v4, v7, v3
	v_lshrrev_b32_e32 v5, v0, v3
	s_waitcnt vmcnt(1)
	v_and_b32_e32 v4, 15, v1
	v_lshrrev_b16_e32 v1, 4, v1
	v_lshrrev_b32_e32 v2, v2, v3
	v_lshlrev_b32_e32 v3, 4, v5
	v_and_or_b32 v1, v2, 16, v1
	v_and_or_b32 v2, v3, 16, v4
	v_cvt_f32_ubyte0_e32 v1, v1
	v_cvt_f32_ubyte0_e32 v2, v2
	v_cvt_f16_f32_e32 v3, v1
	v_cvt_f16_f32_e32 v2, v2
	v_add_u32_e32 v0, v6, v0
	v_ashrrev_i32_e32 v1, 31, v0
	v_lshl_add_u64 v[0:1], v[0:1], 1, s[2:3]
	v_pack_b32_f16 v2, v2, v3
	s_waitcnt vmcnt(0)
	v_pk_fma_f16 v2, v9, v2, v9 op_sel:[0,0,1] op_sel_hi:[0,1,1]
	global_store_short v[0:1], v2, off
	global_store_short_d16_hi v[0:1], v2, off offset:32
.LBB22_2:
	s_endpgm
	.section	.rodata,"a",@progbits
	.p2align	6, 0x0
	.amdhsa_kernel _ZL16dequantize_blockILi32ELi2EXadL_ZL15dequantize_q5_1PKviiR7__half2EEN3c104HalfEEvS1_PT2_i
		.amdhsa_group_segment_fixed_size 0
		.amdhsa_private_segment_fixed_size 0
		.amdhsa_kernarg_size 280
		.amdhsa_user_sgpr_count 2
		.amdhsa_user_sgpr_dispatch_ptr 0
		.amdhsa_user_sgpr_queue_ptr 0
		.amdhsa_user_sgpr_kernarg_segment_ptr 1
		.amdhsa_user_sgpr_dispatch_id 0
		.amdhsa_user_sgpr_kernarg_preload_length 0
		.amdhsa_user_sgpr_kernarg_preload_offset 0
		.amdhsa_user_sgpr_private_segment_size 0
		.amdhsa_uses_dynamic_stack 0
		.amdhsa_enable_private_segment 0
		.amdhsa_system_sgpr_workgroup_id_x 1
		.amdhsa_system_sgpr_workgroup_id_y 0
		.amdhsa_system_sgpr_workgroup_id_z 0
		.amdhsa_system_sgpr_workgroup_info 0
		.amdhsa_system_vgpr_workitem_id 0
		.amdhsa_next_free_vgpr 10
		.amdhsa_next_free_sgpr 5
		.amdhsa_accum_offset 12
		.amdhsa_reserve_vcc 1
		.amdhsa_float_round_mode_32 0
		.amdhsa_float_round_mode_16_64 0
		.amdhsa_float_denorm_mode_32 3
		.amdhsa_float_denorm_mode_16_64 3
		.amdhsa_dx10_clamp 1
		.amdhsa_ieee_mode 1
		.amdhsa_fp16_overflow 0
		.amdhsa_tg_split 0
		.amdhsa_exception_fp_ieee_invalid_op 0
		.amdhsa_exception_fp_denorm_src 0
		.amdhsa_exception_fp_ieee_div_zero 0
		.amdhsa_exception_fp_ieee_overflow 0
		.amdhsa_exception_fp_ieee_underflow 0
		.amdhsa_exception_fp_ieee_inexact 0
		.amdhsa_exception_int_div_zero 0
	.end_amdhsa_kernel
	.section	.text._ZL16dequantize_blockILi32ELi2EXadL_ZL15dequantize_q5_1PKviiR7__half2EEN3c104HalfEEvS1_PT2_i,"axG",@progbits,_ZL16dequantize_blockILi32ELi2EXadL_ZL15dequantize_q5_1PKviiR7__half2EEN3c104HalfEEvS1_PT2_i,comdat
.Lfunc_end22:
	.size	_ZL16dequantize_blockILi32ELi2EXadL_ZL15dequantize_q5_1PKviiR7__half2EEN3c104HalfEEvS1_PT2_i, .Lfunc_end22-_ZL16dequantize_blockILi32ELi2EXadL_ZL15dequantize_q5_1PKviiR7__half2EEN3c104HalfEEvS1_PT2_i
                                        ; -- End function
	.section	.AMDGPU.csdata,"",@progbits
; Kernel info:
; codeLenInByte = 296
; NumSgprs: 11
; NumVgprs: 10
; NumAgprs: 0
; TotalNumVgprs: 10
; ScratchSize: 0
; MemoryBound: 0
; FloatMode: 240
; IeeeMode: 1
; LDSByteSize: 0 bytes/workgroup (compile time only)
; SGPRBlocks: 1
; VGPRBlocks: 1
; NumSGPRsForWavesPerEU: 11
; NumVGPRsForWavesPerEU: 10
; AccumOffset: 12
; Occupancy: 8
; WaveLimiterHint : 0
; COMPUTE_PGM_RSRC2:SCRATCH_EN: 0
; COMPUTE_PGM_RSRC2:USER_SGPR: 2
; COMPUTE_PGM_RSRC2:TRAP_HANDLER: 0
; COMPUTE_PGM_RSRC2:TGID_X_EN: 1
; COMPUTE_PGM_RSRC2:TGID_Y_EN: 0
; COMPUTE_PGM_RSRC2:TGID_Z_EN: 0
; COMPUTE_PGM_RSRC2:TIDIG_COMP_CNT: 0
; COMPUTE_PGM_RSRC3_GFX90A:ACCUM_OFFSET: 2
; COMPUTE_PGM_RSRC3_GFX90A:TG_SPLIT: 0
	.section	.text._ZL16dequantize_blockILi32ELi1EXadL_ZL15dequantize_q8_0PKviiR7__half2EEN3c104HalfEEvS1_PT2_i,"axG",@progbits,_ZL16dequantize_blockILi32ELi1EXadL_ZL15dequantize_q8_0PKviiR7__half2EEN3c104HalfEEvS1_PT2_i,comdat
	.globl	_ZL16dequantize_blockILi32ELi1EXadL_ZL15dequantize_q8_0PKviiR7__half2EEN3c104HalfEEvS1_PT2_i ; -- Begin function _ZL16dequantize_blockILi32ELi1EXadL_ZL15dequantize_q8_0PKviiR7__half2EEN3c104HalfEEvS1_PT2_i
	.p2align	8
	.type	_ZL16dequantize_blockILi32ELi1EXadL_ZL15dequantize_q8_0PKviiR7__half2EEN3c104HalfEEvS1_PT2_i,@function
_ZL16dequantize_blockILi32ELi1EXadL_ZL15dequantize_q8_0PKviiR7__half2EEN3c104HalfEEvS1_PT2_i: ; @_ZL16dequantize_blockILi32ELi1EXadL_ZL15dequantize_q8_0PKviiR7__half2EEN3c104HalfEEvS1_PT2_i
; %bb.0:
	s_load_dword s3, s[0:1], 0x24
	s_load_dword s4, s[0:1], 0x10
	s_waitcnt lgkmcnt(0)
	s_and_b32 s3, s3, 0xffff
	s_mul_i32 s2, s2, s3
	v_add_lshl_u32 v0, s2, v0, 1
	v_cmp_gt_i32_e32 vcc, s4, v0
	s_and_saveexec_b64 s[2:3], vcc
	s_cbranch_execz .LBB23_2
; %bb.1:
	s_load_dwordx4 s[0:3], s[0:1], 0x0
	v_ashrrev_i32_e32 v1, 31, v0
	v_lshrrev_b32_e32 v2, 27, v1
	v_add_u32_e32 v2, v0, v2
	v_ashrrev_i32_e32 v3, 5, v2
	v_and_b32_e32 v2, 0xffffffe0, v2
	v_sub_u32_e32 v2, v0, v2
	s_waitcnt lgkmcnt(0)
	v_mad_i64_i32 v[4:5], s[0:1], v3, 34, s[0:1]
	v_ashrrev_i32_e32 v3, 31, v2
	v_lshl_add_u64 v[2:3], v[4:5], 0, v[2:3]
	global_load_ushort v6, v[2:3], off offset:2
	global_load_ushort v7, v[4:5], off
	v_lshl_add_u64 v[0:1], v[0:1], 1, s[2:3]
	s_waitcnt vmcnt(1)
	v_cvt_f16_i16_sdwa v2, sext(v6) dst_sel:DWORD dst_unused:UNUSED_PAD src0_sel:BYTE_0
	v_cvt_f16_i16_sdwa v3, sext(v6) dst_sel:DWORD dst_unused:UNUSED_PAD src0_sel:BYTE_1
	v_pack_b32_f16 v2, v2, v3
	s_waitcnt vmcnt(0)
	v_pk_mul_f16 v2, v7, v2 op_sel_hi:[0,1]
	global_store_dword v[0:1], v2, off
.LBB23_2:
	s_endpgm
	.section	.rodata,"a",@progbits
	.p2align	6, 0x0
	.amdhsa_kernel _ZL16dequantize_blockILi32ELi1EXadL_ZL15dequantize_q8_0PKviiR7__half2EEN3c104HalfEEvS1_PT2_i
		.amdhsa_group_segment_fixed_size 0
		.amdhsa_private_segment_fixed_size 0
		.amdhsa_kernarg_size 280
		.amdhsa_user_sgpr_count 2
		.amdhsa_user_sgpr_dispatch_ptr 0
		.amdhsa_user_sgpr_queue_ptr 0
		.amdhsa_user_sgpr_kernarg_segment_ptr 1
		.amdhsa_user_sgpr_dispatch_id 0
		.amdhsa_user_sgpr_kernarg_preload_length 0
		.amdhsa_user_sgpr_kernarg_preload_offset 0
		.amdhsa_user_sgpr_private_segment_size 0
		.amdhsa_uses_dynamic_stack 0
		.amdhsa_enable_private_segment 0
		.amdhsa_system_sgpr_workgroup_id_x 1
		.amdhsa_system_sgpr_workgroup_id_y 0
		.amdhsa_system_sgpr_workgroup_id_z 0
		.amdhsa_system_sgpr_workgroup_info 0
		.amdhsa_system_vgpr_workitem_id 0
		.amdhsa_next_free_vgpr 8
		.amdhsa_next_free_sgpr 5
		.amdhsa_accum_offset 8
		.amdhsa_reserve_vcc 1
		.amdhsa_float_round_mode_32 0
		.amdhsa_float_round_mode_16_64 0
		.amdhsa_float_denorm_mode_32 3
		.amdhsa_float_denorm_mode_16_64 3
		.amdhsa_dx10_clamp 1
		.amdhsa_ieee_mode 1
		.amdhsa_fp16_overflow 0
		.amdhsa_tg_split 0
		.amdhsa_exception_fp_ieee_invalid_op 0
		.amdhsa_exception_fp_denorm_src 0
		.amdhsa_exception_fp_ieee_div_zero 0
		.amdhsa_exception_fp_ieee_overflow 0
		.amdhsa_exception_fp_ieee_underflow 0
		.amdhsa_exception_fp_ieee_inexact 0
		.amdhsa_exception_int_div_zero 0
	.end_amdhsa_kernel
	.section	.text._ZL16dequantize_blockILi32ELi1EXadL_ZL15dequantize_q8_0PKviiR7__half2EEN3c104HalfEEvS1_PT2_i,"axG",@progbits,_ZL16dequantize_blockILi32ELi1EXadL_ZL15dequantize_q8_0PKviiR7__half2EEN3c104HalfEEvS1_PT2_i,comdat
.Lfunc_end23:
	.size	_ZL16dequantize_blockILi32ELi1EXadL_ZL15dequantize_q8_0PKviiR7__half2EEN3c104HalfEEvS1_PT2_i, .Lfunc_end23-_ZL16dequantize_blockILi32ELi1EXadL_ZL15dequantize_q8_0PKviiR7__half2EEN3c104HalfEEvS1_PT2_i
                                        ; -- End function
	.section	.AMDGPU.csdata,"",@progbits
; Kernel info:
; codeLenInByte = 188
; NumSgprs: 11
; NumVgprs: 8
; NumAgprs: 0
; TotalNumVgprs: 8
; ScratchSize: 0
; MemoryBound: 0
; FloatMode: 240
; IeeeMode: 1
; LDSByteSize: 0 bytes/workgroup (compile time only)
; SGPRBlocks: 1
; VGPRBlocks: 0
; NumSGPRsForWavesPerEU: 11
; NumVGPRsForWavesPerEU: 8
; AccumOffset: 8
; Occupancy: 8
; WaveLimiterHint : 0
; COMPUTE_PGM_RSRC2:SCRATCH_EN: 0
; COMPUTE_PGM_RSRC2:USER_SGPR: 2
; COMPUTE_PGM_RSRC2:TRAP_HANDLER: 0
; COMPUTE_PGM_RSRC2:TGID_X_EN: 1
; COMPUTE_PGM_RSRC2:TGID_Y_EN: 0
; COMPUTE_PGM_RSRC2:TGID_Z_EN: 0
; COMPUTE_PGM_RSRC2:TIDIG_COMP_CNT: 0
; COMPUTE_PGM_RSRC3_GFX90A:ACCUM_OFFSET: 1
; COMPUTE_PGM_RSRC3_GFX90A:TG_SPLIT: 0
	.section	.text._ZL21dequantize_block_q2_KIN3c104HalfEEvPKvPT_,"axG",@progbits,_ZL21dequantize_block_q2_KIN3c104HalfEEvPKvPT_,comdat
	.globl	_ZL21dequantize_block_q2_KIN3c104HalfEEvPKvPT_ ; -- Begin function _ZL21dequantize_block_q2_KIN3c104HalfEEvPKvPT_
	.p2align	8
	.type	_ZL21dequantize_block_q2_KIN3c104HalfEEvPKvPT_,@function
_ZL21dequantize_block_q2_KIN3c104HalfEEvPKvPT_: ; @_ZL21dequantize_block_q2_KIN3c104HalfEEvPKvPT_
; %bb.0:
	s_load_dwordx4 s[4:7], s[0:1], 0x0
	s_mul_i32 s0, s2, 0x54
	v_lshrrev_b32_e32 v2, 5, v0
	v_bfe_u32 v1, v0, 4, 1
	s_mul_hi_u32 s1, s2, 0x54
	s_waitcnt lgkmcnt(0)
	s_add_u32 s0, s4, s0
	v_lshl_or_b32 v1, v2, 3, v1
	s_addc_u32 s1, s5, s1
	global_load_ubyte v4, v1, s[0:1]
	global_load_ubyte v5, v0, s[0:1] offset:16
	global_load_ubyte v6, v1, s[0:1] offset:2
	;; [unrolled: 1-line block ×4, first 2 shown]
	s_load_dword s3, s[0:1], 0x50
	s_mov_b32 s1, 0
	s_lshl_b32 s0, s2, 8
	s_lshl_b64 s[0:1], s[0:1], 1
	s_add_u32 s0, s6, s0
	v_mov_b32_e32 v1, 0
	v_and_b32_e32 v9, 31, v0
	v_lshlrev_b32_e32 v0, 8, v2
	s_addc_u32 s1, s7, s1
	v_lshl_add_u64 v[2:3], s[0:1], 0, v[0:1]
	v_lshlrev_b32_e32 v0, 1, v9
	v_lshl_add_u64 v[0:1], v[2:3], 0, v[0:1]
	s_waitcnt lgkmcnt(0)
	s_lshr_b32 s0, s3, 16
	s_waitcnt vmcnt(4)
	v_and_b32_e32 v2, 15, v4
	s_waitcnt vmcnt(3)
	v_and_b32_e32 v3, 3, v5
	v_lshrrev_b16_e32 v4, 4, v4
	s_waitcnt vmcnt(2)
	v_and_b32_e32 v9, 15, v6
	v_bfe_u32 v10, v5, 2, 2
	s_waitcnt vmcnt(1)
	v_and_b32_e32 v11, 15, v7
	v_bfe_u32 v12, v5, 4, 2
	s_waitcnt vmcnt(0)
	v_and_b32_e32 v13, 15, v8
	v_lshrrev_b32_e32 v5, 6, v5
	v_mul_u32_u24_sdwa v2, v3, v2 dst_sel:DWORD dst_unused:UNUSED_PAD src0_sel:DWORD src1_sel:WORD_0
	v_cvt_f16_u16_e32 v3, v4
	v_mul_u32_u24_sdwa v4, v10, v9 dst_sel:DWORD dst_unused:UNUSED_PAD src0_sel:DWORD src1_sel:WORD_0
	v_mul_u32_u24_sdwa v9, v12, v11 dst_sel:DWORD dst_unused:UNUSED_PAD src0_sel:DWORD src1_sel:WORD_0
	;; [unrolled: 1-line block ×3, first 2 shown]
	v_cvt_f32_ubyte0_e32 v2, v2
	v_cvt_f32_ubyte0_e32 v4, v4
	v_cvt_f32_ubyte0_e32 v9, v9
	v_cvt_f32_ubyte0_e32 v5, v5
	v_cvt_f16_f32_e32 v2, v2
	v_cvt_f16_f32_e32 v4, v4
	;; [unrolled: 1-line block ×4, first 2 shown]
	v_lshrrev_b16_e32 v6, 4, v6
	v_lshrrev_b16_e32 v7, 4, v7
	;; [unrolled: 1-line block ×3, first 2 shown]
	v_cvt_f16_u16_e32 v6, v6
	v_cvt_f16_u16_e32 v7, v7
	;; [unrolled: 1-line block ×3, first 2 shown]
	v_mul_f16_e32 v3, s0, v3
	v_mul_f16_e32 v6, s0, v6
	;; [unrolled: 1-line block ×4, first 2 shown]
	v_fma_f16 v2, s3, v2, -v3
	v_fma_f16 v3, s3, v4, -v6
	;; [unrolled: 1-line block ×4, first 2 shown]
	global_store_short v[0:1], v2, off
	global_store_short v[0:1], v3, off offset:64
	global_store_short v[0:1], v4, off offset:128
	global_store_short v[0:1], v5, off offset:192
	s_endpgm
	.section	.rodata,"a",@progbits
	.p2align	6, 0x0
	.amdhsa_kernel _ZL21dequantize_block_q2_KIN3c104HalfEEvPKvPT_
		.amdhsa_group_segment_fixed_size 0
		.amdhsa_private_segment_fixed_size 0
		.amdhsa_kernarg_size 16
		.amdhsa_user_sgpr_count 2
		.amdhsa_user_sgpr_dispatch_ptr 0
		.amdhsa_user_sgpr_queue_ptr 0
		.amdhsa_user_sgpr_kernarg_segment_ptr 1
		.amdhsa_user_sgpr_dispatch_id 0
		.amdhsa_user_sgpr_kernarg_preload_length 0
		.amdhsa_user_sgpr_kernarg_preload_offset 0
		.amdhsa_user_sgpr_private_segment_size 0
		.amdhsa_uses_dynamic_stack 0
		.amdhsa_enable_private_segment 0
		.amdhsa_system_sgpr_workgroup_id_x 1
		.amdhsa_system_sgpr_workgroup_id_y 0
		.amdhsa_system_sgpr_workgroup_id_z 0
		.amdhsa_system_sgpr_workgroup_info 0
		.amdhsa_system_vgpr_workitem_id 0
		.amdhsa_next_free_vgpr 14
		.amdhsa_next_free_sgpr 8
		.amdhsa_accum_offset 16
		.amdhsa_reserve_vcc 0
		.amdhsa_float_round_mode_32 0
		.amdhsa_float_round_mode_16_64 0
		.amdhsa_float_denorm_mode_32 3
		.amdhsa_float_denorm_mode_16_64 3
		.amdhsa_dx10_clamp 1
		.amdhsa_ieee_mode 1
		.amdhsa_fp16_overflow 0
		.amdhsa_tg_split 0
		.amdhsa_exception_fp_ieee_invalid_op 0
		.amdhsa_exception_fp_denorm_src 0
		.amdhsa_exception_fp_ieee_div_zero 0
		.amdhsa_exception_fp_ieee_overflow 0
		.amdhsa_exception_fp_ieee_underflow 0
		.amdhsa_exception_fp_ieee_inexact 0
		.amdhsa_exception_int_div_zero 0
	.end_amdhsa_kernel
	.section	.text._ZL21dequantize_block_q2_KIN3c104HalfEEvPKvPT_,"axG",@progbits,_ZL21dequantize_block_q2_KIN3c104HalfEEvPKvPT_,comdat
.Lfunc_end24:
	.size	_ZL21dequantize_block_q2_KIN3c104HalfEEvPKvPT_, .Lfunc_end24-_ZL21dequantize_block_q2_KIN3c104HalfEEvPKvPT_
                                        ; -- End function
	.section	.AMDGPU.csdata,"",@progbits
; Kernel info:
; codeLenInByte = 404
; NumSgprs: 14
; NumVgprs: 14
; NumAgprs: 0
; TotalNumVgprs: 14
; ScratchSize: 0
; MemoryBound: 0
; FloatMode: 240
; IeeeMode: 1
; LDSByteSize: 0 bytes/workgroup (compile time only)
; SGPRBlocks: 1
; VGPRBlocks: 1
; NumSGPRsForWavesPerEU: 14
; NumVGPRsForWavesPerEU: 14
; AccumOffset: 16
; Occupancy: 8
; WaveLimiterHint : 0
; COMPUTE_PGM_RSRC2:SCRATCH_EN: 0
; COMPUTE_PGM_RSRC2:USER_SGPR: 2
; COMPUTE_PGM_RSRC2:TRAP_HANDLER: 0
; COMPUTE_PGM_RSRC2:TGID_X_EN: 1
; COMPUTE_PGM_RSRC2:TGID_Y_EN: 0
; COMPUTE_PGM_RSRC2:TGID_Z_EN: 0
; COMPUTE_PGM_RSRC2:TIDIG_COMP_CNT: 0
; COMPUTE_PGM_RSRC3_GFX90A:ACCUM_OFFSET: 3
; COMPUTE_PGM_RSRC3_GFX90A:TG_SPLIT: 0
	.section	.text._ZL21dequantize_block_q3_KIN3c104HalfEEvPKvPT_,"axG",@progbits,_ZL21dequantize_block_q3_KIN3c104HalfEEvPKvPT_,comdat
	.globl	_ZL21dequantize_block_q3_KIN3c104HalfEEvPKvPT_ ; -- Begin function _ZL21dequantize_block_q3_KIN3c104HalfEEvPKvPT_
	.p2align	8
	.type	_ZL21dequantize_block_q3_KIN3c104HalfEEvPKvPT_,@function
_ZL21dequantize_block_q3_KIN3c104HalfEEvPKvPT_: ; @_ZL21dequantize_block_q3_KIN3c104HalfEEvPKvPT_
; %bb.0:
	v_lshrrev_b32_e32 v8, 5, v0
	v_lshrrev_b32_e32 v6, 3, v0
	v_lshlrev_b32_e32 v1, 2, v8
	s_load_dwordx4 s[4:7], s[0:1], 0x0
	v_sub_u32_e32 v7, v6, v1
	v_lshlrev_b32_e32 v1, 1, v7
	v_bfe_u32 v9, v0, 2, 1
	v_lshl_add_u32 v11, v8, 3, v1
	v_or_b32_e32 v2, v11, v9
	v_cmp_lt_i32_e32 vcc, 3, v2
                                        ; implicit-def: $vgpr4_vgpr5
                                        ; implicit-def: $vgpr3
                                        ; implicit-def: $vgpr10
	s_and_saveexec_b64 s[0:1], vcc
	s_xor_b64 s[0:1], exec, s[0:1]
	s_cbranch_execz .LBB25_10
; %bb.1:
	v_cmp_lt_u32_e32 vcc, 7, v11
                                        ; implicit-def: $vgpr4_vgpr5
                                        ; implicit-def: $vgpr3
                                        ; implicit-def: $vgpr10
	s_and_saveexec_b64 s[8:9], vcc
	s_xor_b64 s[8:9], exec, s[8:9]
	s_cbranch_execz .LBB25_7
; %bb.2:
	s_mul_i32 s13, s2, 0x6e
	s_mul_hi_u32 s12, s2, 0x6e
	s_waitcnt lgkmcnt(0)
	s_add_u32 s10, s4, s13
	v_add_u32_e32 v3, -8, v2
	s_addc_u32 s11, s5, s12
	global_load_ubyte v3, v3, s[10:11] offset:96
	v_cmp_lt_u32_e32 vcc, 11, v11
	s_mov_b32 s3, 0
                                        ; implicit-def: $vgpr10
	s_waitcnt vmcnt(0)
	v_lshrrev_b16_e32 v3, 4, v3
	s_and_saveexec_b64 s[10:11], vcc
	s_xor_b64 s[10:11], exec, s[10:11]
	s_cbranch_execz .LBB25_4
; %bb.3:
	s_add_u32 s14, s4, s13
	v_add_u32_e32 v2, -4, v2
	s_addc_u32 s15, s5, s12
	global_load_ubyte v2, v2, s[14:15] offset:96
	s_waitcnt vmcnt(0)
	v_lshrrev_b16_e32 v10, 2, v2
                                        ; implicit-def: $vgpr2
.LBB25_4:
	s_or_saveexec_b64 s[10:11], s[10:11]
	v_mov_b64_e32 v[4:5], s[2:3]
	s_xor_b64 exec, exec, s[10:11]
	s_cbranch_execz .LBB25_6
; %bb.5:
	s_add_u32 s14, s4, s13
	s_addc_u32 s15, s5, s12
	global_load_ubyte v10, v2, s[14:15] offset:96
	v_mov_b64_e32 v[4:5], s[2:3]
.LBB25_6:
	s_or_b64 exec, exec, s[10:11]
                                        ; implicit-def: $vgpr2
.LBB25_7:
	s_andn2_saveexec_b64 s[8:9], s[8:9]
	s_cbranch_execz .LBB25_9
; %bb.8:
	s_mul_i32 s10, s2, 0x6e
	s_mul_hi_u32 s3, s2, 0x6e
	s_waitcnt lgkmcnt(0)
	s_add_u32 s10, s4, s10
	s_addc_u32 s11, s5, s3
	global_load_ubyte v3, v2, s[10:11] offset:96
	global_load_ubyte v4, v2, s[10:11] offset:100
	s_mov_b32 s3, 0
	s_waitcnt vmcnt(1)
	v_and_b32_e32 v3, 15, v3
	s_waitcnt vmcnt(0)
	v_lshlrev_b16_e32 v10, 2, v4
	v_mov_b64_e32 v[4:5], s[2:3]
.LBB25_9:
	s_or_b64 exec, exec, s[8:9]
                                        ; implicit-def: $vgpr2
.LBB25_10:
	s_andn2_saveexec_b64 s[0:1], s[0:1]
	s_cbranch_execz .LBB25_12
; %bb.11:
	s_mul_i32 s8, s2, 0x6e
	s_mul_hi_u32 s3, s2, 0x6e
	s_waitcnt lgkmcnt(0)
	s_add_u32 s8, s4, s8
	v_ashrrev_i32_e32 v3, 31, v2
	s_addc_u32 s9, s5, s3
	v_lshl_add_u64 v[2:3], s[8:9], 0, v[2:3]
	global_load_ubyte v4, v[2:3], off offset:96
	global_load_ubyte v5, v[2:3], off offset:104
	s_mov_b32 s3, 0
	s_waitcnt vmcnt(1)
	v_and_b32_e32 v3, 15, v4
	s_waitcnt vmcnt(0)
	v_lshlrev_b16_e32 v10, 4, v5
	v_mov_b64_e32 v[4:5], s[2:3]
.LBB25_12:
	s_or_b64 exec, exec, s[0:1]
	v_lshlrev_b32_e32 v2, 2, v0
	s_movk_i32 s3, 0x6e
	s_waitcnt lgkmcnt(0)
	v_mov_b64_e32 v[14:15], s[4:5]
	v_and_b32_e32 v2, 12, v2
	v_mad_u64_u32 v[14:15], s[0:1], v4, s3, v[14:15]
	v_lshl_or_b32 v12, v9, 4, v2
	v_mov_b32_e32 v2, v15
	v_mad_u64_u32 v[4:5], s[0:1], v5, s3, v[2:3]
	s_lshl_b32 s0, s2, 8
	s_mov_b32 s1, 0
	s_lshl_b64 s[0:1], s[0:1], 1
	s_add_u32 s0, s6, s0
	v_mov_b32_e32 v5, 0
	v_mov_b32_e32 v15, v4
	s_addc_u32 s1, s7, s1
	v_lshlrev_b32_e32 v4, 8, v8
	v_mov_b32_e32 v13, v5
	v_lshl_add_u64 v[8:9], s[0:1], 0, v[4:5]
	v_and_b32_e32 v4, 0x3e0, v0
	v_lshl_add_u64 v[16:17], v[14:15], 0, v[12:13]
	v_lshl_add_u64 v[18:19], v[16:17], 0, v[4:5]
	global_load_dword v0, v[18:19], off offset:32
	global_load_dword v11, v[16:17], off
	global_load_ushort v13, v[14:15], off offset:108
	s_waitcnt vmcnt(3)
	v_and_b32_e32 v4, 48, v10
	v_mov_b32_e32 v10, 32
	v_or_b32_e32 v3, v4, v3
	v_lshlrev_b32_e32 v2, 5, v7
	v_sub_u32_sdwa v3, v3, v10 dst_sel:DWORD dst_unused:UNUSED_PAD src0_sel:BYTE_0 src1_sel:DWORD
	v_lshlrev_b32_e64 v6, v6, 1
	v_cvt_f32_i32_e32 v7, v3
	v_ashrrev_i32_e32 v3, 31, v2
	v_lshl_add_u64 v[2:3], v[2:3], 1, v[8:9]
	v_lshlrev_b32_e32 v4, 1, v12
	v_cvt_f16_f32_e32 v7, v7
	s_waitcnt vmcnt(2)
	v_lshrrev_b32_sdwa v8, v1, v0 dst_sel:DWORD dst_unused:UNUSED_PAD src0_sel:DWORD src1_sel:BYTE_0
	v_lshrrev_b32_sdwa v9, v1, v0 dst_sel:DWORD dst_unused:UNUSED_PAD src0_sel:DWORD src1_sel:BYTE_1
	v_lshrrev_b32_sdwa v10, v1, v0 dst_sel:DWORD dst_unused:UNUSED_PAD src0_sel:DWORD src1_sel:BYTE_3
	v_lshrrev_b32_sdwa v0, v1, v0 dst_sel:DWORD dst_unused:UNUSED_PAD src0_sel:DWORD src1_sel:BYTE_2
	s_waitcnt vmcnt(1)
	v_and_b32_e32 v1, v11, v6
	v_and_b32_sdwa v12, v11, v6 dst_sel:DWORD dst_unused:UNUSED_PAD src0_sel:WORD_1 src1_sel:DWORD
	v_and_b32_sdwa v14, v6, v11 dst_sel:DWORD dst_unused:UNUSED_PAD src0_sel:DWORD src1_sel:BYTE_3
	v_and_b32_sdwa v6, v6, v11 dst_sel:DWORD dst_unused:UNUSED_PAD src0_sel:DWORD src1_sel:BYTE_1
	v_cmp_ne_u32_sdwa s[0:1], v1, v5 src0_sel:BYTE_0 src1_sel:DWORD
	v_cmp_ne_u32_e32 vcc, 0, v6
	s_nop 0
	v_cndmask_b32_e64 v1, -4, 0, s[0:1]
	v_cndmask_b32_e64 v6, -4, 0, vcc
	v_cmp_ne_u32_e32 vcc, 0, v14
	v_cmp_ne_u32_sdwa s[0:1], v12, v5 src0_sel:BYTE_0 src1_sel:DWORD
	v_and_or_b32 v6, v9, 3, v6
	v_cndmask_b32_e64 v11, -4, 0, vcc
	v_cndmask_b32_e64 v12, -4, 0, s[0:1]
	v_and_or_b32 v0, v0, 3, v12
	v_and_or_b32 v10, v10, 3, v11
	v_and_or_b32 v1, v8, 3, v1
	v_cvt_f32_i32_e32 v1, v1
	v_cvt_f32_i32_e32 v8, v10
	;; [unrolled: 1-line block ×4, first 2 shown]
	v_cvt_f16_f32_e32 v9, v1
	v_cvt_f16_f32_e32 v8, v8
	;; [unrolled: 1-line block ×4, first 2 shown]
	v_lshl_add_u64 v[0:1], v[2:3], 0, v[4:5]
	s_waitcnt vmcnt(0)
	v_mul_f16_e32 v2, v13, v7
	v_pack_b32_f16 v3, v10, v8
	v_pack_b32_f16 v4, v9, v6
	v_pk_mul_f16 v3, v2, v3 op_sel_hi:[0,1]
	v_pk_mul_f16 v2, v2, v4 op_sel_hi:[0,1]
	global_store_dwordx2 v[0:1], v[2:3], off
	s_endpgm
	.section	.rodata,"a",@progbits
	.p2align	6, 0x0
	.amdhsa_kernel _ZL21dequantize_block_q3_KIN3c104HalfEEvPKvPT_
		.amdhsa_group_segment_fixed_size 0
		.amdhsa_private_segment_fixed_size 0
		.amdhsa_kernarg_size 16
		.amdhsa_user_sgpr_count 2
		.amdhsa_user_sgpr_dispatch_ptr 0
		.amdhsa_user_sgpr_queue_ptr 0
		.amdhsa_user_sgpr_kernarg_segment_ptr 1
		.amdhsa_user_sgpr_dispatch_id 0
		.amdhsa_user_sgpr_kernarg_preload_length 0
		.amdhsa_user_sgpr_kernarg_preload_offset 0
		.amdhsa_user_sgpr_private_segment_size 0
		.amdhsa_uses_dynamic_stack 0
		.amdhsa_enable_private_segment 0
		.amdhsa_system_sgpr_workgroup_id_x 1
		.amdhsa_system_sgpr_workgroup_id_y 0
		.amdhsa_system_sgpr_workgroup_id_z 0
		.amdhsa_system_sgpr_workgroup_info 0
		.amdhsa_system_vgpr_workitem_id 0
		.amdhsa_next_free_vgpr 20
		.amdhsa_next_free_sgpr 16
		.amdhsa_accum_offset 20
		.amdhsa_reserve_vcc 1
		.amdhsa_float_round_mode_32 0
		.amdhsa_float_round_mode_16_64 0
		.amdhsa_float_denorm_mode_32 3
		.amdhsa_float_denorm_mode_16_64 3
		.amdhsa_dx10_clamp 1
		.amdhsa_ieee_mode 1
		.amdhsa_fp16_overflow 0
		.amdhsa_tg_split 0
		.amdhsa_exception_fp_ieee_invalid_op 0
		.amdhsa_exception_fp_denorm_src 0
		.amdhsa_exception_fp_ieee_div_zero 0
		.amdhsa_exception_fp_ieee_overflow 0
		.amdhsa_exception_fp_ieee_underflow 0
		.amdhsa_exception_fp_ieee_inexact 0
		.amdhsa_exception_int_div_zero 0
	.end_amdhsa_kernel
	.section	.text._ZL21dequantize_block_q3_KIN3c104HalfEEvPKvPT_,"axG",@progbits,_ZL21dequantize_block_q3_KIN3c104HalfEEvPKvPT_,comdat
.Lfunc_end25:
	.size	_ZL21dequantize_block_q3_KIN3c104HalfEEvPKvPT_, .Lfunc_end25-_ZL21dequantize_block_q3_KIN3c104HalfEEvPKvPT_
                                        ; -- End function
	.section	.AMDGPU.csdata,"",@progbits
; Kernel info:
; codeLenInByte = 840
; NumSgprs: 22
; NumVgprs: 20
; NumAgprs: 0
; TotalNumVgprs: 20
; ScratchSize: 0
; MemoryBound: 0
; FloatMode: 240
; IeeeMode: 1
; LDSByteSize: 0 bytes/workgroup (compile time only)
; SGPRBlocks: 2
; VGPRBlocks: 2
; NumSGPRsForWavesPerEU: 22
; NumVGPRsForWavesPerEU: 20
; AccumOffset: 20
; Occupancy: 8
; WaveLimiterHint : 0
; COMPUTE_PGM_RSRC2:SCRATCH_EN: 0
; COMPUTE_PGM_RSRC2:USER_SGPR: 2
; COMPUTE_PGM_RSRC2:TRAP_HANDLER: 0
; COMPUTE_PGM_RSRC2:TGID_X_EN: 1
; COMPUTE_PGM_RSRC2:TGID_Y_EN: 0
; COMPUTE_PGM_RSRC2:TGID_Z_EN: 0
; COMPUTE_PGM_RSRC2:TIDIG_COMP_CNT: 0
; COMPUTE_PGM_RSRC3_GFX90A:ACCUM_OFFSET: 4
; COMPUTE_PGM_RSRC3_GFX90A:TG_SPLIT: 0
	.section	.text._ZL21dequantize_block_q4_KIN3c104HalfEEvPKvPT_,"axG",@progbits,_ZL21dequantize_block_q4_KIN3c104HalfEEvPKvPT_,comdat
	.globl	_ZL21dequantize_block_q4_KIN3c104HalfEEvPKvPT_ ; -- Begin function _ZL21dequantize_block_q4_KIN3c104HalfEEvPKvPT_
	.p2align	8
	.type	_ZL21dequantize_block_q4_KIN3c104HalfEEvPKvPT_,@function
_ZL21dequantize_block_q4_KIN3c104HalfEEvPKvPT_: ; @_ZL21dequantize_block_q4_KIN3c104HalfEEvPKvPT_
; %bb.0:
	s_load_dwordx2 s[4:5], s[0:1], 0x0
	s_mul_i32 s6, s2, 0x90
	v_lshrrev_b32_e32 v1, 3, v0
	s_mul_hi_u32 s3, s2, 0x90
	v_lshlrev_b32_e32 v2, 1, v1
	s_waitcnt lgkmcnt(0)
	s_add_u32 s6, s4, s6
	s_addc_u32 s7, s5, s3
	v_mov_b32_e32 v3, 0
	v_cmp_lt_u32_e32 vcc, 15, v0
	v_lshl_add_u64 v[4:5], s[6:7], 0, v[2:3]
                                        ; implicit-def: $vgpr7
                                        ; implicit-def: $vgpr6
	s_and_saveexec_b64 s[4:5], vcc
	s_xor_b64 s[4:5], exec, s[4:5]
	s_cbranch_execz .LBB26_2
; %bb.1:
	global_load_ubyte v6, v[4:5], off offset:8
	global_load_ubyte v7, v[4:5], off
	global_load_ubyte v8, v[4:5], off offset:4
	s_waitcnt vmcnt(2)
	v_and_b32_e32 v4, 15, v6
	s_waitcnt vmcnt(1)
	v_lshrrev_b16_e32 v5, 2, v7
	v_lshrrev_b16_e32 v7, 4, v6
	s_waitcnt vmcnt(0)
	v_lshrrev_b16_e32 v6, 2, v8
	v_and_b32_e32 v5, 48, v5
	v_and_b32_e32 v8, 48, v6
	v_or_b32_e32 v6, v5, v4
	v_or_b32_e32 v7, v8, v7
                                        ; implicit-def: $vgpr4_vgpr5
.LBB26_2:
	s_andn2_saveexec_b64 s[4:5], s[4:5]
	s_cbranch_execz .LBB26_4
; %bb.3:
	global_load_ubyte v6, v[4:5], off offset:4
	global_load_ubyte v7, v[4:5], off offset:8
	s_waitcnt vmcnt(1)
	v_and_b32_e32 v6, 63, v6
	s_waitcnt vmcnt(0)
	v_and_b32_e32 v7, 63, v7
.LBB26_4:
	s_or_b64 exec, exec, s[4:5]
	s_load_dwordx2 s[4:5], s[0:1], 0x8
	s_load_dword s3, s[6:7], 0x0
	s_add_u32 s0, s6, 4
	s_addc_u32 s1, s7, 0
	v_lshl_add_u64 v[2:3], s[0:1], 0, v[2:3]
                                        ; implicit-def: $vgpr5
                                        ; implicit-def: $vgpr4
	s_and_saveexec_b64 s[0:1], vcc
	s_xor_b64 s[0:1], exec, s[0:1]
	s_cbranch_execz .LBB26_6
; %bb.5:
	global_load_ubyte v4, v[2:3], off offset:5
	global_load_ubyte v5, v[2:3], off offset:-3
	global_load_ubyte v8, v[2:3], off offset:1
	s_waitcnt vmcnt(2)
	v_and_b32_e32 v2, 15, v4
	s_waitcnt vmcnt(1)
	v_lshrrev_b16_e32 v3, 2, v5
	v_lshrrev_b16_e32 v5, 4, v4
	s_waitcnt vmcnt(0)
	v_lshrrev_b16_e32 v4, 2, v8
	v_and_b32_e32 v3, 48, v3
	v_and_b32_e32 v8, 48, v4
	v_or_b32_e32 v4, v3, v2
	v_or_b32_e32 v5, v8, v5
                                        ; implicit-def: $vgpr2_vgpr3
.LBB26_6:
	s_andn2_saveexec_b64 s[0:1], s[0:1]
	s_cbranch_execz .LBB26_8
; %bb.7:
	global_load_ubyte v4, v[2:3], off offset:1
	global_load_ubyte v5, v[2:3], off offset:5
	s_waitcnt vmcnt(1)
	v_and_b32_e32 v4, 63, v4
	s_waitcnt vmcnt(0)
	v_and_b32_e32 v5, 63, v5
.LBB26_8:
	s_or_b64 exec, exec, s[0:1]
	v_lshlrev_b32_e32 v2, 5, v1
	v_mov_b32_e32 v3, 0
	v_lshlrev_b32_e32 v0, 2, v0
	v_lshl_add_u64 v[8:9], s[6:7], 0, v[2:3]
	v_and_b32_e32 v2, 28, v0
	v_lshl_add_u64 v[8:9], v[8:9], 0, v[2:3]
	global_load_dword v8, v[8:9], off offset:16
	s_mov_b32 s1, 0
	s_lshl_b32 s0, s2, 8
	s_waitcnt lgkmcnt(0)
	s_lshr_b32 s6, s3, 16
	s_lshl_b64 s[0:1], s[0:1], 1
	s_add_u32 s0, s4, s0
	v_lshlrev_b32_e32 v0, 7, v1
	v_mov_b32_e32 v1, v3
	s_addc_u32 s1, s5, s1
	v_lshlrev_b32_e32 v2, 1, v2
	v_lshl_add_u64 v[0:1], s[0:1], 0, v[0:1]
	v_mov_b32_e32 v9, 15
	v_mov_b32_e32 v10, 4
	v_lshl_add_u64 v[0:1], v[0:1], 0, v[2:3]
	v_cvt_f16_u16_sdwa v7, v7 dst_sel:DWORD dst_unused:UNUSED_PAD src0_sel:BYTE_0
	v_cvt_f16_u16_sdwa v6, v6 dst_sel:DWORD dst_unused:UNUSED_PAD src0_sel:BYTE_0
	;; [unrolled: 1-line block ×4, first 2 shown]
	v_mul_f16_e32 v7, s6, v7
	v_mul_f16_e32 v6, s3, v6
	;; [unrolled: 1-line block ×4, first 2 shown]
	s_waitcnt vmcnt(0)
	v_lshrrev_b32_e32 v2, 8, v8
	v_lshrrev_b16_e32 v11, 4, v8
	v_and_b32_e32 v3, 15, v8
	v_and_b32_sdwa v12, v8, v9 dst_sel:DWORD dst_unused:UNUSED_PAD src0_sel:WORD_1 src1_sel:DWORD
	v_lshrrev_b32_e32 v13, 20, v8
	v_and_b32_sdwa v9, v8, v9 dst_sel:DWORD dst_unused:UNUSED_PAD src0_sel:BYTE_3 src1_sel:DWORD
	v_lshrrev_b16_sdwa v8, v10, v8 dst_sel:DWORD dst_unused:UNUSED_PAD src0_sel:DWORD src1_sel:BYTE_3
	v_and_b32_e32 v10, 15, v11
	v_and_b32_e32 v11, 15, v2
	v_lshrrev_b16_e32 v2, 4, v2
	v_cvt_f16_u16_e32 v3, v3
	v_cvt_f16_u16_e32 v12, v12
	v_and_b32_e32 v13, 15, v13
	v_and_b32_e32 v2, 15, v2
	v_cvt_f16_u16_e32 v9, v9
	v_cvt_f16_u16_e32 v8, v8
	v_fma_f16 v14, v6, v3, -v7
	v_cvt_f16_u16_e32 v3, v10
	v_cvt_f16_u16_e32 v10, v11
	v_fma_f16 v11, v6, v12, -v7
	;; [unrolled: 3-line block ×3, first 2 shown]
	v_fma_f16 v8, v4, v8, -v5
	v_fma_f16 v13, v4, v3, -v5
	;; [unrolled: 1-line block ×5, first 2 shown]
	v_pack_b32_f16 v3, v11, v9
	v_pack_b32_f16 v2, v14, v6
	;; [unrolled: 1-line block ×4, first 2 shown]
	global_store_dwordx2 v[0:1], v[2:3], off
	global_store_dwordx2 v[0:1], v[4:5], off offset:64
	s_endpgm
	.section	.rodata,"a",@progbits
	.p2align	6, 0x0
	.amdhsa_kernel _ZL21dequantize_block_q4_KIN3c104HalfEEvPKvPT_
		.amdhsa_group_segment_fixed_size 0
		.amdhsa_private_segment_fixed_size 0
		.amdhsa_kernarg_size 16
		.amdhsa_user_sgpr_count 2
		.amdhsa_user_sgpr_dispatch_ptr 0
		.amdhsa_user_sgpr_queue_ptr 0
		.amdhsa_user_sgpr_kernarg_segment_ptr 1
		.amdhsa_user_sgpr_dispatch_id 0
		.amdhsa_user_sgpr_kernarg_preload_length 0
		.amdhsa_user_sgpr_kernarg_preload_offset 0
		.amdhsa_user_sgpr_private_segment_size 0
		.amdhsa_uses_dynamic_stack 0
		.amdhsa_enable_private_segment 0
		.amdhsa_system_sgpr_workgroup_id_x 1
		.amdhsa_system_sgpr_workgroup_id_y 0
		.amdhsa_system_sgpr_workgroup_id_z 0
		.amdhsa_system_sgpr_workgroup_info 0
		.amdhsa_system_vgpr_workitem_id 0
		.amdhsa_next_free_vgpr 15
		.amdhsa_next_free_sgpr 8
		.amdhsa_accum_offset 16
		.amdhsa_reserve_vcc 1
		.amdhsa_float_round_mode_32 0
		.amdhsa_float_round_mode_16_64 0
		.amdhsa_float_denorm_mode_32 3
		.amdhsa_float_denorm_mode_16_64 3
		.amdhsa_dx10_clamp 1
		.amdhsa_ieee_mode 1
		.amdhsa_fp16_overflow 0
		.amdhsa_tg_split 0
		.amdhsa_exception_fp_ieee_invalid_op 0
		.amdhsa_exception_fp_denorm_src 0
		.amdhsa_exception_fp_ieee_div_zero 0
		.amdhsa_exception_fp_ieee_overflow 0
		.amdhsa_exception_fp_ieee_underflow 0
		.amdhsa_exception_fp_ieee_inexact 0
		.amdhsa_exception_int_div_zero 0
	.end_amdhsa_kernel
	.section	.text._ZL21dequantize_block_q4_KIN3c104HalfEEvPKvPT_,"axG",@progbits,_ZL21dequantize_block_q4_KIN3c104HalfEEvPKvPT_,comdat
.Lfunc_end26:
	.size	_ZL21dequantize_block_q4_KIN3c104HalfEEvPKvPT_, .Lfunc_end26-_ZL21dequantize_block_q4_KIN3c104HalfEEvPKvPT_
                                        ; -- End function
	.section	.AMDGPU.csdata,"",@progbits
; Kernel info:
; codeLenInByte = 704
; NumSgprs: 14
; NumVgprs: 15
; NumAgprs: 0
; TotalNumVgprs: 15
; ScratchSize: 0
; MemoryBound: 0
; FloatMode: 240
; IeeeMode: 1
; LDSByteSize: 0 bytes/workgroup (compile time only)
; SGPRBlocks: 1
; VGPRBlocks: 1
; NumSGPRsForWavesPerEU: 14
; NumVGPRsForWavesPerEU: 15
; AccumOffset: 16
; Occupancy: 8
; WaveLimiterHint : 0
; COMPUTE_PGM_RSRC2:SCRATCH_EN: 0
; COMPUTE_PGM_RSRC2:USER_SGPR: 2
; COMPUTE_PGM_RSRC2:TRAP_HANDLER: 0
; COMPUTE_PGM_RSRC2:TGID_X_EN: 1
; COMPUTE_PGM_RSRC2:TGID_Y_EN: 0
; COMPUTE_PGM_RSRC2:TGID_Z_EN: 0
; COMPUTE_PGM_RSRC2:TIDIG_COMP_CNT: 0
; COMPUTE_PGM_RSRC3_GFX90A:ACCUM_OFFSET: 3
; COMPUTE_PGM_RSRC3_GFX90A:TG_SPLIT: 0
	.section	.text._ZL21dequantize_block_q5_KIN3c104HalfEEvPKvPT_,"axG",@progbits,_ZL21dequantize_block_q5_KIN3c104HalfEEvPKvPT_,comdat
	.globl	_ZL21dequantize_block_q5_KIN3c104HalfEEvPKvPT_ ; -- Begin function _ZL21dequantize_block_q5_KIN3c104HalfEEvPKvPT_
	.p2align	8
	.type	_ZL21dequantize_block_q5_KIN3c104HalfEEvPKvPT_,@function
_ZL21dequantize_block_q5_KIN3c104HalfEEvPKvPT_: ; @_ZL21dequantize_block_q5_KIN3c104HalfEEvPKvPT_
; %bb.0:
	s_load_dwordx2 s[4:5], s[0:1], 0x0
	s_mul_i32 s6, s2, 0xb0
	v_lshrrev_b32_e32 v1, 4, v0
	s_mul_hi_u32 s3, s2, 0xb0
	v_lshlrev_b32_e32 v2, 1, v1
	s_waitcnt lgkmcnt(0)
	s_add_u32 s4, s4, s6
	s_addc_u32 s5, s5, s3
	v_mov_b32_e32 v3, 0
	v_cmp_lt_u32_e32 vcc, 31, v0
	v_lshl_add_u64 v[4:5], s[4:5], 0, v[2:3]
                                        ; implicit-def: $vgpr7
                                        ; implicit-def: $vgpr6
	s_and_saveexec_b64 s[6:7], vcc
	s_xor_b64 s[6:7], exec, s[6:7]
	s_cbranch_execz .LBB27_2
; %bb.1:
	global_load_ubyte v6, v[4:5], off offset:8
	global_load_ubyte v7, v[4:5], off
	global_load_ubyte v8, v[4:5], off offset:4
	s_waitcnt vmcnt(2)
	v_and_b32_e32 v4, 15, v6
	s_waitcnt vmcnt(1)
	v_lshrrev_b16_e32 v5, 2, v7
	v_lshrrev_b16_e32 v7, 4, v6
	s_waitcnt vmcnt(0)
	v_lshrrev_b16_e32 v6, 2, v8
	v_and_b32_e32 v5, 48, v5
	v_and_b32_e32 v8, 48, v6
	v_or_b32_e32 v6, v5, v4
	v_or_b32_e32 v7, v8, v7
                                        ; implicit-def: $vgpr4_vgpr5
.LBB27_2:
	s_andn2_saveexec_b64 s[6:7], s[6:7]
	s_cbranch_execz .LBB27_4
; %bb.3:
	global_load_ubyte v6, v[4:5], off offset:4
	global_load_ubyte v7, v[4:5], off offset:8
	s_waitcnt vmcnt(1)
	v_and_b32_e32 v6, 63, v6
	s_waitcnt vmcnt(0)
	v_and_b32_e32 v7, 63, v7
.LBB27_4:
	s_or_b64 exec, exec, s[6:7]
	s_load_dwordx2 s[6:7], s[0:1], 0x8
	s_load_dword s3, s[4:5], 0x0
	s_add_u32 s0, s4, 4
	s_addc_u32 s1, s5, 0
	v_lshl_add_u64 v[4:5], s[0:1], 0, v[2:3]
                                        ; implicit-def: $vgpr8
                                        ; implicit-def: $vgpr3
	s_and_saveexec_b64 s[0:1], vcc
	s_xor_b64 s[0:1], exec, s[0:1]
	s_cbranch_execz .LBB27_6
; %bb.5:
	global_load_ubyte v3, v[4:5], off offset:5
	global_load_ubyte v8, v[4:5], off offset:-3
	global_load_ubyte v9, v[4:5], off offset:1
	s_waitcnt vmcnt(2)
	v_and_b32_e32 v4, 15, v3
	s_waitcnt vmcnt(1)
	v_lshrrev_b16_e32 v5, 2, v8
	v_lshrrev_b16_e32 v8, 4, v3
	s_waitcnt vmcnt(0)
	v_lshrrev_b16_e32 v3, 2, v9
	v_and_b32_e32 v5, 48, v5
	v_and_b32_e32 v9, 48, v3
	v_or_b32_e32 v3, v5, v4
	v_or_b32_e32 v8, v9, v8
                                        ; implicit-def: $vgpr4_vgpr5
.LBB27_6:
	s_andn2_saveexec_b64 s[0:1], s[0:1]
	s_cbranch_execz .LBB27_8
; %bb.7:
	global_load_ubyte v3, v[4:5], off offset:1
	global_load_ubyte v8, v[4:5], off offset:5
	s_waitcnt vmcnt(1)
	v_and_b32_e32 v3, 63, v3
	s_waitcnt vmcnt(0)
	v_and_b32_e32 v8, 63, v8
.LBB27_8:
	s_or_b64 exec, exec, s[0:1]
	v_lshlrev_b32_e32 v0, 1, v0
	v_and_b32_e32 v4, 30, v0
	v_mov_b32_e32 v5, 0
	v_lshl_add_u64 v[10:11], s[4:5], 0, v[4:5]
	v_lshlrev_b32_e32 v12, 5, v1
	v_mov_b32_e32 v13, v5
	v_lshl_add_u64 v[10:11], v[10:11], 0, v[12:13]
	global_load_ushort v9, v[10:11], off offset:48
	global_load_ushort v12, v4, s[4:5] offset:16
	s_mov_b32 s1, 0
	s_lshl_b32 s0, s2, 8
	s_waitcnt lgkmcnt(0)
	s_lshr_b32 s4, s3, 16
	s_lshl_b64 s[0:1], s[0:1], 1
	s_add_u32 s0, s6, s0
	v_lshlrev_b32_e32 v0, 7, v1
	v_mov_b32_e32 v1, v5
	s_addc_u32 s1, s7, s1
	v_lshlrev_b32_e64 v10, v2, 1
	v_lshlrev_b32_e32 v4, 1, v4
	v_lshl_add_u64 v[0:1], s[0:1], 0, v[0:1]
	v_lshl_add_u64 v[0:1], v[0:1], 0, v[4:5]
	v_lshlrev_b32_e64 v2, v2, 2
	v_mov_b32_e32 v11, 15
	v_cvt_f16_u16_sdwa v7, v7 dst_sel:DWORD dst_unused:UNUSED_PAD src0_sel:BYTE_0
	v_cvt_f16_u16_sdwa v6, v6 dst_sel:DWORD dst_unused:UNUSED_PAD src0_sel:BYTE_0
	;; [unrolled: 1-line block ×4, first 2 shown]
	v_mul_f16_e32 v7, s4, v7
	v_mul_f16_e32 v6, s3, v6
	;; [unrolled: 1-line block ×4, first 2 shown]
	s_waitcnt vmcnt(1)
	v_lshrrev_b16_e32 v13, 4, v9
	s_waitcnt vmcnt(0)
	v_and_b32_sdwa v5, v10, v12 dst_sel:DWORD dst_unused:UNUSED_PAD src0_sel:DWORD src1_sel:BYTE_0
	v_and_b32_sdwa v10, v10, v12 dst_sel:DWORD dst_unused:UNUSED_PAD src0_sel:DWORD src1_sel:BYTE_1
	v_cmp_ne_u32_e32 vcc, 0, v5
	v_and_b32_sdwa v14, v2, v12 dst_sel:DWORD dst_unused:UNUSED_PAD src0_sel:DWORD src1_sel:BYTE_0
	v_and_b32_sdwa v2, v2, v12 dst_sel:DWORD dst_unused:UNUSED_PAD src0_sel:DWORD src1_sel:BYTE_1
	v_cndmask_b32_e64 v5, 0, 1, vcc
	v_cmp_ne_u32_e32 vcc, 0, v10
	v_and_b32_e32 v4, 15, v9
	v_and_b32_sdwa v11, v9, v11 dst_sel:DWORD dst_unused:UNUSED_PAD src0_sel:BYTE_1 src1_sel:DWORD
	v_cndmask_b32_e64 v10, 0, 1, vcc
	v_cmp_ne_u32_e32 vcc, 0, v14
	v_and_b32_e32 v12, 15, v13
	v_lshrrev_b16_e32 v9, 12, v9
	v_cndmask_b32_e64 v13, 0, 1, vcc
	v_cmp_ne_u32_e32 vcc, 0, v2
	v_lshl_or_b32 v4, v5, 4, v4
	v_lshl_or_b32 v5, v10, 4, v11
	v_cndmask_b32_e64 v2, 0, 1, vcc
	v_lshl_or_b32 v10, v13, 4, v12
	v_lshl_or_b32 v2, v2, 4, v9
	v_cvt_f32_ubyte0_e32 v4, v4
	v_cvt_f32_ubyte0_e32 v5, v5
	;; [unrolled: 1-line block ×4, first 2 shown]
	v_cvt_f16_f32_e32 v4, v4
	v_cvt_f16_f32_e32 v5, v5
	;; [unrolled: 1-line block ×4, first 2 shown]
	v_fma_f16 v4, v6, v4, -v7
	v_fma_f16 v5, v6, v5, -v7
	;; [unrolled: 1-line block ×4, first 2 shown]
	v_pack_b32_f16 v3, v4, v5
	v_pack_b32_f16 v2, v6, v2
	global_store_dword v[0:1], v3, off
	global_store_dword v[0:1], v2, off offset:64
	s_endpgm
	.section	.rodata,"a",@progbits
	.p2align	6, 0x0
	.amdhsa_kernel _ZL21dequantize_block_q5_KIN3c104HalfEEvPKvPT_
		.amdhsa_group_segment_fixed_size 0
		.amdhsa_private_segment_fixed_size 0
		.amdhsa_kernarg_size 16
		.amdhsa_user_sgpr_count 2
		.amdhsa_user_sgpr_dispatch_ptr 0
		.amdhsa_user_sgpr_queue_ptr 0
		.amdhsa_user_sgpr_kernarg_segment_ptr 1
		.amdhsa_user_sgpr_dispatch_id 0
		.amdhsa_user_sgpr_kernarg_preload_length 0
		.amdhsa_user_sgpr_kernarg_preload_offset 0
		.amdhsa_user_sgpr_private_segment_size 0
		.amdhsa_uses_dynamic_stack 0
		.amdhsa_enable_private_segment 0
		.amdhsa_system_sgpr_workgroup_id_x 1
		.amdhsa_system_sgpr_workgroup_id_y 0
		.amdhsa_system_sgpr_workgroup_id_z 0
		.amdhsa_system_sgpr_workgroup_info 0
		.amdhsa_system_vgpr_workitem_id 0
		.amdhsa_next_free_vgpr 15
		.amdhsa_next_free_sgpr 8
		.amdhsa_accum_offset 16
		.amdhsa_reserve_vcc 1
		.amdhsa_float_round_mode_32 0
		.amdhsa_float_round_mode_16_64 0
		.amdhsa_float_denorm_mode_32 3
		.amdhsa_float_denorm_mode_16_64 3
		.amdhsa_dx10_clamp 1
		.amdhsa_ieee_mode 1
		.amdhsa_fp16_overflow 0
		.amdhsa_tg_split 0
		.amdhsa_exception_fp_ieee_invalid_op 0
		.amdhsa_exception_fp_denorm_src 0
		.amdhsa_exception_fp_ieee_div_zero 0
		.amdhsa_exception_fp_ieee_overflow 0
		.amdhsa_exception_fp_ieee_underflow 0
		.amdhsa_exception_fp_ieee_inexact 0
		.amdhsa_exception_int_div_zero 0
	.end_amdhsa_kernel
	.section	.text._ZL21dequantize_block_q5_KIN3c104HalfEEvPKvPT_,"axG",@progbits,_ZL21dequantize_block_q5_KIN3c104HalfEEvPKvPT_,comdat
.Lfunc_end27:
	.size	_ZL21dequantize_block_q5_KIN3c104HalfEEvPKvPT_, .Lfunc_end27-_ZL21dequantize_block_q5_KIN3c104HalfEEvPKvPT_
                                        ; -- End function
	.section	.AMDGPU.csdata,"",@progbits
; Kernel info:
; codeLenInByte = 760
; NumSgprs: 14
; NumVgprs: 15
; NumAgprs: 0
; TotalNumVgprs: 15
; ScratchSize: 0
; MemoryBound: 0
; FloatMode: 240
; IeeeMode: 1
; LDSByteSize: 0 bytes/workgroup (compile time only)
; SGPRBlocks: 1
; VGPRBlocks: 1
; NumSGPRsForWavesPerEU: 14
; NumVGPRsForWavesPerEU: 15
; AccumOffset: 16
; Occupancy: 8
; WaveLimiterHint : 0
; COMPUTE_PGM_RSRC2:SCRATCH_EN: 0
; COMPUTE_PGM_RSRC2:USER_SGPR: 2
; COMPUTE_PGM_RSRC2:TRAP_HANDLER: 0
; COMPUTE_PGM_RSRC2:TGID_X_EN: 1
; COMPUTE_PGM_RSRC2:TGID_Y_EN: 0
; COMPUTE_PGM_RSRC2:TGID_Z_EN: 0
; COMPUTE_PGM_RSRC2:TIDIG_COMP_CNT: 0
; COMPUTE_PGM_RSRC3_GFX90A:ACCUM_OFFSET: 3
; COMPUTE_PGM_RSRC3_GFX90A:TG_SPLIT: 0
	.section	.text._ZL21dequantize_block_q6_KIN3c104HalfEEvPKvPT_,"axG",@progbits,_ZL21dequantize_block_q6_KIN3c104HalfEEvPKvPT_,comdat
	.globl	_ZL21dequantize_block_q6_KIN3c104HalfEEvPKvPT_ ; -- Begin function _ZL21dequantize_block_q6_KIN3c104HalfEEvPKvPT_
	.p2align	8
	.type	_ZL21dequantize_block_q6_KIN3c104HalfEEvPKvPT_,@function
_ZL21dequantize_block_q6_KIN3c104HalfEEvPKvPT_: ; @_ZL21dequantize_block_q6_KIN3c104HalfEEvPKvPT_
; %bb.0:
	s_load_dwordx4 s[4:7], s[0:1], 0x0
	s_lshl_b32 s0, s2, 8
	s_mov_b32 s1, 0
	s_lshl_b64 s[0:1], s[0:1], 1
	v_lshrrev_b32_e32 v1, 5, v0
	s_waitcnt lgkmcnt(0)
	s_add_u32 s0, s6, s0
	s_addc_u32 s1, s7, s1
	v_lshlrev_b32_e32 v4, 8, v1
	v_mov_b32_e32 v5, 0
	v_and_b32_e32 v2, 31, v0
	v_lshl_add_u64 v[6:7], s[0:1], 0, v[4:5]
	s_mul_hi_u32 s1, s2, 0xd2
	s_mulk_i32 s2, 0xd2
	s_add_u32 s0, s4, s2
	v_lshlrev_b32_e32 v4, 1, v2
	s_addc_u32 s1, s5, s1
	v_lshl_add_u64 v[6:7], v[6:7], 0, v[4:5]
	v_lshlrev_b32_e32 v4, 6, v1
	global_load_ubyte v10, v0, s[0:1] offset:128
	v_mov_b32_e32 v3, v5
	v_lshl_add_u64 v[8:9], s[0:1], 0, v[4:5]
	v_lshl_add_u64 v[2:3], v[8:9], 0, v[2:3]
	global_load_ubyte v4, v[2:3], off
	global_load_ubyte v8, v[2:3], off offset:32
	v_bfe_u32 v0, v0, 4, 1
	v_lshl_or_b32 v0, v1, 3, v0
	global_load_sbyte v1, v0, s[0:1] offset:192
	global_load_sbyte v2, v0, s[0:1] offset:194
	;; [unrolled: 1-line block ×4, first 2 shown]
	global_load_ushort v11, v5, s[0:1] offset:208
	v_mov_b32_e32 v0, 32
	s_waitcnt vmcnt(7)
	v_lshlrev_b16_e32 v5, 4, v10
	v_lshlrev_b16_e32 v12, 2, v10
	v_and_b32_e32 v13, 48, v10
	v_lshrrev_b16_e32 v10, 2, v10
	v_and_b32_e32 v5, 48, v5
	s_waitcnt vmcnt(6)
	v_and_b32_e32 v14, 15, v4
	v_and_b32_e32 v12, 48, v12
	;; [unrolled: 1-line block ×3, first 2 shown]
	s_waitcnt vmcnt(5)
	v_and_b32_e32 v15, 15, v8
	v_lshrrev_b16_e32 v4, 4, v4
	v_lshrrev_b16_e32 v8, 4, v8
	v_or_b32_e32 v5, v14, v5
	v_or_b32_e32 v12, v15, v12
	;; [unrolled: 1-line block ×4, first 2 shown]
	v_sub_u32_sdwa v5, v5, v0 dst_sel:DWORD dst_unused:UNUSED_PAD src0_sel:WORD_0 src1_sel:DWORD
	v_sub_u32_sdwa v10, v12, v0 dst_sel:DWORD dst_unused:UNUSED_PAD src0_sel:WORD_0 src1_sel:DWORD
	;; [unrolled: 1-line block ×4, first 2 shown]
	s_waitcnt vmcnt(4)
	v_mul_i32_i24_e32 v1, v5, v1
	s_waitcnt vmcnt(3)
	v_mul_i32_i24_e32 v2, v10, v2
	;; [unrolled: 2-line block ×4, first 2 shown]
	v_cvt_f32_i32_e32 v1, v1
	v_cvt_f32_i32_e32 v2, v2
	;; [unrolled: 1-line block ×4, first 2 shown]
	v_cvt_f16_f32_e32 v1, v1
	v_cvt_f16_f32_e32 v2, v2
	;; [unrolled: 1-line block ×4, first 2 shown]
	s_waitcnt vmcnt(0)
	v_mul_f16_e32 v1, v11, v1
	v_mul_f16_e32 v2, v11, v2
	;; [unrolled: 1-line block ×4, first 2 shown]
	global_store_short v[6:7], v1, off
	global_store_short v[6:7], v2, off offset:64
	global_store_short v[6:7], v3, off offset:128
	;; [unrolled: 1-line block ×3, first 2 shown]
	s_endpgm
	.section	.rodata,"a",@progbits
	.p2align	6, 0x0
	.amdhsa_kernel _ZL21dequantize_block_q6_KIN3c104HalfEEvPKvPT_
		.amdhsa_group_segment_fixed_size 0
		.amdhsa_private_segment_fixed_size 0
		.amdhsa_kernarg_size 16
		.amdhsa_user_sgpr_count 2
		.amdhsa_user_sgpr_dispatch_ptr 0
		.amdhsa_user_sgpr_queue_ptr 0
		.amdhsa_user_sgpr_kernarg_segment_ptr 1
		.amdhsa_user_sgpr_dispatch_id 0
		.amdhsa_user_sgpr_kernarg_preload_length 0
		.amdhsa_user_sgpr_kernarg_preload_offset 0
		.amdhsa_user_sgpr_private_segment_size 0
		.amdhsa_uses_dynamic_stack 0
		.amdhsa_enable_private_segment 0
		.amdhsa_system_sgpr_workgroup_id_x 1
		.amdhsa_system_sgpr_workgroup_id_y 0
		.amdhsa_system_sgpr_workgroup_id_z 0
		.amdhsa_system_sgpr_workgroup_info 0
		.amdhsa_system_vgpr_workitem_id 0
		.amdhsa_next_free_vgpr 16
		.amdhsa_next_free_sgpr 8
		.amdhsa_accum_offset 16
		.amdhsa_reserve_vcc 0
		.amdhsa_float_round_mode_32 0
		.amdhsa_float_round_mode_16_64 0
		.amdhsa_float_denorm_mode_32 3
		.amdhsa_float_denorm_mode_16_64 3
		.amdhsa_dx10_clamp 1
		.amdhsa_ieee_mode 1
		.amdhsa_fp16_overflow 0
		.amdhsa_tg_split 0
		.amdhsa_exception_fp_ieee_invalid_op 0
		.amdhsa_exception_fp_denorm_src 0
		.amdhsa_exception_fp_ieee_div_zero 0
		.amdhsa_exception_fp_ieee_overflow 0
		.amdhsa_exception_fp_ieee_underflow 0
		.amdhsa_exception_fp_ieee_inexact 0
		.amdhsa_exception_int_div_zero 0
	.end_amdhsa_kernel
	.section	.text._ZL21dequantize_block_q6_KIN3c104HalfEEvPKvPT_,"axG",@progbits,_ZL21dequantize_block_q6_KIN3c104HalfEEvPKvPT_,comdat
.Lfunc_end28:
	.size	_ZL21dequantize_block_q6_KIN3c104HalfEEvPKvPT_, .Lfunc_end28-_ZL21dequantize_block_q6_KIN3c104HalfEEvPKvPT_
                                        ; -- End function
	.section	.AMDGPU.csdata,"",@progbits
; Kernel info:
; codeLenInByte = 420
; NumSgprs: 14
; NumVgprs: 16
; NumAgprs: 0
; TotalNumVgprs: 16
; ScratchSize: 0
; MemoryBound: 0
; FloatMode: 240
; IeeeMode: 1
; LDSByteSize: 0 bytes/workgroup (compile time only)
; SGPRBlocks: 1
; VGPRBlocks: 1
; NumSGPRsForWavesPerEU: 14
; NumVGPRsForWavesPerEU: 16
; AccumOffset: 16
; Occupancy: 8
; WaveLimiterHint : 0
; COMPUTE_PGM_RSRC2:SCRATCH_EN: 0
; COMPUTE_PGM_RSRC2:USER_SGPR: 2
; COMPUTE_PGM_RSRC2:TRAP_HANDLER: 0
; COMPUTE_PGM_RSRC2:TGID_X_EN: 1
; COMPUTE_PGM_RSRC2:TGID_Y_EN: 0
; COMPUTE_PGM_RSRC2:TGID_Z_EN: 0
; COMPUTE_PGM_RSRC2:TIDIG_COMP_CNT: 0
; COMPUTE_PGM_RSRC3_GFX90A:ACCUM_OFFSET: 3
; COMPUTE_PGM_RSRC3_GFX90A:TG_SPLIT: 0
	.section	.text._ZL24dequantize_block_iq2_xxsIN3c104HalfEEvPKvPT_,"axG",@progbits,_ZL24dequantize_block_iq2_xxsIN3c104HalfEEvPKvPT_,comdat
	.globl	_ZL24dequantize_block_iq2_xxsIN3c104HalfEEvPKvPT_ ; -- Begin function _ZL24dequantize_block_iq2_xxsIN3c104HalfEEvPKvPT_
	.p2align	8
	.type	_ZL24dequantize_block_iq2_xxsIN3c104HalfEEvPKvPT_,@function
_ZL24dequantize_block_iq2_xxsIN3c104HalfEEvPKvPT_: ; @_ZL24dequantize_block_iq2_xxsIN3c104HalfEEvPKvPT_
; %bb.0:
	s_load_dwordx4 s[4:7], s[0:1], 0x0
	s_lshl_b32 s0, s2, 8
	s_mov_b32 s1, 0
	s_lshl_b64 s[0:1], s[0:1], 1
	v_and_b32_e32 v1, 7, v0
	s_waitcnt lgkmcnt(0)
	s_add_u32 s0, s6, s0
	s_addc_u32 s1, s7, s1
	v_lshlrev_b32_e32 v4, 6, v1
	v_mov_b32_e32 v5, 0
	v_lshl_add_u64 v[2:3], s[0:1], 0, v[4:5]
	v_and_b32_e32 v4, 0x3f8, v0
	s_mul_hi_u32 s1, s2, 0x42
	s_mulk_i32 s2, 0x42
	v_lshlrev_b32_e32 v4, 1, v4
	s_add_u32 s0, s4, s2
	v_lshl_add_u64 v[2:3], v[2:3], 0, v[4:5]
	s_addc_u32 s1, s5, s1
	v_lshlrev_b32_e32 v4, 3, v1
	global_load_dword v8, v4, s[0:1] offset:6
	v_lshrrev_b32_e32 v0, 3, v0
	v_lshl_add_u64 v[6:7], s[0:1], 0, v[4:5]
	v_mov_b32_e32 v1, v5
	v_lshl_add_u64 v[6:7], v[6:7], 0, v[0:1]
	global_load_ubyte v1, v[6:7], off offset:2
	global_load_ushort v4, v5, s[0:1]
	v_mul_u32_u24_e32 v0, 7, v0
	s_getpc_b64 s[0:1]
	s_add_u32 s0, s0, _ZL12ksigns_iq2xs@rel32@lo+4
	s_addc_u32 s1, s1, _ZL12ksigns_iq2xs@rel32@hi+12
	s_waitcnt vmcnt(2)
	v_bfe_u32 v5, v8, v0, 7
	global_load_sbyte v6, v5, s[0:1]
	s_getpc_b64 s[0:1]
	s_add_u32 s0, s0, _ZL11iq2xxs_grid@rel32@lo+4
	s_addc_u32 s1, s1, _ZL11iq2xxs_grid@rel32@hi+12
	v_lshrrev_b32_e32 v7, 28, v8
	s_waitcnt vmcnt(2)
	v_lshlrev_b32_e32 v0, 3, v1
	global_load_dwordx2 v[0:1], v0, s[0:1]
	s_waitcnt vmcnt(2)
	v_cvt_f32_f16_e32 v4, v4
	v_cvt_f32_ubyte0_e32 v7, v7
	v_add_f32_e32 v7, 0.5, v7
	v_mul_f32_e32 v4, v7, v4
	v_mul_f32_e32 v4, 0x3e800000, v4
	s_waitcnt vmcnt(1)
	v_and_b32_e32 v7, 1, v6
	v_and_b32_e32 v8, 2, v6
	v_cmp_eq_u16_e32 vcc, 0, v7
	v_and_b32_e32 v9, 4, v6
	s_waitcnt vmcnt(0)
	v_cvt_f32_ubyte0_e32 v13, v0
	v_cvt_f32_ubyte1_e32 v14, v0
	v_cvt_f32_ubyte2_e32 v15, v0
	v_cvt_f32_ubyte3_e32 v0, v0
	v_cvt_f32_ubyte0_e32 v16, v1
	v_cvt_f32_ubyte1_e32 v17, v1
	v_cvt_f32_ubyte2_e32 v18, v1
	v_cvt_f32_ubyte3_e32 v1, v1
	v_mul_f32_e32 v13, v4, v13
	v_mul_f32_e32 v14, v4, v14
	v_mul_f32_e32 v15, v4, v15
	v_mul_f32_e32 v0, v4, v0
	v_mul_f32_e32 v16, v4, v16
	v_mul_f32_e32 v17, v4, v17
	v_mul_f32_e32 v18, v4, v18
	v_mul_f32_e32 v1, v4, v1
	v_cndmask_b32_e64 v4, -v13, v13, vcc
	v_cmp_eq_u16_e32 vcc, 0, v8
	v_and_b32_e32 v10, 8, v6
	v_and_b32_e32 v11, 16, v6
	v_cndmask_b32_e64 v7, -v14, v14, vcc
	v_cmp_eq_u16_e32 vcc, 0, v9
	v_and_b32_e32 v12, 32, v6
	v_cvt_f16_f32_e32 v4, v4
	v_cndmask_b32_e64 v8, -v15, v15, vcc
	v_cmp_eq_u16_e32 vcc, 0, v10
	v_cvt_f16_f32_e32 v8, v8
	s_nop 0
	v_cndmask_b32_e64 v0, -v0, v0, vcc
	v_cmp_eq_u16_e32 vcc, 0, v11
	v_cvt_f16_f32_e32 v0, v0
	s_nop 0
	v_cndmask_b32_e64 v9, -v16, v16, vcc
	v_cmp_eq_u16_e32 vcc, 0, v12
	s_nop 1
	v_cndmask_b32_e64 v10, -v17, v17, vcc
	v_cmp_gt_u32_e32 vcc, 64, v5
	s_nop 1
	v_cndmask_b32_e64 v5, -v18, v18, vcc
	v_cmp_gt_i16_e32 vcc, 0, v6
	v_cvt_f16_f32_e32 v6, v9
	v_cvt_f16_f32_e32 v5, v5
	v_cndmask_b32_e64 v1, v1, -v1, vcc
	v_cvt_f16_f32_e32 v1, v1
	v_cvt_f16_f32_e32 v9, v10
	;; [unrolled: 1-line block ×3, first 2 shown]
	v_pack_b32_f16 v7, v5, v1
	v_pack_b32_f16 v6, v6, v9
	;; [unrolled: 1-line block ×4, first 2 shown]
	global_store_dwordx4 v[2:3], v[4:7], off
	s_endpgm
	.section	.rodata,"a",@progbits
	.p2align	6, 0x0
	.amdhsa_kernel _ZL24dequantize_block_iq2_xxsIN3c104HalfEEvPKvPT_
		.amdhsa_group_segment_fixed_size 0
		.amdhsa_private_segment_fixed_size 0
		.amdhsa_kernarg_size 16
		.amdhsa_user_sgpr_count 2
		.amdhsa_user_sgpr_dispatch_ptr 0
		.amdhsa_user_sgpr_queue_ptr 0
		.amdhsa_user_sgpr_kernarg_segment_ptr 1
		.amdhsa_user_sgpr_dispatch_id 0
		.amdhsa_user_sgpr_kernarg_preload_length 0
		.amdhsa_user_sgpr_kernarg_preload_offset 0
		.amdhsa_user_sgpr_private_segment_size 0
		.amdhsa_uses_dynamic_stack 0
		.amdhsa_enable_private_segment 0
		.amdhsa_system_sgpr_workgroup_id_x 1
		.amdhsa_system_sgpr_workgroup_id_y 0
		.amdhsa_system_sgpr_workgroup_id_z 0
		.amdhsa_system_sgpr_workgroup_info 0
		.amdhsa_system_vgpr_workitem_id 0
		.amdhsa_next_free_vgpr 19
		.amdhsa_next_free_sgpr 8
		.amdhsa_accum_offset 20
		.amdhsa_reserve_vcc 1
		.amdhsa_float_round_mode_32 0
		.amdhsa_float_round_mode_16_64 0
		.amdhsa_float_denorm_mode_32 3
		.amdhsa_float_denorm_mode_16_64 3
		.amdhsa_dx10_clamp 1
		.amdhsa_ieee_mode 1
		.amdhsa_fp16_overflow 0
		.amdhsa_tg_split 0
		.amdhsa_exception_fp_ieee_invalid_op 0
		.amdhsa_exception_fp_denorm_src 0
		.amdhsa_exception_fp_ieee_div_zero 0
		.amdhsa_exception_fp_ieee_overflow 0
		.amdhsa_exception_fp_ieee_underflow 0
		.amdhsa_exception_fp_ieee_inexact 0
		.amdhsa_exception_int_div_zero 0
	.end_amdhsa_kernel
	.section	.text._ZL24dequantize_block_iq2_xxsIN3c104HalfEEvPKvPT_,"axG",@progbits,_ZL24dequantize_block_iq2_xxsIN3c104HalfEEvPKvPT_,comdat
.Lfunc_end29:
	.size	_ZL24dequantize_block_iq2_xxsIN3c104HalfEEvPKvPT_, .Lfunc_end29-_ZL24dequantize_block_iq2_xxsIN3c104HalfEEvPKvPT_
                                        ; -- End function
	.section	.AMDGPU.csdata,"",@progbits
; Kernel info:
; codeLenInByte = 540
; NumSgprs: 14
; NumVgprs: 19
; NumAgprs: 0
; TotalNumVgprs: 19
; ScratchSize: 0
; MemoryBound: 0
; FloatMode: 240
; IeeeMode: 1
; LDSByteSize: 0 bytes/workgroup (compile time only)
; SGPRBlocks: 1
; VGPRBlocks: 2
; NumSGPRsForWavesPerEU: 14
; NumVGPRsForWavesPerEU: 19
; AccumOffset: 20
; Occupancy: 8
; WaveLimiterHint : 0
; COMPUTE_PGM_RSRC2:SCRATCH_EN: 0
; COMPUTE_PGM_RSRC2:USER_SGPR: 2
; COMPUTE_PGM_RSRC2:TRAP_HANDLER: 0
; COMPUTE_PGM_RSRC2:TGID_X_EN: 1
; COMPUTE_PGM_RSRC2:TGID_Y_EN: 0
; COMPUTE_PGM_RSRC2:TGID_Z_EN: 0
; COMPUTE_PGM_RSRC2:TIDIG_COMP_CNT: 0
; COMPUTE_PGM_RSRC3_GFX90A:ACCUM_OFFSET: 4
; COMPUTE_PGM_RSRC3_GFX90A:TG_SPLIT: 0
	.section	.text._ZL23dequantize_block_iq2_xsIN3c104HalfEEvPKvPT_,"axG",@progbits,_ZL23dequantize_block_iq2_xsIN3c104HalfEEvPKvPT_,comdat
	.globl	_ZL23dequantize_block_iq2_xsIN3c104HalfEEvPKvPT_ ; -- Begin function _ZL23dequantize_block_iq2_xsIN3c104HalfEEvPKvPT_
	.p2align	8
	.type	_ZL23dequantize_block_iq2_xsIN3c104HalfEEvPKvPT_,@function
_ZL23dequantize_block_iq2_xsIN3c104HalfEEvPKvPT_: ; @_ZL23dequantize_block_iq2_xsIN3c104HalfEEvPKvPT_
; %bb.0:
	s_load_dwordx4 s[4:7], s[0:1], 0x0
	s_lshl_b32 s0, s2, 8
	s_mov_b32 s1, 0
	s_lshl_b64 s[0:1], s[0:1], 1
	v_and_b32_e32 v8, 7, v0
	s_waitcnt lgkmcnt(0)
	s_add_u32 s0, s6, s0
	s_addc_u32 s1, s7, s1
	v_lshlrev_b32_e32 v4, 6, v8
	v_mov_b32_e32 v5, 0
	v_lshl_add_u64 v[2:3], s[0:1], 0, v[4:5]
	v_and_b32_e32 v1, 0x3f8, v0
	s_mul_hi_u32 s1, s2, 0x4a
	s_mulk_i32 s2, 0x4a
	v_lshlrev_b32_e32 v4, 1, v1
	s_add_u32 s0, s4, s2
	v_lshl_add_u64 v[2:3], v[2:3], 0, v[4:5]
	s_addc_u32 s1, s5, s1
	v_lshlrev_b32_e32 v4, 3, v8
	v_lshrrev_b32_e32 v9, 2, v0
	v_lshl_add_u64 v[6:7], s[0:1], 0, v[4:5]
	v_and_b32_e32 v4, 0xfe, v9
	v_lshl_add_u64 v[0:1], v[6:7], 0, v[4:5]
	global_load_ushort v6, v[0:1], off offset:2
	global_load_ushort v7, v5, s[0:1]
	global_load_ubyte v10, v8, s[0:1] offset:66
	v_mov_b32_e32 v0, 3
	s_getpc_b64 s[2:3]
	s_add_u32 s2, s2, _ZL10iq2xs_grid@rel32@lo+4
	s_addc_u32 s3, s3, _ZL10iq2xs_grid@rel32@hi+12
	s_getpc_b64 s[4:5]
	s_add_u32 s4, s4, _ZL12ksigns_iq2xs@rel32@lo+4
	s_addc_u32 s5, s5, _ZL12ksigns_iq2xs@rel32@hi+12
	s_waitcnt vmcnt(2)
	v_and_b32_e32 v1, 0x1ff, v6
	v_lshrrev_b16_e32 v4, 9, v6
	v_lshlrev_b32_sdwa v8, v0, v1 dst_sel:DWORD dst_unused:UNUSED_PAD src0_sel:DWORD src1_sel:WORD_0
	v_lshl_add_u64 v[0:1], v[4:5], 0, s[4:5]
	global_load_dwordx2 v[4:5], v8, s[2:3]
	global_load_sbyte v11, v[0:1], off
	v_and_b32_e32 v0, 0xfc, v9
	s_waitcnt vmcnt(3)
	v_cvt_f32_f16_e32 v1, v7
	s_waitcnt vmcnt(2)
	v_bfe_u32 v0, v10, v0, 4
	v_cvt_f32_ubyte0_e32 v0, v0
	v_add_f32_e32 v0, 0.5, v0
	v_mul_f32_e32 v0, v0, v1
	v_mul_f32_e32 v0, 0x3e800000, v0
	s_waitcnt vmcnt(1)
	v_cvt_f32_ubyte0_e32 v1, v4
	s_waitcnt vmcnt(0)
	v_and_b32_e32 v7, 1, v11
	v_cvt_f32_ubyte1_e32 v8, v4
	v_and_b32_e32 v9, 2, v11
	v_mul_f32_e32 v1, v0, v1
	v_cmp_eq_u16_e32 vcc, 0, v7
	v_cvt_f32_ubyte2_e32 v10, v4
	v_and_b32_e32 v12, 4, v11
	v_cvt_f32_ubyte3_e32 v4, v4
	v_cvt_f32_ubyte0_e32 v14, v5
	v_cvt_f32_ubyte1_e32 v16, v5
	v_cvt_f32_ubyte2_e32 v18, v5
	v_cvt_f32_ubyte3_e32 v5, v5
	v_mul_f32_e32 v8, v0, v8
	v_cndmask_b32_e64 v1, -v1, v1, vcc
	v_cmp_eq_u16_e32 vcc, 0, v9
	v_and_b32_e32 v13, 8, v11
	v_mul_f32_e32 v10, v0, v10
	v_mul_f32_e32 v4, v0, v4
	;; [unrolled: 1-line block ×6, first 2 shown]
	v_cndmask_b32_e64 v5, -v8, v8, vcc
	v_cmp_eq_u16_e32 vcc, 0, v12
	v_and_b32_e32 v15, 16, v11
	v_and_b32_e32 v17, 32, v11
	v_cndmask_b32_e64 v7, -v10, v10, vcc
	v_cmp_eq_u16_e32 vcc, 0, v13
	v_cvt_f16_f32_e32 v1, v1
	v_cvt_f16_f32_e32 v10, v7
	v_cndmask_b32_e64 v4, -v4, v4, vcc
	v_cmp_eq_u16_e32 vcc, 0, v15
	v_cvt_f16_f32_e32 v4, v4
	s_nop 0
	v_cndmask_b32_e64 v8, -v14, v14, vcc
	v_cmp_eq_u16_e32 vcc, 0, v17
	v_cvt_f16_f32_e32 v8, v8
	s_nop 0
	v_cndmask_b32_e64 v9, -v16, v16, vcc
	v_cmp_gt_i16_e32 vcc, 0, v6
	v_cvt_f16_f32_e32 v9, v9
	s_nop 0
	v_cndmask_b32_e64 v6, v18, -v18, vcc
	v_cmp_gt_i16_e32 vcc, 0, v11
	v_cvt_f16_f32_e32 v6, v6
	v_cvt_f16_f32_e32 v11, v5
	v_cndmask_b32_e64 v0, v0, -v0, vcc
	v_cvt_f16_f32_e32 v0, v0
	v_pack_b32_f16 v5, v10, v4
	v_pack_b32_f16 v4, v1, v11
	;; [unrolled: 1-line block ×4, first 2 shown]
	global_store_dwordx4 v[2:3], v[4:7], off
	s_endpgm
	.section	.rodata,"a",@progbits
	.p2align	6, 0x0
	.amdhsa_kernel _ZL23dequantize_block_iq2_xsIN3c104HalfEEvPKvPT_
		.amdhsa_group_segment_fixed_size 0
		.amdhsa_private_segment_fixed_size 0
		.amdhsa_kernarg_size 16
		.amdhsa_user_sgpr_count 2
		.amdhsa_user_sgpr_dispatch_ptr 0
		.amdhsa_user_sgpr_queue_ptr 0
		.amdhsa_user_sgpr_kernarg_segment_ptr 1
		.amdhsa_user_sgpr_dispatch_id 0
		.amdhsa_user_sgpr_kernarg_preload_length 0
		.amdhsa_user_sgpr_kernarg_preload_offset 0
		.amdhsa_user_sgpr_private_segment_size 0
		.amdhsa_uses_dynamic_stack 0
		.amdhsa_enable_private_segment 0
		.amdhsa_system_sgpr_workgroup_id_x 1
		.amdhsa_system_sgpr_workgroup_id_y 0
		.amdhsa_system_sgpr_workgroup_id_z 0
		.amdhsa_system_sgpr_workgroup_info 0
		.amdhsa_system_vgpr_workitem_id 0
		.amdhsa_next_free_vgpr 19
		.amdhsa_next_free_sgpr 8
		.amdhsa_accum_offset 20
		.amdhsa_reserve_vcc 1
		.amdhsa_float_round_mode_32 0
		.amdhsa_float_round_mode_16_64 0
		.amdhsa_float_denorm_mode_32 3
		.amdhsa_float_denorm_mode_16_64 3
		.amdhsa_dx10_clamp 1
		.amdhsa_ieee_mode 1
		.amdhsa_fp16_overflow 0
		.amdhsa_tg_split 0
		.amdhsa_exception_fp_ieee_invalid_op 0
		.amdhsa_exception_fp_denorm_src 0
		.amdhsa_exception_fp_ieee_div_zero 0
		.amdhsa_exception_fp_ieee_overflow 0
		.amdhsa_exception_fp_ieee_underflow 0
		.amdhsa_exception_fp_ieee_inexact 0
		.amdhsa_exception_int_div_zero 0
	.end_amdhsa_kernel
	.section	.text._ZL23dequantize_block_iq2_xsIN3c104HalfEEvPKvPT_,"axG",@progbits,_ZL23dequantize_block_iq2_xsIN3c104HalfEEvPKvPT_,comdat
.Lfunc_end30:
	.size	_ZL23dequantize_block_iq2_xsIN3c104HalfEEvPKvPT_, .Lfunc_end30-_ZL23dequantize_block_iq2_xsIN3c104HalfEEvPKvPT_
                                        ; -- End function
	.section	.AMDGPU.csdata,"",@progbits
; Kernel info:
; codeLenInByte = 568
; NumSgprs: 14
; NumVgprs: 19
; NumAgprs: 0
; TotalNumVgprs: 19
; ScratchSize: 0
; MemoryBound: 0
; FloatMode: 240
; IeeeMode: 1
; LDSByteSize: 0 bytes/workgroup (compile time only)
; SGPRBlocks: 1
; VGPRBlocks: 2
; NumSGPRsForWavesPerEU: 14
; NumVGPRsForWavesPerEU: 19
; AccumOffset: 20
; Occupancy: 8
; WaveLimiterHint : 0
; COMPUTE_PGM_RSRC2:SCRATCH_EN: 0
; COMPUTE_PGM_RSRC2:USER_SGPR: 2
; COMPUTE_PGM_RSRC2:TRAP_HANDLER: 0
; COMPUTE_PGM_RSRC2:TGID_X_EN: 1
; COMPUTE_PGM_RSRC2:TGID_Y_EN: 0
; COMPUTE_PGM_RSRC2:TGID_Z_EN: 0
; COMPUTE_PGM_RSRC2:TIDIG_COMP_CNT: 0
; COMPUTE_PGM_RSRC3_GFX90A:ACCUM_OFFSET: 4
; COMPUTE_PGM_RSRC3_GFX90A:TG_SPLIT: 0
	.section	.text._ZL24dequantize_block_iq3_xxsIN3c104HalfEEvPKvPT_,"axG",@progbits,_ZL24dequantize_block_iq3_xxsIN3c104HalfEEvPKvPT_,comdat
	.globl	_ZL24dequantize_block_iq3_xxsIN3c104HalfEEvPKvPT_ ; -- Begin function _ZL24dequantize_block_iq3_xxsIN3c104HalfEEvPKvPT_
	.p2align	8
	.type	_ZL24dequantize_block_iq3_xxsIN3c104HalfEEvPKvPT_,@function
_ZL24dequantize_block_iq3_xxsIN3c104HalfEEvPKvPT_: ; @_ZL24dequantize_block_iq3_xxsIN3c104HalfEEvPKvPT_
; %bb.0:
	s_load_dwordx4 s[4:7], s[0:1], 0x0
	s_lshl_b32 s0, s2, 8
	s_mov_b32 s1, 0
	s_lshl_b64 s[0:1], s[0:1], 1
	v_and_b32_e32 v7, 7, v0
	s_waitcnt lgkmcnt(0)
	s_add_u32 s0, s6, s0
	s_addc_u32 s1, s7, s1
	v_lshlrev_b32_e32 v2, 6, v7
	v_mov_b32_e32 v3, 0
	v_lshrrev_b32_e32 v6, 3, v0
	v_lshl_add_u64 v[4:5], s[0:1], 0, v[2:3]
	v_and_b32_e32 v0, 0x3f8, v0
	s_mul_hi_u32 s1, s2, 0x62
	s_mulk_i32 s2, 0x62
	v_lshlrev_b32_e32 v2, 1, v0
	s_add_u32 s0, s4, s2
	v_lshl_add_u64 v[0:1], v[4:5], 0, v[2:3]
	s_addc_u32 s1, s5, s1
	v_lshlrev_b32_e32 v2, 3, v7
	v_lshl_add_u64 v[4:5], s[0:1], 0, v[2:3]
	v_lshlrev_b32_e32 v2, 1, v6
	v_lshl_add_u64 v[4:5], v[4:5], 0, v[2:3]
	v_lshlrev_b32_e32 v7, 2, v7
	global_load_ushort v2, v[4:5], off offset:2
	global_load_ushort v8, v3, s[0:1]
	global_load_dword v9, v7, s[0:1] offset:66
	v_mov_b32_e32 v3, 2
	s_getpc_b64 s[0:1]
	s_add_u32 s0, s0, _ZL11iq3xxs_grid@rel32@lo+4
	s_addc_u32 s1, s1, _ZL11iq3xxs_grid@rel32@hi+12
	v_mul_u32_u24_e32 v4, 7, v6
	s_getpc_b64 s[2:3]
	s_add_u32 s2, s2, _ZL12ksigns_iq2xs@rel32@lo+4
	s_addc_u32 s3, s3, _ZL12ksigns_iq2xs@rel32@hi+12
	s_waitcnt vmcnt(2)
	v_lshlrev_b32_sdwa v5, v3, v2 dst_sel:DWORD dst_unused:UNUSED_PAD src0_sel:DWORD src1_sel:BYTE_0
	v_lshlrev_b32_sdwa v2, v3, v2 dst_sel:DWORD dst_unused:UNUSED_PAD src0_sel:DWORD src1_sel:BYTE_1
	s_waitcnt vmcnt(0)
	v_bfe_u32 v3, v9, v4, 7
	global_load_dword v4, v5, s[0:1]
	global_load_sbyte v6, v3, s[2:3]
	global_load_dword v7, v2, s[0:1]
	v_cvt_f32_f16_e32 v2, v8
	v_lshrrev_b32_e32 v5, 28, v9
	v_cvt_f32_ubyte0_e32 v5, v5
	v_add_f32_e32 v5, 0.5, v5
	v_mul_f32_e32 v2, v5, v2
	v_mul_f32_e32 v2, 0.5, v2
	s_waitcnt vmcnt(2)
	v_cvt_f32_ubyte0_e32 v5, v4
	s_waitcnt vmcnt(1)
	v_and_b32_e32 v8, 1, v6
	s_waitcnt vmcnt(0)
	v_cvt_f32_ubyte0_e32 v9, v7
	v_and_b32_e32 v10, 16, v6
	v_mul_f32_e32 v5, v2, v5
	v_cmp_eq_u16_e32 vcc, 0, v8
	v_cvt_f32_ubyte1_e32 v11, v4
	v_and_b32_e32 v12, 2, v6
	v_cvt_f32_ubyte1_e32 v13, v7
	v_cvt_f32_ubyte2_e32 v15, v4
	v_cvt_f32_ubyte2_e32 v17, v7
	v_cvt_f32_ubyte3_e32 v4, v4
	v_cvt_f32_ubyte3_e32 v7, v7
	v_mul_f32_e32 v9, v2, v9
	v_cndmask_b32_e64 v5, -v5, v5, vcc
	v_cmp_eq_u16_e32 vcc, 0, v10
	v_and_b32_e32 v14, 32, v6
	v_mul_f32_e32 v11, v2, v11
	v_mul_f32_e32 v13, v2, v13
	;; [unrolled: 1-line block ×6, first 2 shown]
	v_cndmask_b32_e64 v7, -v9, v9, vcc
	v_cmp_eq_u16_e32 vcc, 0, v12
	v_and_b32_e32 v16, 4, v6
	v_and_b32_e32 v18, 8, v6
	v_cndmask_b32_e64 v8, -v11, v11, vcc
	v_cmp_eq_u16_e32 vcc, 0, v14
	v_cvt_f16_f32_e32 v7, v7
	v_cvt_f16_f32_e32 v8, v8
	v_cndmask_b32_e64 v9, -v13, v13, vcc
	v_cmp_eq_u16_e32 vcc, 0, v16
	v_cvt_f16_f32_e32 v9, v9
	s_nop 0
	v_cndmask_b32_e64 v10, -v15, v15, vcc
	v_cmp_gt_u32_e32 vcc, 64, v3
	v_cvt_f16_f32_e32 v10, v10
	s_nop 0
	v_cndmask_b32_e64 v3, -v17, v17, vcc
	v_cmp_eq_u16_e32 vcc, 0, v18
	v_cvt_f16_f32_e32 v3, v3
	s_nop 0
	v_cndmask_b32_e64 v4, -v4, v4, vcc
	v_cmp_gt_i16_e32 vcc, 0, v6
	v_cvt_f16_f32_e32 v6, v5
	v_cvt_f16_f32_e32 v11, v4
	v_cndmask_b32_e64 v2, v2, -v2, vcc
	v_cvt_f16_f32_e32 v2, v2
	v_pack_b32_f16 v4, v7, v9
	v_pack_b32_f16 v5, v3, v2
	;; [unrolled: 1-line block ×4, first 2 shown]
	global_store_dwordx4 v[0:1], v[2:5], off
	s_endpgm
	.section	.rodata,"a",@progbits
	.p2align	6, 0x0
	.amdhsa_kernel _ZL24dequantize_block_iq3_xxsIN3c104HalfEEvPKvPT_
		.amdhsa_group_segment_fixed_size 0
		.amdhsa_private_segment_fixed_size 0
		.amdhsa_kernarg_size 16
		.amdhsa_user_sgpr_count 2
		.amdhsa_user_sgpr_dispatch_ptr 0
		.amdhsa_user_sgpr_queue_ptr 0
		.amdhsa_user_sgpr_kernarg_segment_ptr 1
		.amdhsa_user_sgpr_dispatch_id 0
		.amdhsa_user_sgpr_kernarg_preload_length 0
		.amdhsa_user_sgpr_kernarg_preload_offset 0
		.amdhsa_user_sgpr_private_segment_size 0
		.amdhsa_uses_dynamic_stack 0
		.amdhsa_enable_private_segment 0
		.amdhsa_system_sgpr_workgroup_id_x 1
		.amdhsa_system_sgpr_workgroup_id_y 0
		.amdhsa_system_sgpr_workgroup_id_z 0
		.amdhsa_system_sgpr_workgroup_info 0
		.amdhsa_system_vgpr_workitem_id 0
		.amdhsa_next_free_vgpr 19
		.amdhsa_next_free_sgpr 8
		.amdhsa_accum_offset 20
		.amdhsa_reserve_vcc 1
		.amdhsa_float_round_mode_32 0
		.amdhsa_float_round_mode_16_64 0
		.amdhsa_float_denorm_mode_32 3
		.amdhsa_float_denorm_mode_16_64 3
		.amdhsa_dx10_clamp 1
		.amdhsa_ieee_mode 1
		.amdhsa_fp16_overflow 0
		.amdhsa_tg_split 0
		.amdhsa_exception_fp_ieee_invalid_op 0
		.amdhsa_exception_fp_denorm_src 0
		.amdhsa_exception_fp_ieee_div_zero 0
		.amdhsa_exception_fp_ieee_overflow 0
		.amdhsa_exception_fp_ieee_underflow 0
		.amdhsa_exception_fp_ieee_inexact 0
		.amdhsa_exception_int_div_zero 0
	.end_amdhsa_kernel
	.section	.text._ZL24dequantize_block_iq3_xxsIN3c104HalfEEvPKvPT_,"axG",@progbits,_ZL24dequantize_block_iq3_xxsIN3c104HalfEEvPKvPT_,comdat
.Lfunc_end31:
	.size	_ZL24dequantize_block_iq3_xxsIN3c104HalfEEvPKvPT_, .Lfunc_end31-_ZL24dequantize_block_iq3_xxsIN3c104HalfEEvPKvPT_
                                        ; -- End function
	.section	.AMDGPU.csdata,"",@progbits
; Kernel info:
; codeLenInByte = 560
; NumSgprs: 14
; NumVgprs: 19
; NumAgprs: 0
; TotalNumVgprs: 19
; ScratchSize: 0
; MemoryBound: 0
; FloatMode: 240
; IeeeMode: 1
; LDSByteSize: 0 bytes/workgroup (compile time only)
; SGPRBlocks: 1
; VGPRBlocks: 2
; NumSGPRsForWavesPerEU: 14
; NumVGPRsForWavesPerEU: 19
; AccumOffset: 20
; Occupancy: 8
; WaveLimiterHint : 0
; COMPUTE_PGM_RSRC2:SCRATCH_EN: 0
; COMPUTE_PGM_RSRC2:USER_SGPR: 2
; COMPUTE_PGM_RSRC2:TRAP_HANDLER: 0
; COMPUTE_PGM_RSRC2:TGID_X_EN: 1
; COMPUTE_PGM_RSRC2:TGID_Y_EN: 0
; COMPUTE_PGM_RSRC2:TGID_Z_EN: 0
; COMPUTE_PGM_RSRC2:TIDIG_COMP_CNT: 0
; COMPUTE_PGM_RSRC3_GFX90A:ACCUM_OFFSET: 4
; COMPUTE_PGM_RSRC3_GFX90A:TG_SPLIT: 0
	.section	.text._ZL22dequantize_block_iq1_sIN3c104HalfEEvPKvPT_,"axG",@progbits,_ZL22dequantize_block_iq1_sIN3c104HalfEEvPKvPT_,comdat
	.globl	_ZL22dequantize_block_iq1_sIN3c104HalfEEvPKvPT_ ; -- Begin function _ZL22dequantize_block_iq1_sIN3c104HalfEEvPKvPT_
	.p2align	8
	.type	_ZL22dequantize_block_iq1_sIN3c104HalfEEvPKvPT_,@function
_ZL22dequantize_block_iq1_sIN3c104HalfEEvPKvPT_: ; @_ZL22dequantize_block_iq1_sIN3c104HalfEEvPKvPT_
; %bb.0:
	s_load_dwordx4 s[4:7], s[0:1], 0x0
	s_mov_b32 s3, 0
	s_lshl_b64 s[0:1], s[2:3], 9
	s_mul_hi_u32 s3, s2, 50
	s_mul_i32 s2, s2, 50
	s_waitcnt lgkmcnt(0)
	s_add_u32 s0, s6, s0
	s_addc_u32 s1, s7, s1
	v_and_b32_e32 v6, 7, v0
	s_add_u32 s2, s4, s2
	v_mov_b32_e32 v3, 0
	s_addc_u32 s3, s5, s3
	v_lshlrev_b32_e32 v1, 1, v6
	v_lshrrev_b32_e32 v2, 3, v0
	global_load_ushort v7, v1, s[2:3] offset:34
	v_lshlrev_b32_e32 v4, 2, v6
	v_mov_b32_e32 v5, v3
	v_lshl_add_u64 v[4:5], v[4:5], 0, v[2:3]
	v_lshl_add_u64 v[4:5], s[2:3], 0, v[4:5]
	global_load_ubyte v1, v[4:5], off offset:2
	global_load_ushort v8, v3, s[2:3]
	v_mul_u32_u24_e32 v2, 3, v2
	s_movk_i32 s4, 0x700
	s_getpc_b64 s[2:3]
	s_add_u32 s2, s2, _ZL13iq1s_grid_gpu@rel32@lo+4
	s_addc_u32 s3, s3, _ZL13iq1s_grid_gpu@rel32@hi+12
	v_mov_b32_e32 v10, 0xbf900000
	v_mov_b32_e32 v11, 0xbf600000
	s_waitcnt vmcnt(2)
	v_lshrrev_b32_sdwa v2, v2, v7 dst_sel:DWORD dst_unused:UNUSED_PAD src0_sel:DWORD src1_sel:WORD_0
	v_lshlrev_b32_e32 v2, 8, v2
	v_cmp_lt_i16_e32 vcc, -1, v7
	s_waitcnt vmcnt(1)
	v_and_or_b32 v1, v2, s4, v1
	v_lshlrev_b32_e32 v1, 3, v1
	global_load_dword v9, v1, s[2:3]
	v_mov_b32_e32 v1, v3
	v_and_b32_e32 v2, 0x3f8, v0
	v_lshlrev_b32_e32 v0, 6, v6
	v_lshlrev_b32_e32 v2, 1, v2
	v_lshl_add_u64 v[0:1], s[0:1], 0, v[0:1]
	v_lshl_add_u64 v[4:5], v[0:1], 0, v[2:3]
	s_waitcnt vmcnt(1)
	v_cvt_f32_f16_e32 v1, v8
	v_lshrrev_b16_e32 v2, 11, v7
	v_and_b32_e32 v2, 14, v2
	v_or_b32_e32 v2, 1, v2
	v_cvt_f32_ubyte0_e32 v2, v2
	v_cndmask_b32_e32 v0, v10, v11, vcc
	v_mul_f32_e32 v2, v1, v2
	s_waitcnt vmcnt(0)
	v_and_b32_e32 v1, 0xf0f0f0f, v9
	v_bfe_u32 v3, v9, 16, 4
	v_bfe_u32 v8, v9, 8, 4
	v_and_b32_e32 v10, 15, v9
	v_lshrrev_b32_e32 v11, 28, v9
	v_bfe_u32 v12, v9, 20, 4
	v_bfe_u32 v13, v9, 12, 4
	v_bfe_u32 v14, v9, 4, 4
	v_cvt_f32_ubyte3_e32 v7, v1
	v_cvt_f32_ubyte0_e32 v6, v3
	v_cvt_f32_ubyte0_e32 v9, v8
	v_cvt_f32_ubyte0_e32 v8, v10
	v_cvt_f32_ubyte0_e32 v11, v11
	v_cvt_f32_ubyte0_e32 v10, v12
	v_cvt_f32_ubyte0_e32 v13, v13
	v_cvt_f32_ubyte0_e32 v12, v14
	v_pk_add_f32 v[8:9], v[0:1], v[8:9] op_sel_hi:[0,1]
	v_pk_add_f32 v[6:7], v[0:1], v[6:7] op_sel_hi:[0,1]
	;; [unrolled: 1-line block ×4, first 2 shown]
	v_pk_mul_f32 v[6:7], v[2:3], v[6:7] op_sel_hi:[0,1]
	v_pk_mul_f32 v[8:9], v[2:3], v[8:9] op_sel_hi:[0,1]
	;; [unrolled: 1-line block ×4, first 2 shown]
	v_cvt_f16_f32_e32 v9, v9
	v_cvt_f16_f32_e32 v7, v7
	;; [unrolled: 1-line block ×8, first 2 shown]
	v_pack_b32_f16 v3, v0, v1
	v_pack_b32_f16 v2, v2, v10
	;; [unrolled: 1-line block ×4, first 2 shown]
	global_store_dwordx4 v[4:5], v[0:3], off
	s_endpgm
	.section	.rodata,"a",@progbits
	.p2align	6, 0x0
	.amdhsa_kernel _ZL22dequantize_block_iq1_sIN3c104HalfEEvPKvPT_
		.amdhsa_group_segment_fixed_size 0
		.amdhsa_private_segment_fixed_size 0
		.amdhsa_kernarg_size 16
		.amdhsa_user_sgpr_count 2
		.amdhsa_user_sgpr_dispatch_ptr 0
		.amdhsa_user_sgpr_queue_ptr 0
		.amdhsa_user_sgpr_kernarg_segment_ptr 1
		.amdhsa_user_sgpr_dispatch_id 0
		.amdhsa_user_sgpr_kernarg_preload_length 0
		.amdhsa_user_sgpr_kernarg_preload_offset 0
		.amdhsa_user_sgpr_private_segment_size 0
		.amdhsa_uses_dynamic_stack 0
		.amdhsa_enable_private_segment 0
		.amdhsa_system_sgpr_workgroup_id_x 1
		.amdhsa_system_sgpr_workgroup_id_y 0
		.amdhsa_system_sgpr_workgroup_id_z 0
		.amdhsa_system_sgpr_workgroup_info 0
		.amdhsa_system_vgpr_workitem_id 0
		.amdhsa_next_free_vgpr 15
		.amdhsa_next_free_sgpr 8
		.amdhsa_accum_offset 16
		.amdhsa_reserve_vcc 1
		.amdhsa_float_round_mode_32 0
		.amdhsa_float_round_mode_16_64 0
		.amdhsa_float_denorm_mode_32 3
		.amdhsa_float_denorm_mode_16_64 3
		.amdhsa_dx10_clamp 1
		.amdhsa_ieee_mode 1
		.amdhsa_fp16_overflow 0
		.amdhsa_tg_split 0
		.amdhsa_exception_fp_ieee_invalid_op 0
		.amdhsa_exception_fp_denorm_src 0
		.amdhsa_exception_fp_ieee_div_zero 0
		.amdhsa_exception_fp_ieee_overflow 0
		.amdhsa_exception_fp_ieee_underflow 0
		.amdhsa_exception_fp_ieee_inexact 0
		.amdhsa_exception_int_div_zero 0
	.end_amdhsa_kernel
	.section	.text._ZL22dequantize_block_iq1_sIN3c104HalfEEvPKvPT_,"axG",@progbits,_ZL22dequantize_block_iq1_sIN3c104HalfEEvPKvPT_,comdat
.Lfunc_end32:
	.size	_ZL22dequantize_block_iq1_sIN3c104HalfEEvPKvPT_, .Lfunc_end32-_ZL22dequantize_block_iq1_sIN3c104HalfEEvPKvPT_
                                        ; -- End function
	.section	.AMDGPU.csdata,"",@progbits
; Kernel info:
; codeLenInByte = 496
; NumSgprs: 14
; NumVgprs: 15
; NumAgprs: 0
; TotalNumVgprs: 15
; ScratchSize: 0
; MemoryBound: 0
; FloatMode: 240
; IeeeMode: 1
; LDSByteSize: 0 bytes/workgroup (compile time only)
; SGPRBlocks: 1
; VGPRBlocks: 1
; NumSGPRsForWavesPerEU: 14
; NumVGPRsForWavesPerEU: 15
; AccumOffset: 16
; Occupancy: 8
; WaveLimiterHint : 0
; COMPUTE_PGM_RSRC2:SCRATCH_EN: 0
; COMPUTE_PGM_RSRC2:USER_SGPR: 2
; COMPUTE_PGM_RSRC2:TRAP_HANDLER: 0
; COMPUTE_PGM_RSRC2:TGID_X_EN: 1
; COMPUTE_PGM_RSRC2:TGID_Y_EN: 0
; COMPUTE_PGM_RSRC2:TGID_Z_EN: 0
; COMPUTE_PGM_RSRC2:TIDIG_COMP_CNT: 0
; COMPUTE_PGM_RSRC3_GFX90A:ACCUM_OFFSET: 3
; COMPUTE_PGM_RSRC3_GFX90A:TG_SPLIT: 0
	.section	.text._ZL23dequantize_block_iq4_nlIN3c104HalfEEvPKvPT_,"axG",@progbits,_ZL23dequantize_block_iq4_nlIN3c104HalfEEvPKvPT_,comdat
	.globl	_ZL23dequantize_block_iq4_nlIN3c104HalfEEvPKvPT_ ; -- Begin function _ZL23dequantize_block_iq4_nlIN3c104HalfEEvPKvPT_
	.p2align	8
	.type	_ZL23dequantize_block_iq4_nlIN3c104HalfEEvPKvPT_,@function
_ZL23dequantize_block_iq4_nlIN3c104HalfEEvPKvPT_: ; @_ZL23dequantize_block_iq4_nlIN3c104HalfEEvPKvPT_
; %bb.0:
	s_load_dwordx4 s[4:7], s[0:1], 0x0
	s_lshl_b32 s0, s2, 3
	s_mul_i32 s1, s2, 0x90
	s_mul_hi_u32 s3, s0, 18
	v_and_b32_e32 v1, 7, v0
	s_waitcnt lgkmcnt(0)
	s_add_u32 s0, s4, s1
	s_addc_u32 s1, s5, s3
	s_lshl_b32 s2, s2, 8
	s_mov_b32 s3, 0
	s_lshl_b64 s[4:5], s[2:3], 1
	s_add_u32 s4, s6, s4
	s_addc_u32 s5, s7, s5
	v_lshlrev_b32_e32 v2, 6, v1
	v_mov_b32_e32 v3, 0
	v_lshrrev_b32_e32 v0, 1, v0
	v_lshl_add_u64 v[4:5], s[4:5], 0, v[2:3]
	v_and_b32_e32 v2, 0x1fc, v0
	v_mad_u64_u32 v[0:1], s[0:1], v1, 18, s[0:1]
	v_lshl_add_u64 v[6:7], v[0:1], 0, v[2:3]
	global_load_dword v9, v[6:7], off offset:2
	global_load_ushort v12, v[0:1], off
	s_getpc_b64 s[0:1]
	s_add_u32 s0, s0, _ZL13kvalues_iq4nl@rel32@lo+4
	s_addc_u32 s1, s1, _ZL13kvalues_iq4nl@rel32@hi+12
	v_mov_b32_e32 v0, 4
	v_lshlrev_b32_e32 v8, 1, v2
	v_mov_b32_e32 v1, s3
	v_mov_b32_e32 v7, s3
	s_waitcnt vmcnt(1)
	v_and_b32_e32 v13, 15, v9
	global_load_sbyte v13, v13, s[0:1]
	v_lshrrev_b32_e32 v6, 8, v9
	v_lshrrev_b16_e32 v10, 4, v9
	v_lshrrev_b16_sdwa v2, v0, v9 dst_sel:DWORD dst_unused:UNUSED_PAD src0_sel:DWORD src1_sel:BYTE_3
	v_and_b32_e32 v0, 15, v10
	v_lshrrev_b16_e32 v6, 4, v6
	v_lshl_add_u64 v[10:11], v[2:3], 0, s[0:1]
	v_and_b32_e32 v0, 0xffff, v0
	v_and_b32_e32 v2, 15, v6
	v_lshl_add_u64 v[0:1], v[0:1], 0, s[0:1]
	v_and_b32_e32 v6, 0xffff, v2
	v_bfe_u32 v14, v9, 8, 4
	global_load_sbyte v2, v[0:1], off
	global_load_sbyte v18, v14, s[0:1]
	v_lshl_add_u64 v[0:1], v[6:7], 0, s[0:1]
	v_bfe_u32 v15, v9, 16, 4
	v_bfe_u32 v16, v9, 20, 4
	;; [unrolled: 1-line block ×3, first 2 shown]
	global_load_sbyte v6, v[0:1], off
	global_load_sbyte v7, v15, s[0:1]
	global_load_sbyte v14, v16, s[0:1]
	;; [unrolled: 1-line block ×3, first 2 shown]
	global_load_sbyte v20, v[10:11], off
	v_mov_b32_e32 v9, v3
	v_lshl_add_u64 v[0:1], v[4:5], 0, v[8:9]
	s_waitcnt vmcnt(7)
	v_cvt_f32_i32_e32 v3, v13
	s_waitcnt vmcnt(6)
	v_cvt_f32_i32_e32 v4, v2
	v_fma_mixlo_f16 v2, v12, v3, 0 op_sel_hi:[1,0,0]
	s_waitcnt vmcnt(5)
	v_cvt_f32_i32_e32 v5, v18
	s_waitcnt vmcnt(3)
	v_cvt_f32_i32_e32 v3, v7
	;; [unrolled: 2-line block ×4, first 2 shown]
	v_cvt_f32_i32_e32 v6, v6
	s_waitcnt vmcnt(0)
	v_cvt_f32_i32_e32 v9, v20
	v_fma_mixlo_f16 v3, v12, v3, 0 op_sel_hi:[1,0,0]
	v_fma_mixlo_f16 v4, v12, v4, 0 op_sel_hi:[1,0,0]
	v_fma_mixhi_f16 v2, v12, v5, 0 op_sel_hi:[1,0,0]
	v_fma_mixlo_f16 v5, v12, v7, 0 op_sel_hi:[1,0,0]
	v_fma_mixhi_f16 v3, v12, v8, 0 op_sel_hi:[1,0,0]
	v_fma_mixhi_f16 v4, v12, v6, 0 op_sel_hi:[1,0,0]
	;; [unrolled: 1-line block ×3, first 2 shown]
	global_store_dwordx2 v[0:1], v[2:3], off
	global_store_dwordx2 v[0:1], v[4:5], off offset:32
	s_endpgm
	.section	.rodata,"a",@progbits
	.p2align	6, 0x0
	.amdhsa_kernel _ZL23dequantize_block_iq4_nlIN3c104HalfEEvPKvPT_
		.amdhsa_group_segment_fixed_size 0
		.amdhsa_private_segment_fixed_size 0
		.amdhsa_kernarg_size 16
		.amdhsa_user_sgpr_count 2
		.amdhsa_user_sgpr_dispatch_ptr 0
		.amdhsa_user_sgpr_queue_ptr 0
		.amdhsa_user_sgpr_kernarg_segment_ptr 1
		.amdhsa_user_sgpr_dispatch_id 0
		.amdhsa_user_sgpr_kernarg_preload_length 0
		.amdhsa_user_sgpr_kernarg_preload_offset 0
		.amdhsa_user_sgpr_private_segment_size 0
		.amdhsa_uses_dynamic_stack 0
		.amdhsa_enable_private_segment 0
		.amdhsa_system_sgpr_workgroup_id_x 1
		.amdhsa_system_sgpr_workgroup_id_y 0
		.amdhsa_system_sgpr_workgroup_id_z 0
		.amdhsa_system_sgpr_workgroup_info 0
		.amdhsa_system_vgpr_workitem_id 0
		.amdhsa_next_free_vgpr 21
		.amdhsa_next_free_sgpr 8
		.amdhsa_accum_offset 24
		.amdhsa_reserve_vcc 0
		.amdhsa_float_round_mode_32 0
		.amdhsa_float_round_mode_16_64 0
		.amdhsa_float_denorm_mode_32 3
		.amdhsa_float_denorm_mode_16_64 3
		.amdhsa_dx10_clamp 1
		.amdhsa_ieee_mode 1
		.amdhsa_fp16_overflow 0
		.amdhsa_tg_split 0
		.amdhsa_exception_fp_ieee_invalid_op 0
		.amdhsa_exception_fp_denorm_src 0
		.amdhsa_exception_fp_ieee_div_zero 0
		.amdhsa_exception_fp_ieee_overflow 0
		.amdhsa_exception_fp_ieee_underflow 0
		.amdhsa_exception_fp_ieee_inexact 0
		.amdhsa_exception_int_div_zero 0
	.end_amdhsa_kernel
	.section	.text._ZL23dequantize_block_iq4_nlIN3c104HalfEEvPKvPT_,"axG",@progbits,_ZL23dequantize_block_iq4_nlIN3c104HalfEEvPKvPT_,comdat
.Lfunc_end33:
	.size	_ZL23dequantize_block_iq4_nlIN3c104HalfEEvPKvPT_, .Lfunc_end33-_ZL23dequantize_block_iq4_nlIN3c104HalfEEvPKvPT_
                                        ; -- End function
	.section	.AMDGPU.csdata,"",@progbits
; Kernel info:
; codeLenInByte = 484
; NumSgprs: 14
; NumVgprs: 21
; NumAgprs: 0
; TotalNumVgprs: 21
; ScratchSize: 0
; MemoryBound: 0
; FloatMode: 240
; IeeeMode: 1
; LDSByteSize: 0 bytes/workgroup (compile time only)
; SGPRBlocks: 1
; VGPRBlocks: 2
; NumSGPRsForWavesPerEU: 14
; NumVGPRsForWavesPerEU: 21
; AccumOffset: 24
; Occupancy: 8
; WaveLimiterHint : 0
; COMPUTE_PGM_RSRC2:SCRATCH_EN: 0
; COMPUTE_PGM_RSRC2:USER_SGPR: 2
; COMPUTE_PGM_RSRC2:TRAP_HANDLER: 0
; COMPUTE_PGM_RSRC2:TGID_X_EN: 1
; COMPUTE_PGM_RSRC2:TGID_Y_EN: 0
; COMPUTE_PGM_RSRC2:TGID_Z_EN: 0
; COMPUTE_PGM_RSRC2:TIDIG_COMP_CNT: 0
; COMPUTE_PGM_RSRC3_GFX90A:ACCUM_OFFSET: 5
; COMPUTE_PGM_RSRC3_GFX90A:TG_SPLIT: 0
	.section	.text._ZL22dequantize_block_iq3_sIN3c104HalfEEvPKvPT_,"axG",@progbits,_ZL22dequantize_block_iq3_sIN3c104HalfEEvPKvPT_,comdat
	.globl	_ZL22dequantize_block_iq3_sIN3c104HalfEEvPKvPT_ ; -- Begin function _ZL22dequantize_block_iq3_sIN3c104HalfEEvPKvPT_
	.p2align	8
	.type	_ZL22dequantize_block_iq3_sIN3c104HalfEEvPKvPT_,@function
_ZL22dequantize_block_iq3_sIN3c104HalfEEvPKvPT_: ; @_ZL22dequantize_block_iq3_sIN3c104HalfEEvPKvPT_
; %bb.0:
	s_load_dwordx4 s[4:7], s[0:1], 0x0
	s_lshl_b32 s0, s2, 8
	s_mov_b32 s1, 0
	s_lshl_b64 s[0:1], s[0:1], 1
	v_and_b32_e32 v8, 7, v0
	s_waitcnt lgkmcnt(0)
	s_add_u32 s0, s6, s0
	s_addc_u32 s1, s7, s1
	v_lshlrev_b32_e32 v4, 6, v8
	v_mov_b32_e32 v5, 0
	v_lshl_add_u64 v[2:3], s[0:1], 0, v[4:5]
	v_and_b32_e32 v4, 0x3f8, v0
	s_mul_hi_u32 s1, s2, 0x6e
	s_mulk_i32 s2, 0x6e
	v_lshlrev_b32_e32 v4, 1, v4
	s_add_u32 s0, s4, s2
	v_lshrrev_b32_e32 v1, 3, v0
	v_lshl_add_u64 v[2:3], v[2:3], 0, v[4:5]
	s_addc_u32 s1, s5, s1
	v_lshlrev_b32_e32 v4, 3, v8
	v_lshl_add_u64 v[6:7], s[0:1], 0, v[4:5]
	v_lshlrev_b32_e32 v4, 1, v1
	v_bfe_u32 v9, v0, 1, 2
	v_lshl_add_u32 v1, v8, 2, v1
	v_lshl_add_u64 v[6:7], v[6:7], 0, v[4:5]
	global_load_ubyte v9, v9, s[0:1] offset:106
	s_nop 0
	global_load_sbyte v10, v1, s[0:1] offset:74
	global_load_ushort v11, v[6:7], off offset:2
	global_load_ubyte v12, v8, s[0:1] offset:66
	global_load_ushort v13, v5, s[0:1]
	v_sub_u32_e32 v1, 8, v4
	s_movk_i32 s2, 0x100
	v_sub_u32_e32 v4, 7, v4
	s_getpc_b64 s[0:1]
	s_add_u32 s0, s0, _ZL10iq3xs_grid@rel32@lo+4
	s_addc_u32 s1, s1, _ZL10iq3xs_grid@rel32@hi+12
	v_lshlrev_b32_e32 v0, 2, v0
	v_and_b32_e32 v0, 4, v0
	s_waitcnt vmcnt(3)
	v_and_b32_e32 v7, 16, v10
	s_waitcnt vmcnt(2)
	;; [unrolled: 2-line block ×3, first 2 shown]
	v_lshlrev_b32_e32 v1, v1, v12
	v_lshrrev_b16_e32 v6, 8, v11
	v_lshlrev_b32_e32 v4, v4, v12
	v_and_or_b32 v1, v1, s2, v5
	v_and_or_b32 v4, v4, s2, v6
	v_lshlrev_b32_e32 v1, 2, v1
	v_lshlrev_b32_e32 v4, 2, v4
	global_load_dword v5, v1, s[0:1]
	global_load_dword v6, v4, s[0:1]
	s_waitcnt vmcnt(2)
	v_cvt_f32_f16_e32 v1, v13
	v_bfe_u32 v0, v9, v0, 4
	v_cvt_f32_ubyte0_e32 v0, v0
	v_add_f32_e32 v0, 0.5, v0
	v_mul_f32_e32 v0, v0, v1
	v_and_b32_e32 v4, 1, v10
	v_mul_f32_e32 v0, 0.5, v0
	v_cmp_eq_u16_e32 vcc, 0, v4
	v_and_b32_e32 v8, 2, v10
	v_and_b32_e32 v9, 32, v10
	;; [unrolled: 1-line block ×5, first 2 shown]
	s_waitcnt vmcnt(1)
	v_cvt_f32_ubyte0_e32 v1, v5
	s_waitcnt vmcnt(0)
	v_cvt_f32_ubyte0_e32 v14, v6
	v_mul_f32_e32 v1, v0, v1
	v_cvt_f32_ubyte1_e32 v15, v5
	v_mul_f32_e32 v14, v0, v14
	v_cndmask_b32_e64 v1, -v1, v1, vcc
	v_cmp_eq_u16_e32 vcc, 0, v7
	v_cvt_f32_ubyte1_e32 v16, v6
	v_cvt_f32_ubyte2_e32 v17, v5
	v_cvt_f32_ubyte2_e32 v18, v6
	v_cvt_f32_ubyte3_e32 v5, v5
	v_cvt_f32_ubyte3_e32 v6, v6
	v_mul_f32_e32 v15, v0, v15
	v_cndmask_b32_e64 v4, -v14, v14, vcc
	v_cmp_eq_u16_e32 vcc, 0, v8
	v_mul_f32_e32 v16, v0, v16
	v_mul_f32_e32 v17, v0, v17
	;; [unrolled: 1-line block ×5, first 2 shown]
	v_cndmask_b32_e64 v6, -v15, v15, vcc
	v_cmp_eq_u16_e32 vcc, 0, v9
	v_cvt_f16_f32_e32 v1, v1
	v_cvt_f16_f32_e32 v4, v4
	v_cndmask_b32_e64 v7, -v16, v16, vcc
	v_cmp_eq_u16_e32 vcc, 0, v11
	s_nop 1
	v_cndmask_b32_e64 v8, -v17, v17, vcc
	v_cmp_eq_u16_e32 vcc, 0, v12
	v_cvt_f16_f32_e32 v8, v8
	s_nop 0
	v_cndmask_b32_e64 v9, -v18, v18, vcc
	v_cmp_eq_u16_e32 vcc, 0, v13
	s_nop 1
	v_cndmask_b32_e64 v5, -v5, v5, vcc
	v_cmp_gt_i16_e32 vcc, 0, v10
	v_cvt_f16_f32_e32 v10, v7
	v_cvt_f16_f32_e32 v7, v9
	v_cndmask_b32_e64 v0, v0, -v0, vcc
	v_cvt_f16_f32_e32 v0, v0
	v_cvt_f16_f32_e32 v5, v5
	;; [unrolled: 1-line block ×3, first 2 shown]
	v_pack_b32_f16 v6, v4, v10
	v_pack_b32_f16 v7, v7, v0
	;; [unrolled: 1-line block ×4, first 2 shown]
	global_store_dwordx4 v[2:3], v[4:7], off
	s_endpgm
	.section	.rodata,"a",@progbits
	.p2align	6, 0x0
	.amdhsa_kernel _ZL22dequantize_block_iq3_sIN3c104HalfEEvPKvPT_
		.amdhsa_group_segment_fixed_size 0
		.amdhsa_private_segment_fixed_size 0
		.amdhsa_kernarg_size 16
		.amdhsa_user_sgpr_count 2
		.amdhsa_user_sgpr_dispatch_ptr 0
		.amdhsa_user_sgpr_queue_ptr 0
		.amdhsa_user_sgpr_kernarg_segment_ptr 1
		.amdhsa_user_sgpr_dispatch_id 0
		.amdhsa_user_sgpr_kernarg_preload_length 0
		.amdhsa_user_sgpr_kernarg_preload_offset 0
		.amdhsa_user_sgpr_private_segment_size 0
		.amdhsa_uses_dynamic_stack 0
		.amdhsa_enable_private_segment 0
		.amdhsa_system_sgpr_workgroup_id_x 1
		.amdhsa_system_sgpr_workgroup_id_y 0
		.amdhsa_system_sgpr_workgroup_id_z 0
		.amdhsa_system_sgpr_workgroup_info 0
		.amdhsa_system_vgpr_workitem_id 0
		.amdhsa_next_free_vgpr 19
		.amdhsa_next_free_sgpr 8
		.amdhsa_accum_offset 20
		.amdhsa_reserve_vcc 1
		.amdhsa_float_round_mode_32 0
		.amdhsa_float_round_mode_16_64 0
		.amdhsa_float_denorm_mode_32 3
		.amdhsa_float_denorm_mode_16_64 3
		.amdhsa_dx10_clamp 1
		.amdhsa_ieee_mode 1
		.amdhsa_fp16_overflow 0
		.amdhsa_tg_split 0
		.amdhsa_exception_fp_ieee_invalid_op 0
		.amdhsa_exception_fp_denorm_src 0
		.amdhsa_exception_fp_ieee_div_zero 0
		.amdhsa_exception_fp_ieee_overflow 0
		.amdhsa_exception_fp_ieee_underflow 0
		.amdhsa_exception_fp_ieee_inexact 0
		.amdhsa_exception_int_div_zero 0
	.end_amdhsa_kernel
	.section	.text._ZL22dequantize_block_iq3_sIN3c104HalfEEvPKvPT_,"axG",@progbits,_ZL22dequantize_block_iq3_sIN3c104HalfEEvPKvPT_,comdat
.Lfunc_end34:
	.size	_ZL22dequantize_block_iq3_sIN3c104HalfEEvPKvPT_, .Lfunc_end34-_ZL22dequantize_block_iq3_sIN3c104HalfEEvPKvPT_
                                        ; -- End function
	.section	.AMDGPU.csdata,"",@progbits
; Kernel info:
; codeLenInByte = 608
; NumSgprs: 14
; NumVgprs: 19
; NumAgprs: 0
; TotalNumVgprs: 19
; ScratchSize: 0
; MemoryBound: 0
; FloatMode: 240
; IeeeMode: 1
; LDSByteSize: 0 bytes/workgroup (compile time only)
; SGPRBlocks: 1
; VGPRBlocks: 2
; NumSGPRsForWavesPerEU: 14
; NumVGPRsForWavesPerEU: 19
; AccumOffset: 20
; Occupancy: 8
; WaveLimiterHint : 0
; COMPUTE_PGM_RSRC2:SCRATCH_EN: 0
; COMPUTE_PGM_RSRC2:USER_SGPR: 2
; COMPUTE_PGM_RSRC2:TRAP_HANDLER: 0
; COMPUTE_PGM_RSRC2:TGID_X_EN: 1
; COMPUTE_PGM_RSRC2:TGID_Y_EN: 0
; COMPUTE_PGM_RSRC2:TGID_Z_EN: 0
; COMPUTE_PGM_RSRC2:TIDIG_COMP_CNT: 0
; COMPUTE_PGM_RSRC3_GFX90A:ACCUM_OFFSET: 4
; COMPUTE_PGM_RSRC3_GFX90A:TG_SPLIT: 0
	.section	.text._ZL22dequantize_block_iq2_sIN3c104HalfEEvPKvPT_,"axG",@progbits,_ZL22dequantize_block_iq2_sIN3c104HalfEEvPKvPT_,comdat
	.globl	_ZL22dequantize_block_iq2_sIN3c104HalfEEvPKvPT_ ; -- Begin function _ZL22dequantize_block_iq2_sIN3c104HalfEEvPKvPT_
	.p2align	8
	.type	_ZL22dequantize_block_iq2_sIN3c104HalfEEvPKvPT_,@function
_ZL22dequantize_block_iq2_sIN3c104HalfEEvPKvPT_: ; @_ZL22dequantize_block_iq2_sIN3c104HalfEEvPKvPT_
; %bb.0:
	s_load_dwordx4 s[4:7], s[0:1], 0x0
	s_lshl_b32 s0, s2, 8
	s_mov_b32 s1, 0
	s_lshl_b64 s[0:1], s[0:1], 1
	v_and_b32_e32 v1, 7, v0
	s_waitcnt lgkmcnt(0)
	s_add_u32 s0, s6, s0
	s_addc_u32 s1, s7, s1
	v_lshlrev_b32_e32 v6, 6, v1
	v_mov_b32_e32 v7, 0
	v_lshl_add_u64 v[2:3], s[0:1], 0, v[6:7]
	v_and_b32_e32 v5, 0x3f8, v0
	s_mul_hi_u32 s1, s2, 0x52
	s_mulk_i32 s2, 0x52
	v_lshlrev_b32_e32 v6, 1, v5
	s_add_u32 s0, s4, s2
	v_lshrrev_b32_e32 v4, 3, v0
	v_lshl_add_u64 v[2:3], v[2:3], 0, v[6:7]
	s_addc_u32 s1, s5, s1
	v_lshlrev_b32_e32 v6, 2, v1
	v_add_u32_e32 v5, v6, v4
	global_load_ubyte v10, v1, s[0:1] offset:66
	global_load_ubyte v11, v5, s[0:1] offset:2
	v_mov_b32_e32 v5, v7
	s_add_u32 s2, s0, 2
	v_lshl_add_u64 v[8:9], v[4:5], 0, v[6:7]
	s_addc_u32 s3, s1, 0
	v_lshl_add_u64 v[8:9], s[2:3], 0, v[8:9]
	global_load_ushort v6, v7, s[0:1]
	global_load_sbyte v12, v[8:9], off offset:32
	global_load_ubyte v13, v1, s[0:1] offset:74
	v_lshlrev_b32_e32 v1, 1, v4
	v_sub_u32_e32 v1, 8, v1
	s_movk_i32 s2, 0x300
	s_getpc_b64 s[0:1]
	s_add_u32 s0, s0, _ZL9iq2s_grid@rel32@lo+4
	s_addc_u32 s1, s1, _ZL9iq2s_grid@rel32@hi+12
	v_lshrrev_b32_e32 v0, 2, v0
	v_and_b32_e32 v0, 0xfc, v0
	s_waitcnt vmcnt(4)
	v_lshlrev_b32_e32 v1, v1, v10
	s_waitcnt vmcnt(3)
	v_and_or_b32 v1, v1, s2, v11
	v_lshlrev_b32_e32 v1, 3, v1
	global_load_dwordx2 v[4:5], v1, s[0:1]
	s_waitcnt vmcnt(3)
	v_cvt_f32_f16_e32 v1, v6
	s_waitcnt vmcnt(2)
	v_and_b32_e32 v6, 1, v12
	s_waitcnt vmcnt(1)
	v_bfe_u32 v0, v13, v0, 4
	v_cvt_f32_ubyte0_e32 v0, v0
	v_add_f32_e32 v0, 0.5, v0
	v_mul_f32_e32 v0, v0, v1
	v_mul_f32_e32 v0, 0x3e800000, v0
	v_and_b32_e32 v7, 2, v12
	v_cmp_eq_u16_e32 vcc, 0, v6
	v_and_b32_e32 v8, 4, v12
	v_and_b32_e32 v9, 8, v12
	;; [unrolled: 1-line block ×5, first 2 shown]
	s_waitcnt vmcnt(0)
	v_cvt_f32_ubyte0_e32 v1, v4
	v_cvt_f32_ubyte1_e32 v14, v4
	v_mul_f32_e32 v1, v0, v1
	v_cvt_f32_ubyte2_e32 v15, v4
	v_cvt_f32_ubyte3_e32 v4, v4
	v_cvt_f32_ubyte0_e32 v16, v5
	v_cvt_f32_ubyte1_e32 v17, v5
	v_cvt_f32_ubyte2_e32 v18, v5
	v_cvt_f32_ubyte3_e32 v5, v5
	v_mul_f32_e32 v14, v0, v14
	v_cndmask_b32_e64 v1, -v1, v1, vcc
	v_cmp_eq_u16_e32 vcc, 0, v7
	v_mul_f32_e32 v15, v0, v15
	v_mul_f32_e32 v4, v0, v4
	;; [unrolled: 1-line block ×6, first 2 shown]
	v_cndmask_b32_e64 v5, -v14, v14, vcc
	v_cmp_eq_u16_e32 vcc, 0, v8
	v_cvt_f16_f32_e32 v1, v1
	s_nop 0
	v_cndmask_b32_e64 v6, -v15, v15, vcc
	v_cmp_eq_u16_e32 vcc, 0, v9
	s_nop 1
	v_cndmask_b32_e64 v4, -v4, v4, vcc
	v_cmp_eq_u16_e32 vcc, 0, v10
	v_cvt_f16_f32_e32 v10, v6
	v_cvt_f16_f32_e32 v4, v4
	v_cndmask_b32_e64 v7, -v16, v16, vcc
	v_cmp_eq_u16_e32 vcc, 0, v11
	v_cvt_f16_f32_e32 v6, v7
	s_nop 0
	v_cndmask_b32_e64 v8, -v17, v17, vcc
	v_cmp_eq_u16_e32 vcc, 0, v13
	v_cvt_f16_f32_e32 v8, v8
	v_pack_b32_f16 v6, v6, v8
	v_cndmask_b32_e64 v9, -v18, v18, vcc
	v_cmp_gt_i16_e32 vcc, 0, v12
	v_cvt_f16_f32_e32 v7, v9
	v_cvt_f16_f32_e32 v9, v5
	v_cndmask_b32_e64 v0, v0, -v0, vcc
	v_cvt_f16_f32_e32 v0, v0
	v_pack_b32_f16 v5, v10, v4
	v_pack_b32_f16 v4, v1, v9
	;; [unrolled: 1-line block ×3, first 2 shown]
	global_store_dwordx4 v[2:3], v[4:7], off
	s_endpgm
	.section	.rodata,"a",@progbits
	.p2align	6, 0x0
	.amdhsa_kernel _ZL22dequantize_block_iq2_sIN3c104HalfEEvPKvPT_
		.amdhsa_group_segment_fixed_size 0
		.amdhsa_private_segment_fixed_size 0
		.amdhsa_kernarg_size 16
		.amdhsa_user_sgpr_count 2
		.amdhsa_user_sgpr_dispatch_ptr 0
		.amdhsa_user_sgpr_queue_ptr 0
		.amdhsa_user_sgpr_kernarg_segment_ptr 1
		.amdhsa_user_sgpr_dispatch_id 0
		.amdhsa_user_sgpr_kernarg_preload_length 0
		.amdhsa_user_sgpr_kernarg_preload_offset 0
		.amdhsa_user_sgpr_private_segment_size 0
		.amdhsa_uses_dynamic_stack 0
		.amdhsa_enable_private_segment 0
		.amdhsa_system_sgpr_workgroup_id_x 1
		.amdhsa_system_sgpr_workgroup_id_y 0
		.amdhsa_system_sgpr_workgroup_id_z 0
		.amdhsa_system_sgpr_workgroup_info 0
		.amdhsa_system_vgpr_workitem_id 0
		.amdhsa_next_free_vgpr 19
		.amdhsa_next_free_sgpr 8
		.amdhsa_accum_offset 20
		.amdhsa_reserve_vcc 1
		.amdhsa_float_round_mode_32 0
		.amdhsa_float_round_mode_16_64 0
		.amdhsa_float_denorm_mode_32 3
		.amdhsa_float_denorm_mode_16_64 3
		.amdhsa_dx10_clamp 1
		.amdhsa_ieee_mode 1
		.amdhsa_fp16_overflow 0
		.amdhsa_tg_split 0
		.amdhsa_exception_fp_ieee_invalid_op 0
		.amdhsa_exception_fp_denorm_src 0
		.amdhsa_exception_fp_ieee_div_zero 0
		.amdhsa_exception_fp_ieee_overflow 0
		.amdhsa_exception_fp_ieee_underflow 0
		.amdhsa_exception_fp_ieee_inexact 0
		.amdhsa_exception_int_div_zero 0
	.end_amdhsa_kernel
	.section	.text._ZL22dequantize_block_iq2_sIN3c104HalfEEvPKvPT_,"axG",@progbits,_ZL22dequantize_block_iq2_sIN3c104HalfEEvPKvPT_,comdat
.Lfunc_end35:
	.size	_ZL22dequantize_block_iq2_sIN3c104HalfEEvPKvPT_, .Lfunc_end35-_ZL22dequantize_block_iq2_sIN3c104HalfEEvPKvPT_
                                        ; -- End function
	.section	.AMDGPU.csdata,"",@progbits
; Kernel info:
; codeLenInByte = 572
; NumSgprs: 14
; NumVgprs: 19
; NumAgprs: 0
; TotalNumVgprs: 19
; ScratchSize: 0
; MemoryBound: 0
; FloatMode: 240
; IeeeMode: 1
; LDSByteSize: 0 bytes/workgroup (compile time only)
; SGPRBlocks: 1
; VGPRBlocks: 2
; NumSGPRsForWavesPerEU: 14
; NumVGPRsForWavesPerEU: 19
; AccumOffset: 20
; Occupancy: 8
; WaveLimiterHint : 0
; COMPUTE_PGM_RSRC2:SCRATCH_EN: 0
; COMPUTE_PGM_RSRC2:USER_SGPR: 2
; COMPUTE_PGM_RSRC2:TRAP_HANDLER: 0
; COMPUTE_PGM_RSRC2:TGID_X_EN: 1
; COMPUTE_PGM_RSRC2:TGID_Y_EN: 0
; COMPUTE_PGM_RSRC2:TGID_Z_EN: 0
; COMPUTE_PGM_RSRC2:TIDIG_COMP_CNT: 0
; COMPUTE_PGM_RSRC3_GFX90A:ACCUM_OFFSET: 4
; COMPUTE_PGM_RSRC3_GFX90A:TG_SPLIT: 0
	.section	.text._ZL23dequantize_block_iq4_xsIN3c104HalfEEvPKvPT_,"axG",@progbits,_ZL23dequantize_block_iq4_xsIN3c104HalfEEvPKvPT_,comdat
	.globl	_ZL23dequantize_block_iq4_xsIN3c104HalfEEvPKvPT_ ; -- Begin function _ZL23dequantize_block_iq4_xsIN3c104HalfEEvPKvPT_
	.p2align	8
	.type	_ZL23dequantize_block_iq4_xsIN3c104HalfEEvPKvPT_,@function
_ZL23dequantize_block_iq4_xsIN3c104HalfEEvPKvPT_: ; @_ZL23dequantize_block_iq4_xsIN3c104HalfEEvPKvPT_
; %bb.0:
	s_load_dwordx4 s[4:7], s[0:1], 0x0
	s_lshl_b32 s0, s2, 8
	s_mov_b32 s1, 0
	s_lshl_b64 s[8:9], s[0:1], 1
	v_and_b32_e32 v1, 7, v0
	s_waitcnt lgkmcnt(0)
	s_add_u32 s6, s6, s8
	s_addc_u32 s7, s7, s9
	s_mul_hi_u32 s0, s2, 0x88
	s_mulk_i32 s2, 0x88
	v_lshlrev_b32_e32 v2, 6, v1
	v_mov_b32_e32 v3, 0
	s_add_u32 s2, s4, s2
	v_lshl_add_u64 v[4:5], s[6:7], 0, v[2:3]
	v_lshrrev_b32_e32 v2, 1, v0
	s_addc_u32 s3, s5, s0
	v_lshlrev_b32_e32 v6, 4, v1
	v_mov_b32_e32 v7, v3
	v_and_b32_e32 v2, 0x1fc, v2
	v_lshl_add_u64 v[6:7], s[2:3], 0, v[6:7]
	v_lshl_add_u64 v[6:7], v[6:7], 0, v[2:3]
	global_load_dword v6, v[6:7], off offset:8
	v_bfe_u32 v7, v0, 1, 2
	global_load_dword v11, v3, s[2:3]
	global_load_ubyte v14, v7, s[2:3] offset:4
	v_mov_b32_e32 v7, s1
	v_mov_b32_e32 v9, s1
	s_getpc_b64 s[0:1]
	s_add_u32 s0, s0, _ZL13kvalues_iq4nl@rel32@lo+4
	s_addc_u32 s1, s1, _ZL13kvalues_iq4nl@rel32@hi+12
	v_mov_b32_e32 v8, 4
	v_lshlrev_b32_e32 v10, 1, v2
	v_lshlrev_b32_e32 v0, 2, v0
	v_lshlrev_b32_e32 v1, 1, v1
	v_and_b32_e32 v0, 4, v0
	s_waitcnt vmcnt(2)
	v_and_b32_e32 v15, 15, v6
	global_load_sbyte v15, v15, s[0:1]
	v_lshrrev_b32_e32 v12, 8, v6
	v_lshrrev_b16_e32 v13, 4, v6
	v_bfe_u32 v16, v6, 8, 4
	v_bfe_u32 v17, v6, 16, 4
	;; [unrolled: 1-line block ×4, first 2 shown]
	v_lshrrev_b16_sdwa v2, v8, v6 dst_sel:DWORD dst_unused:UNUSED_PAD src0_sel:DWORD src1_sel:BYTE_3
	v_and_b32_e32 v6, 15, v13
	v_lshrrev_b16_e32 v8, 4, v12
	v_lshl_add_u64 v[12:13], v[2:3], 0, s[0:1]
	v_and_b32_e32 v6, 0xffff, v6
	v_and_b32_e32 v2, 15, v8
	v_lshl_add_u64 v[6:7], v[6:7], 0, s[0:1]
	v_and_b32_e32 v8, 0xffff, v2
	global_load_sbyte v2, v[6:7], off
	global_load_sbyte v20, v16, s[0:1]
	v_lshl_add_u64 v[6:7], v[8:9], 0, s[0:1]
	global_load_sbyte v8, v[6:7], off
	global_load_sbyte v9, v17, s[0:1]
	global_load_sbyte v16, v18, s[0:1]
	;; [unrolled: 1-line block ×3, first 2 shown]
	global_load_sbyte v22, v[12:13], off
	s_waitcnt vmcnt(9)
	v_lshrrev_b32_sdwa v1, v1, v11 dst_sel:DWORD dst_unused:UNUSED_PAD src0_sel:DWORD src1_sel:WORD_1
	s_waitcnt vmcnt(8)
	v_bfe_u32 v0, v14, v0, 4
	v_lshlrev_b32_e32 v1, 4, v1
	v_and_or_b32 v0, v1, 48, v0
	v_subrev_u32_e32 v0, 32, v0
	v_cvt_f32_f16_e32 v6, v11
	v_cvt_f32_i32_e32 v7, v0
	v_mov_b32_e32 v11, v3
	v_lshl_add_u64 v[0:1], v[4:5], 0, v[10:11]
	v_mul_f32_e32 v6, v6, v7
	s_waitcnt vmcnt(7)
	v_cvt_f32_i32_e32 v3, v15
	s_waitcnt vmcnt(4)
	v_cvt_f32_i32_e32 v7, v8
	v_cvt_f32_i32_e32 v4, v2
	v_fma_mixlo_f16 v2, v6, v3, 0
	s_waitcnt vmcnt(3)
	v_cvt_f32_i32_e32 v3, v9
	v_cvt_f32_i32_e32 v5, v20
	s_waitcnt vmcnt(2)
	v_cvt_f32_i32_e32 v8, v16
	s_waitcnt vmcnt(1)
	;; [unrolled: 2-line block ×3, first 2 shown]
	v_cvt_f32_i32_e32 v10, v22
	v_fma_mixlo_f16 v3, v6, v3, 0
	v_fma_mixlo_f16 v4, v6, v4, 0
	v_fma_mixhi_f16 v2, v6, v5, 0
	v_fma_mixlo_f16 v5, v6, v8, 0
	v_fma_mixhi_f16 v3, v6, v9, 0
	v_fma_mixhi_f16 v4, v6, v7, 0
	;; [unrolled: 1-line block ×3, first 2 shown]
	global_store_dwordx2 v[0:1], v[2:3], off
	global_store_dwordx2 v[0:1], v[4:5], off offset:32
	s_endpgm
	.section	.rodata,"a",@progbits
	.p2align	6, 0x0
	.amdhsa_kernel _ZL23dequantize_block_iq4_xsIN3c104HalfEEvPKvPT_
		.amdhsa_group_segment_fixed_size 0
		.amdhsa_private_segment_fixed_size 0
		.amdhsa_kernarg_size 16
		.amdhsa_user_sgpr_count 2
		.amdhsa_user_sgpr_dispatch_ptr 0
		.amdhsa_user_sgpr_queue_ptr 0
		.amdhsa_user_sgpr_kernarg_segment_ptr 1
		.amdhsa_user_sgpr_dispatch_id 0
		.amdhsa_user_sgpr_kernarg_preload_length 0
		.amdhsa_user_sgpr_kernarg_preload_offset 0
		.amdhsa_user_sgpr_private_segment_size 0
		.amdhsa_uses_dynamic_stack 0
		.amdhsa_enable_private_segment 0
		.amdhsa_system_sgpr_workgroup_id_x 1
		.amdhsa_system_sgpr_workgroup_id_y 0
		.amdhsa_system_sgpr_workgroup_id_z 0
		.amdhsa_system_sgpr_workgroup_info 0
		.amdhsa_system_vgpr_workitem_id 0
		.amdhsa_next_free_vgpr 23
		.amdhsa_next_free_sgpr 10
		.amdhsa_accum_offset 24
		.amdhsa_reserve_vcc 0
		.amdhsa_float_round_mode_32 0
		.amdhsa_float_round_mode_16_64 0
		.amdhsa_float_denorm_mode_32 3
		.amdhsa_float_denorm_mode_16_64 3
		.amdhsa_dx10_clamp 1
		.amdhsa_ieee_mode 1
		.amdhsa_fp16_overflow 0
		.amdhsa_tg_split 0
		.amdhsa_exception_fp_ieee_invalid_op 0
		.amdhsa_exception_fp_denorm_src 0
		.amdhsa_exception_fp_ieee_div_zero 0
		.amdhsa_exception_fp_ieee_overflow 0
		.amdhsa_exception_fp_ieee_underflow 0
		.amdhsa_exception_fp_ieee_inexact 0
		.amdhsa_exception_int_div_zero 0
	.end_amdhsa_kernel
	.section	.text._ZL23dequantize_block_iq4_xsIN3c104HalfEEvPKvPT_,"axG",@progbits,_ZL23dequantize_block_iq4_xsIN3c104HalfEEvPKvPT_,comdat
.Lfunc_end36:
	.size	_ZL23dequantize_block_iq4_xsIN3c104HalfEEvPKvPT_, .Lfunc_end36-_ZL23dequantize_block_iq4_xsIN3c104HalfEEvPKvPT_
                                        ; -- End function
	.section	.AMDGPU.csdata,"",@progbits
; Kernel info:
; codeLenInByte = 564
; NumSgprs: 16
; NumVgprs: 23
; NumAgprs: 0
; TotalNumVgprs: 23
; ScratchSize: 0
; MemoryBound: 0
; FloatMode: 240
; IeeeMode: 1
; LDSByteSize: 0 bytes/workgroup (compile time only)
; SGPRBlocks: 1
; VGPRBlocks: 2
; NumSGPRsForWavesPerEU: 16
; NumVGPRsForWavesPerEU: 23
; AccumOffset: 24
; Occupancy: 8
; WaveLimiterHint : 0
; COMPUTE_PGM_RSRC2:SCRATCH_EN: 0
; COMPUTE_PGM_RSRC2:USER_SGPR: 2
; COMPUTE_PGM_RSRC2:TRAP_HANDLER: 0
; COMPUTE_PGM_RSRC2:TGID_X_EN: 1
; COMPUTE_PGM_RSRC2:TGID_Y_EN: 0
; COMPUTE_PGM_RSRC2:TGID_Z_EN: 0
; COMPUTE_PGM_RSRC2:TIDIG_COMP_CNT: 0
; COMPUTE_PGM_RSRC3_GFX90A:ACCUM_OFFSET: 5
; COMPUTE_PGM_RSRC3_GFX90A:TG_SPLIT: 0
	.section	.text._ZL22dequantize_block_iq1_mIN3c104HalfEEvPKvPT_,"axG",@progbits,_ZL22dequantize_block_iq1_mIN3c104HalfEEvPKvPT_,comdat
	.globl	_ZL22dequantize_block_iq1_mIN3c104HalfEEvPKvPT_ ; -- Begin function _ZL22dequantize_block_iq1_mIN3c104HalfEEvPKvPT_
	.p2align	8
	.type	_ZL22dequantize_block_iq1_mIN3c104HalfEEvPKvPT_,@function
_ZL22dequantize_block_iq1_mIN3c104HalfEEvPKvPT_: ; @_ZL22dequantize_block_iq1_mIN3c104HalfEEvPKvPT_
; %bb.0:
	s_load_dwordx4 s[4:7], s[0:1], 0x0
	s_mov_b32 s3, 0
	s_lshl_b64 s[0:1], s[2:3], 9
	v_mov_b32_e32 v3, 0
	v_and_b32_e32 v10, 7, v0
	s_waitcnt lgkmcnt(0)
	s_add_u32 s0, s6, s0
	s_addc_u32 s1, s7, s1
	s_mul_hi_u32 s3, s2, 56
	s_mul_i32 s2, s2, 56
	s_add_u32 s2, s4, s2
	v_lshlrev_b32_e32 v4, 1, v10
	v_mov_b32_e32 v5, v3
	v_lshrrev_b32_e32 v6, 4, v0
	v_mov_b32_e32 v7, v3
	s_addc_u32 s3, s5, s3
	v_lshl_add_u64 v[4:5], v[4:5], 0, v[6:7]
	v_lshl_add_u64 v[6:7], s[2:3], 0, v[4:5]
	v_lshrrev_b32_e32 v2, 3, v0
	global_load_ubyte v1, v[6:7], off offset:32
	v_lshlrev_b32_e32 v6, 2, v10
	v_mov_b32_e32 v7, v3
	v_lshl_add_u64 v[6:7], v[6:7], 0, v[2:3]
	v_lshl_add_u64 v[6:7], s[2:3], 0, v[6:7]
	global_load_ubyte v2, v[6:7], off
	global_load_dwordx2 v[8:9], v3, s[2:3] offset:48
	v_lshrrev_b32_e32 v5, 1, v4
	v_and_b32_e32 v5, 62, v5
	global_load_ushort v6, v5, s[2:3] offset:48
	v_lshrrev_b32_e32 v5, 1, v0
	v_and_b32_e32 v5, 4, v5
	s_movk_i32 s4, 0x700
	s_getpc_b64 s[2:3]
	s_add_u32 s2, s2, _ZL13iq1s_grid_gpu@rel32@lo+4
	s_addc_u32 s3, s3, _ZL13iq1s_grid_gpu@rel32@hi+12
	v_mov_b32_e32 v12, 0xffff
	v_and_b32_e32 v4, 3, v4
	v_mov_b32_e32 v13, 0xbf900000
	v_mov_b32_e32 v14, 0xbf600000
	s_waitcnt vmcnt(3)
	v_lshrrev_b32_e32 v7, v5, v1
	v_lshlrev_b32_e32 v1, 8, v7
	s_waitcnt vmcnt(2)
	v_and_or_b32 v1, v1, s4, v2
	v_lshlrev_b32_e32 v1, 3, v1
	global_load_dword v11, v1, s[2:3]
	v_mov_b32_e32 v1, v3
	v_and_b32_e32 v2, 0x3f8, v0
	v_lshlrev_b32_e32 v0, 6, v10
	v_lshlrev_b32_e32 v2, 1, v2
	v_lshl_add_u64 v[0:1], s[0:1], 0, v[0:1]
	v_mul_u32_u24_e32 v10, 3, v4
	v_lshl_add_u64 v[4:5], v[0:1], 0, v[2:3]
	s_waitcnt vmcnt(2)
	v_and_b32_sdwa v0, v12, v8 dst_sel:DWORD dst_unused:UNUSED_PAD src0_sel:DWORD src1_sel:WORD_1
	s_mov_b32 s2, 0x40008
	v_lshl_or_b32 v0, v9, 16, v0
	v_pk_lshrrev_b16 v0, s2, v0
	v_bfe_u32 v1, v8, 12, 4
	v_and_b32_e32 v0, 0xf0000f0, v0
	s_mov_b32 s3, 0xf000
	v_or_b32_e32 v1, v0, v1
	v_and_b32_sdwa v2, v9, s3 dst_sel:DWORD dst_unused:UNUSED_PAD src0_sel:WORD_1 src1_sel:DWORD
	v_or_b32_sdwa v0, v1, v0 dst_sel:DWORD dst_unused:UNUSED_PAD src0_sel:DWORD src1_sel:WORD_1
	v_or_b32_e32 v0, v0, v2
	s_waitcnt vmcnt(1)
	v_lshrrev_b32_e32 v3, v10, v6
	v_cvt_f32_f16_e32 v1, v0
	v_lshlrev_b32_e32 v3, 1, v3
	v_and_or_b32 v3, v3, 14, 1
	v_and_b32_e32 v6, 8, v7
	v_cvt_f32_ubyte0_e32 v2, v3
	v_cmp_eq_u32_e32 vcc, 0, v6
	v_mul_f32_e32 v2, v1, v2
	s_waitcnt vmcnt(0)
	v_and_b32_e32 v1, 0xf0f0f0f, v11
	v_cndmask_b32_e32 v0, v13, v14, vcc
	v_bfe_u32 v3, v11, 16, 4
	v_bfe_u32 v8, v11, 8, 4
	v_and_b32_e32 v10, 15, v11
	v_lshrrev_b32_e32 v12, 28, v11
	v_bfe_u32 v13, v11, 20, 4
	v_bfe_u32 v14, v11, 12, 4
	;; [unrolled: 1-line block ×3, first 2 shown]
	v_cvt_f32_ubyte3_e32 v7, v1
	v_cvt_f32_ubyte0_e32 v6, v3
	v_cvt_f32_ubyte0_e32 v9, v8
	;; [unrolled: 1-line block ×7, first 2 shown]
	v_pk_add_f32 v[8:9], v[0:1], v[8:9] op_sel_hi:[0,1]
	v_pk_add_f32 v[6:7], v[0:1], v[6:7] op_sel_hi:[0,1]
	v_pk_add_f32 v[12:13], v[0:1], v[12:13] op_sel_hi:[0,1]
	v_pk_add_f32 v[0:1], v[0:1], v[10:11] op_sel_hi:[0,1]
	v_pk_mul_f32 v[6:7], v[2:3], v[6:7] op_sel_hi:[0,1]
	v_pk_mul_f32 v[8:9], v[2:3], v[8:9] op_sel_hi:[0,1]
	;; [unrolled: 1-line block ×4, first 2 shown]
	v_cvt_f16_f32_e32 v9, v9
	v_cvt_f16_f32_e32 v7, v7
	v_cvt_f16_f32_e32 v10, v3
	v_cvt_f16_f32_e32 v1, v1
	v_cvt_f16_f32_e32 v0, v0
	v_cvt_f16_f32_e32 v2, v2
	v_cvt_f16_f32_e32 v6, v6
	v_cvt_f16_f32_e32 v8, v8
	v_pack_b32_f16 v3, v0, v1
	v_pack_b32_f16 v2, v2, v10
	;; [unrolled: 1-line block ×4, first 2 shown]
	global_store_dwordx4 v[4:5], v[0:3], off
	s_endpgm
	.section	.rodata,"a",@progbits
	.p2align	6, 0x0
	.amdhsa_kernel _ZL22dequantize_block_iq1_mIN3c104HalfEEvPKvPT_
		.amdhsa_group_segment_fixed_size 0
		.amdhsa_private_segment_fixed_size 0
		.amdhsa_kernarg_size 16
		.amdhsa_user_sgpr_count 2
		.amdhsa_user_sgpr_dispatch_ptr 0
		.amdhsa_user_sgpr_queue_ptr 0
		.amdhsa_user_sgpr_kernarg_segment_ptr 1
		.amdhsa_user_sgpr_dispatch_id 0
		.amdhsa_user_sgpr_kernarg_preload_length 0
		.amdhsa_user_sgpr_kernarg_preload_offset 0
		.amdhsa_user_sgpr_private_segment_size 0
		.amdhsa_uses_dynamic_stack 0
		.amdhsa_enable_private_segment 0
		.amdhsa_system_sgpr_workgroup_id_x 1
		.amdhsa_system_sgpr_workgroup_id_y 0
		.amdhsa_system_sgpr_workgroup_id_z 0
		.amdhsa_system_sgpr_workgroup_info 0
		.amdhsa_system_vgpr_workitem_id 0
		.amdhsa_next_free_vgpr 16
		.amdhsa_next_free_sgpr 8
		.amdhsa_accum_offset 16
		.amdhsa_reserve_vcc 1
		.amdhsa_float_round_mode_32 0
		.amdhsa_float_round_mode_16_64 0
		.amdhsa_float_denorm_mode_32 3
		.amdhsa_float_denorm_mode_16_64 3
		.amdhsa_dx10_clamp 1
		.amdhsa_ieee_mode 1
		.amdhsa_fp16_overflow 0
		.amdhsa_tg_split 0
		.amdhsa_exception_fp_ieee_invalid_op 0
		.amdhsa_exception_fp_denorm_src 0
		.amdhsa_exception_fp_ieee_div_zero 0
		.amdhsa_exception_fp_ieee_overflow 0
		.amdhsa_exception_fp_ieee_underflow 0
		.amdhsa_exception_fp_ieee_inexact 0
		.amdhsa_exception_int_div_zero 0
	.end_amdhsa_kernel
	.section	.text._ZL22dequantize_block_iq1_mIN3c104HalfEEvPKvPT_,"axG",@progbits,_ZL22dequantize_block_iq1_mIN3c104HalfEEvPKvPT_,comdat
.Lfunc_end37:
	.size	_ZL22dequantize_block_iq1_mIN3c104HalfEEvPKvPT_, .Lfunc_end37-_ZL22dequantize_block_iq1_mIN3c104HalfEEvPKvPT_
                                        ; -- End function
	.section	.AMDGPU.csdata,"",@progbits
; Kernel info:
; codeLenInByte = 648
; NumSgprs: 14
; NumVgprs: 16
; NumAgprs: 0
; TotalNumVgprs: 16
; ScratchSize: 0
; MemoryBound: 0
; FloatMode: 240
; IeeeMode: 1
; LDSByteSize: 0 bytes/workgroup (compile time only)
; SGPRBlocks: 1
; VGPRBlocks: 1
; NumSGPRsForWavesPerEU: 14
; NumVGPRsForWavesPerEU: 16
; AccumOffset: 16
; Occupancy: 8
; WaveLimiterHint : 0
; COMPUTE_PGM_RSRC2:SCRATCH_EN: 0
; COMPUTE_PGM_RSRC2:USER_SGPR: 2
; COMPUTE_PGM_RSRC2:TRAP_HANDLER: 0
; COMPUTE_PGM_RSRC2:TGID_X_EN: 1
; COMPUTE_PGM_RSRC2:TGID_Y_EN: 0
; COMPUTE_PGM_RSRC2:TGID_Z_EN: 0
; COMPUTE_PGM_RSRC2:TIDIG_COMP_CNT: 0
; COMPUTE_PGM_RSRC3_GFX90A:ACCUM_OFFSET: 3
; COMPUTE_PGM_RSRC3_GFX90A:TG_SPLIT: 0
	.section	.text._ZL16dequantize_blockILi32ELi2EXadL_ZL15dequantize_q4_0PKviiR7__half2EEN3c108BFloat16EEvS1_PT2_i,"axG",@progbits,_ZL16dequantize_blockILi32ELi2EXadL_ZL15dequantize_q4_0PKviiR7__half2EEN3c108BFloat16EEvS1_PT2_i,comdat
	.globl	_ZL16dequantize_blockILi32ELi2EXadL_ZL15dequantize_q4_0PKviiR7__half2EEN3c108BFloat16EEvS1_PT2_i ; -- Begin function _ZL16dequantize_blockILi32ELi2EXadL_ZL15dequantize_q4_0PKviiR7__half2EEN3c108BFloat16EEvS1_PT2_i
	.p2align	8
	.type	_ZL16dequantize_blockILi32ELi2EXadL_ZL15dequantize_q4_0PKviiR7__half2EEN3c108BFloat16EEvS1_PT2_i,@function
_ZL16dequantize_blockILi32ELi2EXadL_ZL15dequantize_q4_0PKviiR7__half2EEN3c108BFloat16EEvS1_PT2_i: ; @_ZL16dequantize_blockILi32ELi2EXadL_ZL15dequantize_q4_0PKviiR7__half2EEN3c108BFloat16EEvS1_PT2_i
; %bb.0:
	s_load_dword s3, s[0:1], 0x24
	s_load_dword s4, s[0:1], 0x10
	s_waitcnt lgkmcnt(0)
	s_and_b32 s3, s3, 0xffff
	s_mul_i32 s2, s2, s3
	v_add_lshl_u32 v0, s2, v0, 1
	v_cmp_gt_i32_e32 vcc, s4, v0
	s_and_saveexec_b64 s[2:3], vcc
	s_cbranch_execz .LBB38_2
; %bb.1:
	v_ashrrev_i32_e32 v1, 31, v0
	s_load_dwordx4 s[0:3], s[0:1], 0x0
	v_lshrrev_b32_e32 v1, 27, v1
	v_add_u32_e32 v1, v0, v1
	v_and_b32_e32 v6, 0xffffffe0, v1
	v_sub_u32_e32 v0, v0, v6
	v_ashrrev_i32_e32 v2, 5, v1
	v_ashrrev_i32_e32 v0, 1, v0
	s_waitcnt lgkmcnt(0)
	v_mad_i64_i32 v[2:3], s[0:1], v2, 18, s[0:1]
	v_ashrrev_i32_e32 v1, 31, v0
	v_lshl_add_u64 v[4:5], v[2:3], 0, v[0:1]
	global_load_ubyte v1, v[4:5], off offset:2
	global_load_ushort v7, v[2:3], off
	s_mov_b32 s0, 0xc800
	s_movk_i32 s1, 0x7fff
	v_add_u32_e32 v0, v6, v0
	v_mov_b32_e32 v3, 0x7fc0
	s_waitcnt vmcnt(1)
	v_and_b32_e32 v2, 15, v1
	v_lshrrev_b32_e32 v1, 4, v1
	v_cvt_f32_ubyte0_e32 v2, v2
	v_cvt_f32_ubyte0_e32 v1, v1
	v_cvt_f16_f32_e32 v2, v2
	v_cvt_f16_f32_e32 v1, v1
	v_pack_b32_f16 v1, v2, v1
	v_pk_add_f16 v1, v1, s0 op_sel_hi:[1,0]
	s_waitcnt vmcnt(0)
	v_pk_mul_f16 v2, v7, v1 op_sel_hi:[0,1]
	v_cvt_f32_f16_e32 v4, v2
	v_cvt_f32_f16_sdwa v5, v2 dst_sel:DWORD dst_unused:UNUSED_PAD src0_sel:WORD_1
	v_ashrrev_i32_e32 v1, 31, v0
	v_cmp_o_f16_e32 vcc, v2, v2
	v_bfe_u32 v6, v4, 16, 1
	v_bfe_u32 v7, v5, 16, 1
	v_add3_u32 v4, v4, v6, s1
	v_add3_u32 v5, v5, v7, s1
	v_lshrrev_b32_e32 v4, 16, v4
	v_lshl_add_u64 v[0:1], v[0:1], 1, s[2:3]
	v_lshrrev_b32_e32 v5, 16, v5
	v_cndmask_b32_e32 v4, v3, v4, vcc
	v_cmp_o_f16_sdwa vcc, v2, v2 src0_sel:WORD_1 src1_sel:WORD_1
	s_nop 1
	v_cndmask_b32_e32 v2, v3, v5, vcc
	global_store_short v[0:1], v4, off
	global_store_short v[0:1], v2, off offset:32
.LBB38_2:
	s_endpgm
	.section	.rodata,"a",@progbits
	.p2align	6, 0x0
	.amdhsa_kernel _ZL16dequantize_blockILi32ELi2EXadL_ZL15dequantize_q4_0PKviiR7__half2EEN3c108BFloat16EEvS1_PT2_i
		.amdhsa_group_segment_fixed_size 0
		.amdhsa_private_segment_fixed_size 0
		.amdhsa_kernarg_size 280
		.amdhsa_user_sgpr_count 2
		.amdhsa_user_sgpr_dispatch_ptr 0
		.amdhsa_user_sgpr_queue_ptr 0
		.amdhsa_user_sgpr_kernarg_segment_ptr 1
		.amdhsa_user_sgpr_dispatch_id 0
		.amdhsa_user_sgpr_kernarg_preload_length 0
		.amdhsa_user_sgpr_kernarg_preload_offset 0
		.amdhsa_user_sgpr_private_segment_size 0
		.amdhsa_uses_dynamic_stack 0
		.amdhsa_enable_private_segment 0
		.amdhsa_system_sgpr_workgroup_id_x 1
		.amdhsa_system_sgpr_workgroup_id_y 0
		.amdhsa_system_sgpr_workgroup_id_z 0
		.amdhsa_system_sgpr_workgroup_info 0
		.amdhsa_system_vgpr_workitem_id 0
		.amdhsa_next_free_vgpr 8
		.amdhsa_next_free_sgpr 5
		.amdhsa_accum_offset 8
		.amdhsa_reserve_vcc 1
		.amdhsa_float_round_mode_32 0
		.amdhsa_float_round_mode_16_64 0
		.amdhsa_float_denorm_mode_32 3
		.amdhsa_float_denorm_mode_16_64 3
		.amdhsa_dx10_clamp 1
		.amdhsa_ieee_mode 1
		.amdhsa_fp16_overflow 0
		.amdhsa_tg_split 0
		.amdhsa_exception_fp_ieee_invalid_op 0
		.amdhsa_exception_fp_denorm_src 0
		.amdhsa_exception_fp_ieee_div_zero 0
		.amdhsa_exception_fp_ieee_overflow 0
		.amdhsa_exception_fp_ieee_underflow 0
		.amdhsa_exception_fp_ieee_inexact 0
		.amdhsa_exception_int_div_zero 0
	.end_amdhsa_kernel
	.section	.text._ZL16dequantize_blockILi32ELi2EXadL_ZL15dequantize_q4_0PKviiR7__half2EEN3c108BFloat16EEvS1_PT2_i,"axG",@progbits,_ZL16dequantize_blockILi32ELi2EXadL_ZL15dequantize_q4_0PKviiR7__half2EEN3c108BFloat16EEvS1_PT2_i,comdat
.Lfunc_end38:
	.size	_ZL16dequantize_blockILi32ELi2EXadL_ZL15dequantize_q4_0PKviiR7__half2EEN3c108BFloat16EEvS1_PT2_i, .Lfunc_end38-_ZL16dequantize_blockILi32ELi2EXadL_ZL15dequantize_q4_0PKviiR7__half2EEN3c108BFloat16EEvS1_PT2_i
                                        ; -- End function
	.section	.AMDGPU.csdata,"",@progbits
; Kernel info:
; codeLenInByte = 320
; NumSgprs: 11
; NumVgprs: 8
; NumAgprs: 0
; TotalNumVgprs: 8
; ScratchSize: 0
; MemoryBound: 0
; FloatMode: 240
; IeeeMode: 1
; LDSByteSize: 0 bytes/workgroup (compile time only)
; SGPRBlocks: 1
; VGPRBlocks: 0
; NumSGPRsForWavesPerEU: 11
; NumVGPRsForWavesPerEU: 8
; AccumOffset: 8
; Occupancy: 8
; WaveLimiterHint : 0
; COMPUTE_PGM_RSRC2:SCRATCH_EN: 0
; COMPUTE_PGM_RSRC2:USER_SGPR: 2
; COMPUTE_PGM_RSRC2:TRAP_HANDLER: 0
; COMPUTE_PGM_RSRC2:TGID_X_EN: 1
; COMPUTE_PGM_RSRC2:TGID_Y_EN: 0
; COMPUTE_PGM_RSRC2:TGID_Z_EN: 0
; COMPUTE_PGM_RSRC2:TIDIG_COMP_CNT: 0
; COMPUTE_PGM_RSRC3_GFX90A:ACCUM_OFFSET: 1
; COMPUTE_PGM_RSRC3_GFX90A:TG_SPLIT: 0
	.section	.text._ZL16dequantize_blockILi32ELi2EXadL_ZL15dequantize_q4_1PKviiR7__half2EEN3c108BFloat16EEvS1_PT2_i,"axG",@progbits,_ZL16dequantize_blockILi32ELi2EXadL_ZL15dequantize_q4_1PKviiR7__half2EEN3c108BFloat16EEvS1_PT2_i,comdat
	.globl	_ZL16dequantize_blockILi32ELi2EXadL_ZL15dequantize_q4_1PKviiR7__half2EEN3c108BFloat16EEvS1_PT2_i ; -- Begin function _ZL16dequantize_blockILi32ELi2EXadL_ZL15dequantize_q4_1PKviiR7__half2EEN3c108BFloat16EEvS1_PT2_i
	.p2align	8
	.type	_ZL16dequantize_blockILi32ELi2EXadL_ZL15dequantize_q4_1PKviiR7__half2EEN3c108BFloat16EEvS1_PT2_i,@function
_ZL16dequantize_blockILi32ELi2EXadL_ZL15dequantize_q4_1PKviiR7__half2EEN3c108BFloat16EEvS1_PT2_i: ; @_ZL16dequantize_blockILi32ELi2EXadL_ZL15dequantize_q4_1PKviiR7__half2EEN3c108BFloat16EEvS1_PT2_i
; %bb.0:
	s_load_dword s3, s[0:1], 0x24
	s_load_dword s4, s[0:1], 0x10
	s_waitcnt lgkmcnt(0)
	s_and_b32 s3, s3, 0xffff
	s_mul_i32 s2, s2, s3
	v_add_lshl_u32 v0, s2, v0, 1
	v_cmp_gt_i32_e32 vcc, s4, v0
	s_and_saveexec_b64 s[2:3], vcc
	s_cbranch_execz .LBB39_2
; %bb.1:
	v_ashrrev_i32_e32 v1, 31, v0
	s_load_dwordx4 s[0:3], s[0:1], 0x0
	v_lshrrev_b32_e32 v1, 27, v1
	v_add_u32_e32 v1, v0, v1
	v_and_b32_e32 v6, 0xffffffe0, v1
	v_sub_u32_e32 v0, v0, v6
	v_ashrrev_i32_e32 v2, 5, v1
	v_ashrrev_i32_e32 v0, 1, v0
	s_waitcnt lgkmcnt(0)
	v_mad_i64_i32 v[2:3], s[0:1], v2, 20, s[0:1]
	v_ashrrev_i32_e32 v1, 31, v0
	v_lshl_add_u64 v[4:5], v[2:3], 0, v[0:1]
	global_load_ubyte v1, v[4:5], off offset:4
	global_load_dword v7, v[2:3], off
	s_movk_i32 s0, 0x7fff
	v_add_u32_e32 v0, v6, v0
	v_mov_b32_e32 v3, 0x7fc0
	s_waitcnt vmcnt(1)
	v_and_b32_e32 v2, 15, v1
	v_lshrrev_b32_e32 v1, 4, v1
	v_cvt_f32_ubyte0_e32 v2, v2
	v_cvt_f32_ubyte0_e32 v1, v1
	v_cvt_f16_f32_e32 v2, v2
	v_cvt_f16_f32_e32 v1, v1
	v_pack_b32_f16 v1, v2, v1
	s_waitcnt vmcnt(0)
	v_pk_fma_f16 v2, v7, v1, v7 op_sel:[0,0,1] op_sel_hi:[0,1,1]
	v_cvt_f32_f16_e32 v4, v2
	v_cvt_f32_f16_sdwa v5, v2 dst_sel:DWORD dst_unused:UNUSED_PAD src0_sel:WORD_1
	v_ashrrev_i32_e32 v1, 31, v0
	v_cmp_o_f16_e32 vcc, v2, v2
	v_bfe_u32 v6, v4, 16, 1
	v_bfe_u32 v7, v5, 16, 1
	v_add3_u32 v4, v4, v6, s0
	v_add3_u32 v5, v5, v7, s0
	v_lshrrev_b32_e32 v4, 16, v4
	v_lshl_add_u64 v[0:1], v[0:1], 1, s[2:3]
	v_lshrrev_b32_e32 v5, 16, v5
	v_cndmask_b32_e32 v4, v3, v4, vcc
	v_cmp_o_f16_sdwa vcc, v2, v2 src0_sel:WORD_1 src1_sel:WORD_1
	s_nop 1
	v_cndmask_b32_e32 v2, v3, v5, vcc
	global_store_short v[0:1], v4, off
	global_store_short v[0:1], v2, off offset:32
.LBB39_2:
	s_endpgm
	.section	.rodata,"a",@progbits
	.p2align	6, 0x0
	.amdhsa_kernel _ZL16dequantize_blockILi32ELi2EXadL_ZL15dequantize_q4_1PKviiR7__half2EEN3c108BFloat16EEvS1_PT2_i
		.amdhsa_group_segment_fixed_size 0
		.amdhsa_private_segment_fixed_size 0
		.amdhsa_kernarg_size 280
		.amdhsa_user_sgpr_count 2
		.amdhsa_user_sgpr_dispatch_ptr 0
		.amdhsa_user_sgpr_queue_ptr 0
		.amdhsa_user_sgpr_kernarg_segment_ptr 1
		.amdhsa_user_sgpr_dispatch_id 0
		.amdhsa_user_sgpr_kernarg_preload_length 0
		.amdhsa_user_sgpr_kernarg_preload_offset 0
		.amdhsa_user_sgpr_private_segment_size 0
		.amdhsa_uses_dynamic_stack 0
		.amdhsa_enable_private_segment 0
		.amdhsa_system_sgpr_workgroup_id_x 1
		.amdhsa_system_sgpr_workgroup_id_y 0
		.amdhsa_system_sgpr_workgroup_id_z 0
		.amdhsa_system_sgpr_workgroup_info 0
		.amdhsa_system_vgpr_workitem_id 0
		.amdhsa_next_free_vgpr 8
		.amdhsa_next_free_sgpr 5
		.amdhsa_accum_offset 8
		.amdhsa_reserve_vcc 1
		.amdhsa_float_round_mode_32 0
		.amdhsa_float_round_mode_16_64 0
		.amdhsa_float_denorm_mode_32 3
		.amdhsa_float_denorm_mode_16_64 3
		.amdhsa_dx10_clamp 1
		.amdhsa_ieee_mode 1
		.amdhsa_fp16_overflow 0
		.amdhsa_tg_split 0
		.amdhsa_exception_fp_ieee_invalid_op 0
		.amdhsa_exception_fp_denorm_src 0
		.amdhsa_exception_fp_ieee_div_zero 0
		.amdhsa_exception_fp_ieee_overflow 0
		.amdhsa_exception_fp_ieee_underflow 0
		.amdhsa_exception_fp_ieee_inexact 0
		.amdhsa_exception_int_div_zero 0
	.end_amdhsa_kernel
	.section	.text._ZL16dequantize_blockILi32ELi2EXadL_ZL15dequantize_q4_1PKviiR7__half2EEN3c108BFloat16EEvS1_PT2_i,"axG",@progbits,_ZL16dequantize_blockILi32ELi2EXadL_ZL15dequantize_q4_1PKviiR7__half2EEN3c108BFloat16EEvS1_PT2_i,comdat
.Lfunc_end39:
	.size	_ZL16dequantize_blockILi32ELi2EXadL_ZL15dequantize_q4_1PKviiR7__half2EEN3c108BFloat16EEvS1_PT2_i, .Lfunc_end39-_ZL16dequantize_blockILi32ELi2EXadL_ZL15dequantize_q4_1PKviiR7__half2EEN3c108BFloat16EEvS1_PT2_i
                                        ; -- End function
	.section	.AMDGPU.csdata,"",@progbits
; Kernel info:
; codeLenInByte = 304
; NumSgprs: 11
; NumVgprs: 8
; NumAgprs: 0
; TotalNumVgprs: 8
; ScratchSize: 0
; MemoryBound: 0
; FloatMode: 240
; IeeeMode: 1
; LDSByteSize: 0 bytes/workgroup (compile time only)
; SGPRBlocks: 1
; VGPRBlocks: 0
; NumSGPRsForWavesPerEU: 11
; NumVGPRsForWavesPerEU: 8
; AccumOffset: 8
; Occupancy: 8
; WaveLimiterHint : 0
; COMPUTE_PGM_RSRC2:SCRATCH_EN: 0
; COMPUTE_PGM_RSRC2:USER_SGPR: 2
; COMPUTE_PGM_RSRC2:TRAP_HANDLER: 0
; COMPUTE_PGM_RSRC2:TGID_X_EN: 1
; COMPUTE_PGM_RSRC2:TGID_Y_EN: 0
; COMPUTE_PGM_RSRC2:TGID_Z_EN: 0
; COMPUTE_PGM_RSRC2:TIDIG_COMP_CNT: 0
; COMPUTE_PGM_RSRC3_GFX90A:ACCUM_OFFSET: 1
; COMPUTE_PGM_RSRC3_GFX90A:TG_SPLIT: 0
	.section	.text._ZL16dequantize_blockILi32ELi2EXadL_ZL15dequantize_q5_0PKviiR7__half2EEN3c108BFloat16EEvS1_PT2_i,"axG",@progbits,_ZL16dequantize_blockILi32ELi2EXadL_ZL15dequantize_q5_0PKviiR7__half2EEN3c108BFloat16EEvS1_PT2_i,comdat
	.globl	_ZL16dequantize_blockILi32ELi2EXadL_ZL15dequantize_q5_0PKviiR7__half2EEN3c108BFloat16EEvS1_PT2_i ; -- Begin function _ZL16dequantize_blockILi32ELi2EXadL_ZL15dequantize_q5_0PKviiR7__half2EEN3c108BFloat16EEvS1_PT2_i
	.p2align	8
	.type	_ZL16dequantize_blockILi32ELi2EXadL_ZL15dequantize_q5_0PKviiR7__half2EEN3c108BFloat16EEvS1_PT2_i,@function
_ZL16dequantize_blockILi32ELi2EXadL_ZL15dequantize_q5_0PKviiR7__half2EEN3c108BFloat16EEvS1_PT2_i: ; @_ZL16dequantize_blockILi32ELi2EXadL_ZL15dequantize_q5_0PKviiR7__half2EEN3c108BFloat16EEvS1_PT2_i
; %bb.0:
	s_load_dword s3, s[0:1], 0x24
	s_load_dword s4, s[0:1], 0x10
	s_waitcnt lgkmcnt(0)
	s_and_b32 s3, s3, 0xffff
	s_mul_i32 s2, s2, s3
	v_add_lshl_u32 v0, s2, v0, 1
	v_cmp_gt_i32_e32 vcc, s4, v0
	s_and_saveexec_b64 s[2:3], vcc
	s_cbranch_execz .LBB40_2
; %bb.1:
	s_load_dwordx4 s[0:3], s[0:1], 0x0
	v_ashrrev_i32_e32 v1, 31, v0
	v_lshrrev_b32_e32 v1, 27, v1
	v_add_u32_e32 v1, v0, v1
	v_and_b32_e32 v4, 0xffffffe0, v1
	v_ashrrev_i32_e32 v2, 5, v1
	v_sub_u32_e32 v3, v0, v4
	s_waitcnt lgkmcnt(0)
	v_mad_i64_i32 v[0:1], s[0:1], v2, 22, s[0:1]
	v_ashrrev_i32_e32 v2, 1, v3
	global_load_dword v5, v[0:1], off
	global_load_ushort v6, v[0:1], off offset:4
	v_ashrrev_i32_e32 v3, 31, v2
	v_lshl_add_u64 v[0:1], v[0:1], 0, v[2:3]
	global_load_ubyte v0, v[0:1], off offset:6
	s_mov_b32 s0, 0x1000706
	v_add_u32_e32 v1, 12, v2
	s_mov_b32 s1, 0xcc00
	s_waitcnt vmcnt(1)
	v_perm_b32 v3, v5, v6, s0
	v_lshrrev_b32_e32 v6, v2, v3
	v_lshrrev_b32_e32 v1, v1, v3
	v_lshlrev_b32_e32 v3, 4, v6
	s_waitcnt vmcnt(0)
	v_and_b32_e32 v6, 15, v0
	v_lshrrev_b16_e32 v0, 4, v0
	v_and_or_b32 v3, v3, 16, v6
	v_and_or_b32 v0, v1, 16, v0
	v_cvt_f32_ubyte0_e32 v1, v3
	v_cvt_f32_ubyte0_e32 v0, v0
	v_cvt_f16_f32_e32 v1, v1
	v_cvt_f16_f32_e32 v3, v0
	v_add_u32_e32 v0, v4, v2
	s_movk_i32 s0, 0x7fff
	v_mov_b32_e32 v6, 0x7fc0
	v_pack_b32_f16 v1, v1, v3
	v_pk_add_f16 v1, v1, s1 op_sel_hi:[1,0]
	s_nop 0
	v_pk_mul_f16 v2, v5, v1 op_sel_hi:[0,1]
	v_cvt_f32_f16_e32 v3, v2
	v_cvt_f32_f16_sdwa v4, v2 dst_sel:DWORD dst_unused:UNUSED_PAD src0_sel:WORD_1
	v_ashrrev_i32_e32 v1, 31, v0
	v_cmp_o_f16_e32 vcc, v2, v2
	v_bfe_u32 v5, v3, 16, 1
	v_bfe_u32 v7, v4, 16, 1
	v_add3_u32 v3, v3, v5, s0
	v_add3_u32 v4, v4, v7, s0
	v_lshrrev_b32_e32 v3, 16, v3
	v_lshl_add_u64 v[0:1], v[0:1], 1, s[2:3]
	v_lshrrev_b32_e32 v4, 16, v4
	v_cndmask_b32_e32 v3, v6, v3, vcc
	v_cmp_o_f16_sdwa vcc, v2, v2 src0_sel:WORD_1 src1_sel:WORD_1
	s_nop 1
	v_cndmask_b32_e32 v2, v6, v4, vcc
	global_store_short v[0:1], v3, off
	global_store_short v[0:1], v2, off offset:32
.LBB40_2:
	s_endpgm
	.section	.rodata,"a",@progbits
	.p2align	6, 0x0
	.amdhsa_kernel _ZL16dequantize_blockILi32ELi2EXadL_ZL15dequantize_q5_0PKviiR7__half2EEN3c108BFloat16EEvS1_PT2_i
		.amdhsa_group_segment_fixed_size 0
		.amdhsa_private_segment_fixed_size 0
		.amdhsa_kernarg_size 280
		.amdhsa_user_sgpr_count 2
		.amdhsa_user_sgpr_dispatch_ptr 0
		.amdhsa_user_sgpr_queue_ptr 0
		.amdhsa_user_sgpr_kernarg_segment_ptr 1
		.amdhsa_user_sgpr_dispatch_id 0
		.amdhsa_user_sgpr_kernarg_preload_length 0
		.amdhsa_user_sgpr_kernarg_preload_offset 0
		.amdhsa_user_sgpr_private_segment_size 0
		.amdhsa_uses_dynamic_stack 0
		.amdhsa_enable_private_segment 0
		.amdhsa_system_sgpr_workgroup_id_x 1
		.amdhsa_system_sgpr_workgroup_id_y 0
		.amdhsa_system_sgpr_workgroup_id_z 0
		.amdhsa_system_sgpr_workgroup_info 0
		.amdhsa_system_vgpr_workitem_id 0
		.amdhsa_next_free_vgpr 8
		.amdhsa_next_free_sgpr 5
		.amdhsa_accum_offset 8
		.amdhsa_reserve_vcc 1
		.amdhsa_float_round_mode_32 0
		.amdhsa_float_round_mode_16_64 0
		.amdhsa_float_denorm_mode_32 3
		.amdhsa_float_denorm_mode_16_64 3
		.amdhsa_dx10_clamp 1
		.amdhsa_ieee_mode 1
		.amdhsa_fp16_overflow 0
		.amdhsa_tg_split 0
		.amdhsa_exception_fp_ieee_invalid_op 0
		.amdhsa_exception_fp_denorm_src 0
		.amdhsa_exception_fp_ieee_div_zero 0
		.amdhsa_exception_fp_ieee_overflow 0
		.amdhsa_exception_fp_ieee_underflow 0
		.amdhsa_exception_fp_ieee_inexact 0
		.amdhsa_exception_int_div_zero 0
	.end_amdhsa_kernel
	.section	.text._ZL16dequantize_blockILi32ELi2EXadL_ZL15dequantize_q5_0PKviiR7__half2EEN3c108BFloat16EEvS1_PT2_i,"axG",@progbits,_ZL16dequantize_blockILi32ELi2EXadL_ZL15dequantize_q5_0PKviiR7__half2EEN3c108BFloat16EEvS1_PT2_i,comdat
.Lfunc_end40:
	.size	_ZL16dequantize_blockILi32ELi2EXadL_ZL15dequantize_q5_0PKviiR7__half2EEN3c108BFloat16EEvS1_PT2_i, .Lfunc_end40-_ZL16dequantize_blockILi32ELi2EXadL_ZL15dequantize_q5_0PKviiR7__half2EEN3c108BFloat16EEvS1_PT2_i
                                        ; -- End function
	.section	.AMDGPU.csdata,"",@progbits
; Kernel info:
; codeLenInByte = 380
; NumSgprs: 11
; NumVgprs: 8
; NumAgprs: 0
; TotalNumVgprs: 8
; ScratchSize: 0
; MemoryBound: 0
; FloatMode: 240
; IeeeMode: 1
; LDSByteSize: 0 bytes/workgroup (compile time only)
; SGPRBlocks: 1
; VGPRBlocks: 0
; NumSGPRsForWavesPerEU: 11
; NumVGPRsForWavesPerEU: 8
; AccumOffset: 8
; Occupancy: 8
; WaveLimiterHint : 0
; COMPUTE_PGM_RSRC2:SCRATCH_EN: 0
; COMPUTE_PGM_RSRC2:USER_SGPR: 2
; COMPUTE_PGM_RSRC2:TRAP_HANDLER: 0
; COMPUTE_PGM_RSRC2:TGID_X_EN: 1
; COMPUTE_PGM_RSRC2:TGID_Y_EN: 0
; COMPUTE_PGM_RSRC2:TGID_Z_EN: 0
; COMPUTE_PGM_RSRC2:TIDIG_COMP_CNT: 0
; COMPUTE_PGM_RSRC3_GFX90A:ACCUM_OFFSET: 1
; COMPUTE_PGM_RSRC3_GFX90A:TG_SPLIT: 0
	.section	.text._ZL16dequantize_blockILi32ELi2EXadL_ZL15dequantize_q5_1PKviiR7__half2EEN3c108BFloat16EEvS1_PT2_i,"axG",@progbits,_ZL16dequantize_blockILi32ELi2EXadL_ZL15dequantize_q5_1PKviiR7__half2EEN3c108BFloat16EEvS1_PT2_i,comdat
	.globl	_ZL16dequantize_blockILi32ELi2EXadL_ZL15dequantize_q5_1PKviiR7__half2EEN3c108BFloat16EEvS1_PT2_i ; -- Begin function _ZL16dequantize_blockILi32ELi2EXadL_ZL15dequantize_q5_1PKviiR7__half2EEN3c108BFloat16EEvS1_PT2_i
	.p2align	8
	.type	_ZL16dequantize_blockILi32ELi2EXadL_ZL15dequantize_q5_1PKviiR7__half2EEN3c108BFloat16EEvS1_PT2_i,@function
_ZL16dequantize_blockILi32ELi2EXadL_ZL15dequantize_q5_1PKviiR7__half2EEN3c108BFloat16EEvS1_PT2_i: ; @_ZL16dequantize_blockILi32ELi2EXadL_ZL15dequantize_q5_1PKviiR7__half2EEN3c108BFloat16EEvS1_PT2_i
; %bb.0:
	s_load_dword s3, s[0:1], 0x24
	s_load_dword s4, s[0:1], 0x10
	s_waitcnt lgkmcnt(0)
	s_and_b32 s3, s3, 0xffff
	s_mul_i32 s2, s2, s3
	v_add_lshl_u32 v0, s2, v0, 1
	v_cmp_gt_i32_e32 vcc, s4, v0
	s_and_saveexec_b64 s[2:3], vcc
	s_cbranch_execz .LBB41_2
; %bb.1:
	s_load_dwordx4 s[0:3], s[0:1], 0x0
	v_ashrrev_i32_e32 v1, 31, v0
	v_lshrrev_b32_e32 v1, 27, v1
	v_add_u32_e32 v1, v0, v1
	v_ashrrev_i32_e32 v2, 5, v1
	s_waitcnt lgkmcnt(0)
	v_mad_i64_i32 v[2:3], s[0:1], v2, 24, s[0:1]
	v_and_b32_e32 v6, 0xffffffe0, v1
	global_load_ushort v7, v[2:3], off offset:4
	global_load_ushort v8, v[2:3], off offset:6
	v_sub_u32_e32 v0, v0, v6
	v_ashrrev_i32_e32 v0, 1, v0
	v_ashrrev_i32_e32 v1, 31, v0
	v_lshl_add_u64 v[4:5], v[2:3], 0, v[0:1]
	global_load_ubyte v1, v[4:5], off offset:8
	global_load_dword v9, v[2:3], off
	v_add_u32_e32 v2, 12, v0
	s_movk_i32 s0, 0x7fff
	s_waitcnt vmcnt(2)
	v_lshrrev_b16_e32 v3, 8, v8
	v_and_b32_e32 v4, 0xff, v8
	v_lshlrev_b32_e32 v3, 24, v3
	v_lshlrev_b32_e32 v4, 16, v4
	v_or3_b32 v3, v4, v7, v3
	v_lshrrev_b32_e32 v5, v0, v3
	s_waitcnt vmcnt(1)
	v_and_b32_e32 v4, 15, v1
	v_lshrrev_b16_e32 v1, 4, v1
	v_lshrrev_b32_e32 v2, v2, v3
	v_lshlrev_b32_e32 v3, 4, v5
	v_and_or_b32 v1, v2, 16, v1
	v_and_or_b32 v2, v3, 16, v4
	v_cvt_f32_ubyte0_e32 v1, v1
	v_cvt_f32_ubyte0_e32 v2, v2
	v_cvt_f16_f32_e32 v1, v1
	v_cvt_f16_f32_e32 v2, v2
	v_add_u32_e32 v0, v6, v0
	v_mov_b32_e32 v3, 0x7fc0
	v_pack_b32_f16 v1, v2, v1
	s_waitcnt vmcnt(0)
	v_pk_fma_f16 v2, v9, v1, v9 op_sel:[0,0,1] op_sel_hi:[0,1,1]
	v_cvt_f32_f16_e32 v4, v2
	v_cvt_f32_f16_sdwa v5, v2 dst_sel:DWORD dst_unused:UNUSED_PAD src0_sel:WORD_1
	v_ashrrev_i32_e32 v1, 31, v0
	v_cmp_o_f16_e32 vcc, v2, v2
	v_bfe_u32 v6, v4, 16, 1
	v_bfe_u32 v7, v5, 16, 1
	v_add3_u32 v4, v4, v6, s0
	v_add3_u32 v5, v5, v7, s0
	v_lshrrev_b32_e32 v4, 16, v4
	v_lshl_add_u64 v[0:1], v[0:1], 1, s[2:3]
	v_lshrrev_b32_e32 v5, 16, v5
	v_cndmask_b32_e32 v4, v3, v4, vcc
	v_cmp_o_f16_sdwa vcc, v2, v2 src0_sel:WORD_1 src1_sel:WORD_1
	s_nop 1
	v_cndmask_b32_e32 v2, v3, v5, vcc
	global_store_short v[0:1], v4, off
	global_store_short v[0:1], v2, off offset:32
.LBB41_2:
	s_endpgm
	.section	.rodata,"a",@progbits
	.p2align	6, 0x0
	.amdhsa_kernel _ZL16dequantize_blockILi32ELi2EXadL_ZL15dequantize_q5_1PKviiR7__half2EEN3c108BFloat16EEvS1_PT2_i
		.amdhsa_group_segment_fixed_size 0
		.amdhsa_private_segment_fixed_size 0
		.amdhsa_kernarg_size 280
		.amdhsa_user_sgpr_count 2
		.amdhsa_user_sgpr_dispatch_ptr 0
		.amdhsa_user_sgpr_queue_ptr 0
		.amdhsa_user_sgpr_kernarg_segment_ptr 1
		.amdhsa_user_sgpr_dispatch_id 0
		.amdhsa_user_sgpr_kernarg_preload_length 0
		.amdhsa_user_sgpr_kernarg_preload_offset 0
		.amdhsa_user_sgpr_private_segment_size 0
		.amdhsa_uses_dynamic_stack 0
		.amdhsa_enable_private_segment 0
		.amdhsa_system_sgpr_workgroup_id_x 1
		.amdhsa_system_sgpr_workgroup_id_y 0
		.amdhsa_system_sgpr_workgroup_id_z 0
		.amdhsa_system_sgpr_workgroup_info 0
		.amdhsa_system_vgpr_workitem_id 0
		.amdhsa_next_free_vgpr 10
		.amdhsa_next_free_sgpr 5
		.amdhsa_accum_offset 12
		.amdhsa_reserve_vcc 1
		.amdhsa_float_round_mode_32 0
		.amdhsa_float_round_mode_16_64 0
		.amdhsa_float_denorm_mode_32 3
		.amdhsa_float_denorm_mode_16_64 3
		.amdhsa_dx10_clamp 1
		.amdhsa_ieee_mode 1
		.amdhsa_fp16_overflow 0
		.amdhsa_tg_split 0
		.amdhsa_exception_fp_ieee_invalid_op 0
		.amdhsa_exception_fp_denorm_src 0
		.amdhsa_exception_fp_ieee_div_zero 0
		.amdhsa_exception_fp_ieee_overflow 0
		.amdhsa_exception_fp_ieee_underflow 0
		.amdhsa_exception_fp_ieee_inexact 0
		.amdhsa_exception_int_div_zero 0
	.end_amdhsa_kernel
	.section	.text._ZL16dequantize_blockILi32ELi2EXadL_ZL15dequantize_q5_1PKviiR7__half2EEN3c108BFloat16EEvS1_PT2_i,"axG",@progbits,_ZL16dequantize_blockILi32ELi2EXadL_ZL15dequantize_q5_1PKviiR7__half2EEN3c108BFloat16EEvS1_PT2_i,comdat
.Lfunc_end41:
	.size	_ZL16dequantize_blockILi32ELi2EXadL_ZL15dequantize_q5_1PKviiR7__half2EEN3c108BFloat16EEvS1_PT2_i, .Lfunc_end41-_ZL16dequantize_blockILi32ELi2EXadL_ZL15dequantize_q5_1PKviiR7__half2EEN3c108BFloat16EEvS1_PT2_i
                                        ; -- End function
	.section	.AMDGPU.csdata,"",@progbits
; Kernel info:
; codeLenInByte = 384
; NumSgprs: 11
; NumVgprs: 10
; NumAgprs: 0
; TotalNumVgprs: 10
; ScratchSize: 0
; MemoryBound: 0
; FloatMode: 240
; IeeeMode: 1
; LDSByteSize: 0 bytes/workgroup (compile time only)
; SGPRBlocks: 1
; VGPRBlocks: 1
; NumSGPRsForWavesPerEU: 11
; NumVGPRsForWavesPerEU: 10
; AccumOffset: 12
; Occupancy: 8
; WaveLimiterHint : 0
; COMPUTE_PGM_RSRC2:SCRATCH_EN: 0
; COMPUTE_PGM_RSRC2:USER_SGPR: 2
; COMPUTE_PGM_RSRC2:TRAP_HANDLER: 0
; COMPUTE_PGM_RSRC2:TGID_X_EN: 1
; COMPUTE_PGM_RSRC2:TGID_Y_EN: 0
; COMPUTE_PGM_RSRC2:TGID_Z_EN: 0
; COMPUTE_PGM_RSRC2:TIDIG_COMP_CNT: 0
; COMPUTE_PGM_RSRC3_GFX90A:ACCUM_OFFSET: 2
; COMPUTE_PGM_RSRC3_GFX90A:TG_SPLIT: 0
	.section	.text._ZL16dequantize_blockILi32ELi1EXadL_ZL15dequantize_q8_0PKviiR7__half2EEN3c108BFloat16EEvS1_PT2_i,"axG",@progbits,_ZL16dequantize_blockILi32ELi1EXadL_ZL15dequantize_q8_0PKviiR7__half2EEN3c108BFloat16EEvS1_PT2_i,comdat
	.globl	_ZL16dequantize_blockILi32ELi1EXadL_ZL15dequantize_q8_0PKviiR7__half2EEN3c108BFloat16EEvS1_PT2_i ; -- Begin function _ZL16dequantize_blockILi32ELi1EXadL_ZL15dequantize_q8_0PKviiR7__half2EEN3c108BFloat16EEvS1_PT2_i
	.p2align	8
	.type	_ZL16dequantize_blockILi32ELi1EXadL_ZL15dequantize_q8_0PKviiR7__half2EEN3c108BFloat16EEvS1_PT2_i,@function
_ZL16dequantize_blockILi32ELi1EXadL_ZL15dequantize_q8_0PKviiR7__half2EEN3c108BFloat16EEvS1_PT2_i: ; @_ZL16dequantize_blockILi32ELi1EXadL_ZL15dequantize_q8_0PKviiR7__half2EEN3c108BFloat16EEvS1_PT2_i
; %bb.0:
	s_load_dword s3, s[0:1], 0x24
	s_load_dword s4, s[0:1], 0x10
	s_waitcnt lgkmcnt(0)
	s_and_b32 s3, s3, 0xffff
	s_mul_i32 s2, s2, s3
	v_add_lshl_u32 v0, s2, v0, 1
	v_cmp_gt_i32_e32 vcc, s4, v0
	s_and_saveexec_b64 s[2:3], vcc
	s_cbranch_execz .LBB42_2
; %bb.1:
	s_load_dwordx4 s[0:3], s[0:1], 0x0
	v_ashrrev_i32_e32 v1, 31, v0
	v_lshrrev_b32_e32 v2, 27, v1
	v_add_u32_e32 v2, v0, v2
	v_ashrrev_i32_e32 v3, 5, v2
	v_and_b32_e32 v2, 0xffffffe0, v2
	v_sub_u32_e32 v2, v0, v2
	s_waitcnt lgkmcnt(0)
	v_mad_i64_i32 v[4:5], s[0:1], v3, 34, s[0:1]
	v_ashrrev_i32_e32 v3, 31, v2
	v_lshl_add_u64 v[2:3], v[4:5], 0, v[2:3]
	global_load_ushort v6, v[2:3], off offset:2
	global_load_ushort v7, v[4:5], off
	s_movk_i32 s0, 0x7fff
	v_mov_b32_e32 v5, 0x7fc0
	v_lshl_add_u64 v[0:1], v[0:1], 1, s[2:3]
	s_waitcnt vmcnt(1)
	v_cvt_f16_i16_sdwa v2, sext(v6) dst_sel:DWORD dst_unused:UNUSED_PAD src0_sel:BYTE_0
	v_cvt_f16_i16_sdwa v3, sext(v6) dst_sel:DWORD dst_unused:UNUSED_PAD src0_sel:BYTE_1
	v_pack_b32_f16 v2, v2, v3
	s_waitcnt vmcnt(0)
	v_pk_mul_f16 v2, v7, v2 op_sel_hi:[0,1]
	v_cvt_f32_f16_e32 v3, v2
	v_cvt_f32_f16_sdwa v4, v2 dst_sel:DWORD dst_unused:UNUSED_PAD src0_sel:WORD_1
	v_cmp_o_f16_e32 vcc, v2, v2
	v_bfe_u32 v6, v3, 16, 1
	v_bfe_u32 v7, v4, 16, 1
	v_add3_u32 v3, v3, v6, s0
	v_add3_u32 v4, v4, v7, s0
	v_lshrrev_b32_e32 v3, 16, v3
	v_lshrrev_b32_e32 v4, 16, v4
	v_cndmask_b32_e32 v3, v5, v3, vcc
	v_cmp_o_f16_sdwa vcc, v2, v2 src0_sel:WORD_1 src1_sel:WORD_1
	s_mov_b32 s0, 0x5040100
	s_nop 0
	v_cndmask_b32_e32 v2, v5, v4, vcc
	v_perm_b32 v2, v2, v3, s0
	global_store_dword v[0:1], v2, off
.LBB42_2:
	s_endpgm
	.section	.rodata,"a",@progbits
	.p2align	6, 0x0
	.amdhsa_kernel _ZL16dequantize_blockILi32ELi1EXadL_ZL15dequantize_q8_0PKviiR7__half2EEN3c108BFloat16EEvS1_PT2_i
		.amdhsa_group_segment_fixed_size 0
		.amdhsa_private_segment_fixed_size 0
		.amdhsa_kernarg_size 280
		.amdhsa_user_sgpr_count 2
		.amdhsa_user_sgpr_dispatch_ptr 0
		.amdhsa_user_sgpr_queue_ptr 0
		.amdhsa_user_sgpr_kernarg_segment_ptr 1
		.amdhsa_user_sgpr_dispatch_id 0
		.amdhsa_user_sgpr_kernarg_preload_length 0
		.amdhsa_user_sgpr_kernarg_preload_offset 0
		.amdhsa_user_sgpr_private_segment_size 0
		.amdhsa_uses_dynamic_stack 0
		.amdhsa_enable_private_segment 0
		.amdhsa_system_sgpr_workgroup_id_x 1
		.amdhsa_system_sgpr_workgroup_id_y 0
		.amdhsa_system_sgpr_workgroup_id_z 0
		.amdhsa_system_sgpr_workgroup_info 0
		.amdhsa_system_vgpr_workitem_id 0
		.amdhsa_next_free_vgpr 8
		.amdhsa_next_free_sgpr 5
		.amdhsa_accum_offset 8
		.amdhsa_reserve_vcc 1
		.amdhsa_float_round_mode_32 0
		.amdhsa_float_round_mode_16_64 0
		.amdhsa_float_denorm_mode_32 3
		.amdhsa_float_denorm_mode_16_64 3
		.amdhsa_dx10_clamp 1
		.amdhsa_ieee_mode 1
		.amdhsa_fp16_overflow 0
		.amdhsa_tg_split 0
		.amdhsa_exception_fp_ieee_invalid_op 0
		.amdhsa_exception_fp_denorm_src 0
		.amdhsa_exception_fp_ieee_div_zero 0
		.amdhsa_exception_fp_ieee_overflow 0
		.amdhsa_exception_fp_ieee_underflow 0
		.amdhsa_exception_fp_ieee_inexact 0
		.amdhsa_exception_int_div_zero 0
	.end_amdhsa_kernel
	.section	.text._ZL16dequantize_blockILi32ELi1EXadL_ZL15dequantize_q8_0PKviiR7__half2EEN3c108BFloat16EEvS1_PT2_i,"axG",@progbits,_ZL16dequantize_blockILi32ELi1EXadL_ZL15dequantize_q8_0PKviiR7__half2EEN3c108BFloat16EEvS1_PT2_i,comdat
.Lfunc_end42:
	.size	_ZL16dequantize_blockILi32ELi1EXadL_ZL15dequantize_q8_0PKviiR7__half2EEN3c108BFloat16EEvS1_PT2_i, .Lfunc_end42-_ZL16dequantize_blockILi32ELi1EXadL_ZL15dequantize_q8_0PKviiR7__half2EEN3c108BFloat16EEvS1_PT2_i
                                        ; -- End function
	.section	.AMDGPU.csdata,"",@progbits
; Kernel info:
; codeLenInByte = 292
; NumSgprs: 11
; NumVgprs: 8
; NumAgprs: 0
; TotalNumVgprs: 8
; ScratchSize: 0
; MemoryBound: 0
; FloatMode: 240
; IeeeMode: 1
; LDSByteSize: 0 bytes/workgroup (compile time only)
; SGPRBlocks: 1
; VGPRBlocks: 0
; NumSGPRsForWavesPerEU: 11
; NumVGPRsForWavesPerEU: 8
; AccumOffset: 8
; Occupancy: 8
; WaveLimiterHint : 0
; COMPUTE_PGM_RSRC2:SCRATCH_EN: 0
; COMPUTE_PGM_RSRC2:USER_SGPR: 2
; COMPUTE_PGM_RSRC2:TRAP_HANDLER: 0
; COMPUTE_PGM_RSRC2:TGID_X_EN: 1
; COMPUTE_PGM_RSRC2:TGID_Y_EN: 0
; COMPUTE_PGM_RSRC2:TGID_Z_EN: 0
; COMPUTE_PGM_RSRC2:TIDIG_COMP_CNT: 0
; COMPUTE_PGM_RSRC3_GFX90A:ACCUM_OFFSET: 1
; COMPUTE_PGM_RSRC3_GFX90A:TG_SPLIT: 0
	.section	.text._ZL21dequantize_block_q2_KIN3c108BFloat16EEvPKvPT_,"axG",@progbits,_ZL21dequantize_block_q2_KIN3c108BFloat16EEvPKvPT_,comdat
	.globl	_ZL21dequantize_block_q2_KIN3c108BFloat16EEvPKvPT_ ; -- Begin function _ZL21dequantize_block_q2_KIN3c108BFloat16EEvPKvPT_
	.p2align	8
	.type	_ZL21dequantize_block_q2_KIN3c108BFloat16EEvPKvPT_,@function
_ZL21dequantize_block_q2_KIN3c108BFloat16EEvPKvPT_: ; @_ZL21dequantize_block_q2_KIN3c108BFloat16EEvPKvPT_
; %bb.0:
	s_load_dwordx4 s[4:7], s[0:1], 0x0
	s_mul_i32 s0, s2, 0x54
	v_lshrrev_b32_e32 v2, 5, v0
	v_bfe_u32 v1, v0, 4, 1
	s_mul_hi_u32 s1, s2, 0x54
	s_waitcnt lgkmcnt(0)
	s_add_u32 s0, s4, s0
	v_lshl_or_b32 v1, v2, 3, v1
	s_addc_u32 s1, s5, s1
	global_load_ubyte v4, v1, s[0:1]
	global_load_ubyte v5, v0, s[0:1] offset:16
	global_load_ubyte v6, v1, s[0:1] offset:2
	;; [unrolled: 1-line block ×4, first 2 shown]
	s_load_dword s3, s[0:1], 0x50
	s_mov_b32 s1, 0
	s_lshl_b32 s0, s2, 8
	s_lshl_b64 s[0:1], s[0:1], 1
	s_add_u32 s0, s6, s0
	v_mov_b32_e32 v1, 0
	v_and_b32_e32 v10, 31, v0
	v_lshlrev_b32_e32 v0, 8, v2
	s_addc_u32 s1, s7, s1
	v_lshl_add_u64 v[2:3], s[0:1], 0, v[0:1]
	v_lshlrev_b32_e32 v0, 1, v10
	v_lshl_add_u64 v[0:1], v[2:3], 0, v[0:1]
	s_waitcnt lgkmcnt(0)
	s_lshr_b32 s0, s3, 16
	s_movk_i32 s4, 0x7fff
	v_mov_b32_e32 v9, 0x7fc0
	s_waitcnt vmcnt(4)
	v_and_b32_e32 v2, 15, v4
	s_waitcnt vmcnt(3)
	v_and_b32_e32 v3, 3, v5
	v_lshrrev_b16_e32 v4, 4, v4
	s_waitcnt vmcnt(2)
	v_and_b32_e32 v10, 15, v6
	v_bfe_u32 v11, v5, 2, 2
	v_mul_u32_u24_sdwa v2, v3, v2 dst_sel:DWORD dst_unused:UNUSED_PAD src0_sel:DWORD src1_sel:WORD_0
	s_waitcnt vmcnt(1)
	v_and_b32_e32 v12, 15, v7
	v_bfe_u32 v13, v5, 4, 2
	v_cvt_f16_u16_e32 v3, v4
	v_mul_u32_u24_sdwa v4, v11, v10 dst_sel:DWORD dst_unused:UNUSED_PAD src0_sel:DWORD src1_sel:WORD_0
	v_cvt_f32_ubyte0_e32 v2, v2
	s_waitcnt vmcnt(0)
	v_and_b32_e32 v14, 15, v8
	v_lshrrev_b32_e32 v5, 6, v5
	v_mul_u32_u24_sdwa v10, v13, v12 dst_sel:DWORD dst_unused:UNUSED_PAD src0_sel:DWORD src1_sel:WORD_0
	v_cvt_f32_ubyte0_e32 v4, v4
	v_cvt_f16_f32_e32 v2, v2
	v_mul_u32_u24_sdwa v5, v5, v14 dst_sel:DWORD dst_unused:UNUSED_PAD src0_sel:DWORD src1_sel:WORD_0
	v_cvt_f32_ubyte0_e32 v10, v10
	v_cvt_f16_f32_e32 v4, v4
	v_lshrrev_b16_e32 v6, 4, v6
	v_cvt_f32_ubyte0_e32 v5, v5
	v_cvt_f16_f32_e32 v10, v10
	v_lshrrev_b16_e32 v7, 4, v7
	v_cvt_f16_u16_e32 v6, v6
	v_mul_f16_e32 v3, s0, v3
	v_cvt_f16_f32_e32 v5, v5
	v_lshrrev_b16_e32 v8, 4, v8
	v_cvt_f16_u16_e32 v7, v7
	v_mul_f16_e32 v6, s0, v6
	v_fma_f16 v2, s3, v2, -v3
	v_cvt_f16_u16_e32 v8, v8
	v_mul_f16_e32 v7, s0, v7
	v_fma_f16 v3, s3, v4, -v6
	v_cvt_f32_f16_e32 v6, v2
	v_mul_f16_e32 v8, s0, v8
	v_fma_f16 v4, s3, v10, -v7
	v_cvt_f32_f16_e32 v7, v3
	v_fma_f16 v5, s3, v5, -v8
	v_cvt_f32_f16_e32 v8, v4
	v_cvt_f32_f16_e32 v10, v5
	v_bfe_u32 v11, v6, 16, 1
	v_bfe_u32 v12, v7, 16, 1
	v_add3_u32 v6, v6, v11, s4
	v_bfe_u32 v13, v8, 16, 1
	v_add3_u32 v7, v7, v12, s4
	v_lshrrev_b32_e32 v6, 16, v6
	v_cmp_o_f16_e32 vcc, v2, v2
	v_bfe_u32 v14, v10, 16, 1
	v_add3_u32 v8, v8, v13, s4
	v_lshrrev_b32_e32 v7, 16, v7
	v_cndmask_b32_e32 v2, v9, v6, vcc
	v_cmp_o_f16_e32 vcc, v3, v3
	v_add3_u32 v10, v10, v14, s4
	v_lshrrev_b32_e32 v8, 16, v8
	v_cndmask_b32_e32 v3, v9, v7, vcc
	v_cmp_o_f16_e32 vcc, v4, v4
	v_lshrrev_b32_e32 v10, 16, v10
	s_nop 0
	v_cndmask_b32_e32 v4, v9, v8, vcc
	v_cmp_o_f16_e32 vcc, v5, v5
	s_nop 1
	v_cndmask_b32_e32 v5, v9, v10, vcc
	global_store_short v[0:1], v2, off
	global_store_short v[0:1], v3, off offset:64
	global_store_short v[0:1], v4, off offset:128
	;; [unrolled: 1-line block ×3, first 2 shown]
	s_endpgm
	.section	.rodata,"a",@progbits
	.p2align	6, 0x0
	.amdhsa_kernel _ZL21dequantize_block_q2_KIN3c108BFloat16EEvPKvPT_
		.amdhsa_group_segment_fixed_size 0
		.amdhsa_private_segment_fixed_size 0
		.amdhsa_kernarg_size 16
		.amdhsa_user_sgpr_count 2
		.amdhsa_user_sgpr_dispatch_ptr 0
		.amdhsa_user_sgpr_queue_ptr 0
		.amdhsa_user_sgpr_kernarg_segment_ptr 1
		.amdhsa_user_sgpr_dispatch_id 0
		.amdhsa_user_sgpr_kernarg_preload_length 0
		.amdhsa_user_sgpr_kernarg_preload_offset 0
		.amdhsa_user_sgpr_private_segment_size 0
		.amdhsa_uses_dynamic_stack 0
		.amdhsa_enable_private_segment 0
		.amdhsa_system_sgpr_workgroup_id_x 1
		.amdhsa_system_sgpr_workgroup_id_y 0
		.amdhsa_system_sgpr_workgroup_id_z 0
		.amdhsa_system_sgpr_workgroup_info 0
		.amdhsa_system_vgpr_workitem_id 0
		.amdhsa_next_free_vgpr 15
		.amdhsa_next_free_sgpr 8
		.amdhsa_accum_offset 16
		.amdhsa_reserve_vcc 1
		.amdhsa_float_round_mode_32 0
		.amdhsa_float_round_mode_16_64 0
		.amdhsa_float_denorm_mode_32 3
		.amdhsa_float_denorm_mode_16_64 3
		.amdhsa_dx10_clamp 1
		.amdhsa_ieee_mode 1
		.amdhsa_fp16_overflow 0
		.amdhsa_tg_split 0
		.amdhsa_exception_fp_ieee_invalid_op 0
		.amdhsa_exception_fp_denorm_src 0
		.amdhsa_exception_fp_ieee_div_zero 0
		.amdhsa_exception_fp_ieee_overflow 0
		.amdhsa_exception_fp_ieee_underflow 0
		.amdhsa_exception_fp_ieee_inexact 0
		.amdhsa_exception_int_div_zero 0
	.end_amdhsa_kernel
	.section	.text._ZL21dequantize_block_q2_KIN3c108BFloat16EEvPKvPT_,"axG",@progbits,_ZL21dequantize_block_q2_KIN3c108BFloat16EEvPKvPT_,comdat
.Lfunc_end43:
	.size	_ZL21dequantize_block_q2_KIN3c108BFloat16EEvPKvPT_, .Lfunc_end43-_ZL21dequantize_block_q2_KIN3c108BFloat16EEvPKvPT_
                                        ; -- End function
	.section	.AMDGPU.csdata,"",@progbits
; Kernel info:
; codeLenInByte = 552
; NumSgprs: 14
; NumVgprs: 15
; NumAgprs: 0
; TotalNumVgprs: 15
; ScratchSize: 0
; MemoryBound: 0
; FloatMode: 240
; IeeeMode: 1
; LDSByteSize: 0 bytes/workgroup (compile time only)
; SGPRBlocks: 1
; VGPRBlocks: 1
; NumSGPRsForWavesPerEU: 14
; NumVGPRsForWavesPerEU: 15
; AccumOffset: 16
; Occupancy: 8
; WaveLimiterHint : 0
; COMPUTE_PGM_RSRC2:SCRATCH_EN: 0
; COMPUTE_PGM_RSRC2:USER_SGPR: 2
; COMPUTE_PGM_RSRC2:TRAP_HANDLER: 0
; COMPUTE_PGM_RSRC2:TGID_X_EN: 1
; COMPUTE_PGM_RSRC2:TGID_Y_EN: 0
; COMPUTE_PGM_RSRC2:TGID_Z_EN: 0
; COMPUTE_PGM_RSRC2:TIDIG_COMP_CNT: 0
; COMPUTE_PGM_RSRC3_GFX90A:ACCUM_OFFSET: 3
; COMPUTE_PGM_RSRC3_GFX90A:TG_SPLIT: 0
	.section	.text._ZL21dequantize_block_q3_KIN3c108BFloat16EEvPKvPT_,"axG",@progbits,_ZL21dequantize_block_q3_KIN3c108BFloat16EEvPKvPT_,comdat
	.globl	_ZL21dequantize_block_q3_KIN3c108BFloat16EEvPKvPT_ ; -- Begin function _ZL21dequantize_block_q3_KIN3c108BFloat16EEvPKvPT_
	.p2align	8
	.type	_ZL21dequantize_block_q3_KIN3c108BFloat16EEvPKvPT_,@function
_ZL21dequantize_block_q3_KIN3c108BFloat16EEvPKvPT_: ; @_ZL21dequantize_block_q3_KIN3c108BFloat16EEvPKvPT_
; %bb.0:
	v_lshrrev_b32_e32 v8, 5, v0
	v_lshrrev_b32_e32 v6, 3, v0
	v_lshlrev_b32_e32 v1, 2, v8
	s_load_dwordx4 s[4:7], s[0:1], 0x0
	v_sub_u32_e32 v7, v6, v1
	v_lshlrev_b32_e32 v1, 1, v7
	v_bfe_u32 v9, v0, 2, 1
	v_lshl_add_u32 v11, v8, 3, v1
	v_or_b32_e32 v2, v11, v9
	v_cmp_lt_i32_e32 vcc, 3, v2
                                        ; implicit-def: $vgpr4_vgpr5
                                        ; implicit-def: $vgpr3
                                        ; implicit-def: $vgpr10
	s_and_saveexec_b64 s[0:1], vcc
	s_xor_b64 s[0:1], exec, s[0:1]
	s_cbranch_execz .LBB44_10
; %bb.1:
	v_cmp_lt_u32_e32 vcc, 7, v11
                                        ; implicit-def: $vgpr4_vgpr5
                                        ; implicit-def: $vgpr3
                                        ; implicit-def: $vgpr10
	s_and_saveexec_b64 s[8:9], vcc
	s_xor_b64 s[8:9], exec, s[8:9]
	s_cbranch_execz .LBB44_7
; %bb.2:
	s_mul_i32 s13, s2, 0x6e
	s_mul_hi_u32 s12, s2, 0x6e
	s_waitcnt lgkmcnt(0)
	s_add_u32 s10, s4, s13
	v_add_u32_e32 v3, -8, v2
	s_addc_u32 s11, s5, s12
	global_load_ubyte v3, v3, s[10:11] offset:96
	v_cmp_lt_u32_e32 vcc, 11, v11
	s_mov_b32 s3, 0
                                        ; implicit-def: $vgpr10
	s_waitcnt vmcnt(0)
	v_lshrrev_b16_e32 v3, 4, v3
	s_and_saveexec_b64 s[10:11], vcc
	s_xor_b64 s[10:11], exec, s[10:11]
	s_cbranch_execz .LBB44_4
; %bb.3:
	s_add_u32 s14, s4, s13
	v_add_u32_e32 v2, -4, v2
	s_addc_u32 s15, s5, s12
	global_load_ubyte v2, v2, s[14:15] offset:96
	s_waitcnt vmcnt(0)
	v_lshrrev_b16_e32 v10, 2, v2
                                        ; implicit-def: $vgpr2
.LBB44_4:
	s_or_saveexec_b64 s[10:11], s[10:11]
	v_mov_b64_e32 v[4:5], s[2:3]
	s_xor_b64 exec, exec, s[10:11]
	s_cbranch_execz .LBB44_6
; %bb.5:
	s_add_u32 s14, s4, s13
	s_addc_u32 s15, s5, s12
	global_load_ubyte v10, v2, s[14:15] offset:96
	v_mov_b64_e32 v[4:5], s[2:3]
.LBB44_6:
	s_or_b64 exec, exec, s[10:11]
                                        ; implicit-def: $vgpr2
.LBB44_7:
	s_andn2_saveexec_b64 s[8:9], s[8:9]
	s_cbranch_execz .LBB44_9
; %bb.8:
	s_mul_i32 s10, s2, 0x6e
	s_mul_hi_u32 s3, s2, 0x6e
	s_waitcnt lgkmcnt(0)
	s_add_u32 s10, s4, s10
	s_addc_u32 s11, s5, s3
	global_load_ubyte v3, v2, s[10:11] offset:96
	global_load_ubyte v4, v2, s[10:11] offset:100
	s_mov_b32 s3, 0
	s_waitcnt vmcnt(1)
	v_and_b32_e32 v3, 15, v3
	s_waitcnt vmcnt(0)
	v_lshlrev_b16_e32 v10, 2, v4
	v_mov_b64_e32 v[4:5], s[2:3]
.LBB44_9:
	s_or_b64 exec, exec, s[8:9]
                                        ; implicit-def: $vgpr2
.LBB44_10:
	s_andn2_saveexec_b64 s[0:1], s[0:1]
	s_cbranch_execz .LBB44_12
; %bb.11:
	s_mul_i32 s8, s2, 0x6e
	s_mul_hi_u32 s3, s2, 0x6e
	s_waitcnt lgkmcnt(0)
	s_add_u32 s8, s4, s8
	v_ashrrev_i32_e32 v3, 31, v2
	s_addc_u32 s9, s5, s3
	v_lshl_add_u64 v[2:3], s[8:9], 0, v[2:3]
	global_load_ubyte v4, v[2:3], off offset:96
	global_load_ubyte v5, v[2:3], off offset:104
	s_mov_b32 s3, 0
	s_waitcnt vmcnt(1)
	v_and_b32_e32 v3, 15, v4
	s_waitcnt vmcnt(0)
	v_lshlrev_b16_e32 v10, 4, v5
	v_mov_b64_e32 v[4:5], s[2:3]
.LBB44_12:
	s_or_b64 exec, exec, s[0:1]
	v_lshlrev_b32_e32 v2, 2, v0
	s_movk_i32 s3, 0x6e
	s_waitcnt lgkmcnt(0)
	v_mov_b64_e32 v[14:15], s[4:5]
	v_and_b32_e32 v2, 12, v2
	v_mad_u64_u32 v[14:15], s[0:1], v4, s3, v[14:15]
	v_lshl_or_b32 v12, v9, 4, v2
	v_mov_b32_e32 v2, v15
	v_mad_u64_u32 v[4:5], s[0:1], v5, s3, v[2:3]
	s_lshl_b32 s0, s2, 8
	s_mov_b32 s1, 0
	s_lshl_b64 s[0:1], s[0:1], 1
	s_add_u32 s0, s6, s0
	v_mov_b32_e32 v5, 0
	v_mov_b32_e32 v15, v4
	s_addc_u32 s1, s7, s1
	v_lshlrev_b32_e32 v4, 8, v8
	v_mov_b32_e32 v13, v5
	v_lshl_add_u64 v[8:9], s[0:1], 0, v[4:5]
	v_and_b32_e32 v4, 0x3e0, v0
	v_lshl_add_u64 v[16:17], v[14:15], 0, v[12:13]
	v_lshl_add_u64 v[18:19], v[16:17], 0, v[4:5]
	global_load_dword v0, v[18:19], off offset:32
	global_load_dword v11, v[16:17], off
	global_load_ushort v13, v[14:15], off offset:108
	s_waitcnt vmcnt(3)
	v_and_b32_e32 v4, 48, v10
	v_mov_b32_e32 v10, 32
	v_or_b32_e32 v3, v4, v3
	v_sub_u32_sdwa v3, v3, v10 dst_sel:DWORD dst_unused:UNUSED_PAD src0_sel:BYTE_0 src1_sel:DWORD
	v_cvt_f32_i32_e32 v10, v3
	v_lshlrev_b32_e32 v2, 5, v7
	v_lshlrev_b32_e64 v6, v6, 1
	v_ashrrev_i32_e32 v3, 31, v2
	v_lshl_add_u64 v[2:3], v[2:3], 1, v[8:9]
	v_lshlrev_b32_e32 v4, 1, v12
	v_cvt_f16_f32_e32 v8, v10
	s_movk_i32 s2, 0x7fff
	v_mov_b32_e32 v7, 0x7fc0
	s_mov_b32 s3, 0x5040100
	s_waitcnt vmcnt(2)
	v_lshrrev_b32_sdwa v9, v1, v0 dst_sel:DWORD dst_unused:UNUSED_PAD src0_sel:DWORD src1_sel:BYTE_0
	v_lshrrev_b32_sdwa v10, v1, v0 dst_sel:DWORD dst_unused:UNUSED_PAD src0_sel:DWORD src1_sel:BYTE_1
	v_lshrrev_b32_sdwa v12, v1, v0 dst_sel:DWORD dst_unused:UNUSED_PAD src0_sel:DWORD src1_sel:BYTE_3
	v_lshrrev_b32_sdwa v0, v1, v0 dst_sel:DWORD dst_unused:UNUSED_PAD src0_sel:DWORD src1_sel:BYTE_2
	s_waitcnt vmcnt(1)
	v_and_b32_e32 v1, v11, v6
	v_and_b32_sdwa v14, v11, v6 dst_sel:DWORD dst_unused:UNUSED_PAD src0_sel:WORD_1 src1_sel:DWORD
	v_and_b32_sdwa v15, v6, v11 dst_sel:DWORD dst_unused:UNUSED_PAD src0_sel:DWORD src1_sel:BYTE_3
	v_and_b32_sdwa v6, v6, v11 dst_sel:DWORD dst_unused:UNUSED_PAD src0_sel:DWORD src1_sel:BYTE_1
	v_cmp_ne_u32_sdwa s[0:1], v1, v5 src0_sel:BYTE_0 src1_sel:DWORD
	v_cmp_ne_u32_e32 vcc, 0, v6
	s_nop 0
	v_cndmask_b32_e64 v1, -4, 0, s[0:1]
	v_cndmask_b32_e64 v6, -4, 0, vcc
	v_cmp_ne_u32_e32 vcc, 0, v15
	v_cmp_ne_u32_sdwa s[0:1], v14, v5 src0_sel:BYTE_0 src1_sel:DWORD
	v_and_or_b32 v6, v10, 3, v6
	v_cndmask_b32_e64 v11, -4, 0, vcc
	v_cndmask_b32_e64 v14, -4, 0, s[0:1]
	v_and_or_b32 v0, v0, 3, v14
	v_and_or_b32 v11, v12, 3, v11
	;; [unrolled: 1-line block ×3, first 2 shown]
	v_cvt_f32_i32_e32 v9, v11
	v_cvt_f32_i32_e32 v0, v0
	;; [unrolled: 1-line block ×4, first 2 shown]
	v_cvt_f16_f32_e32 v9, v9
	v_cvt_f16_f32_e32 v11, v0
	;; [unrolled: 1-line block ×4, first 2 shown]
	v_lshl_add_u64 v[0:1], v[2:3], 0, v[4:5]
	s_waitcnt vmcnt(0)
	v_mul_f16_e32 v2, v13, v8
	v_pack_b32_f16 v3, v11, v9
	v_pack_b32_f16 v4, v10, v6
	v_pk_mul_f16 v3, v2, v3 op_sel_hi:[0,1]
	v_pk_mul_f16 v2, v2, v4 op_sel_hi:[0,1]
	v_cvt_f32_f16_e32 v4, v3
	v_cvt_f32_f16_sdwa v5, v3 dst_sel:DWORD dst_unused:UNUSED_PAD src0_sel:WORD_1
	v_cvt_f32_f16_e32 v6, v2
	v_cvt_f32_f16_sdwa v8, v2 dst_sel:DWORD dst_unused:UNUSED_PAD src0_sel:WORD_1
	v_bfe_u32 v9, v4, 16, 1
	v_bfe_u32 v10, v5, 16, 1
	v_add3_u32 v4, v4, v9, s2
	v_bfe_u32 v11, v6, 16, 1
	v_add3_u32 v5, v5, v10, s2
	v_lshrrev_b32_e32 v4, 16, v4
	v_cmp_o_f16_e32 vcc, v3, v3
	v_bfe_u32 v12, v8, 16, 1
	v_add3_u32 v6, v6, v11, s2
	v_lshrrev_b32_e32 v5, 16, v5
	v_cndmask_b32_e32 v4, v7, v4, vcc
	v_cmp_o_f16_sdwa vcc, v3, v3 src0_sel:WORD_1 src1_sel:WORD_1
	v_add3_u32 v8, v8, v12, s2
	v_lshrrev_b32_e32 v6, 16, v6
	v_cndmask_b32_e32 v3, v7, v5, vcc
	v_cmp_o_f16_e32 vcc, v2, v2
	v_lshrrev_b32_e32 v8, 16, v8
	v_perm_b32 v3, v3, v4, s3
	v_cndmask_b32_e32 v5, v7, v6, vcc
	v_cmp_o_f16_sdwa vcc, v2, v2 src0_sel:WORD_1 src1_sel:WORD_1
	s_nop 1
	v_cndmask_b32_e32 v2, v7, v8, vcc
	v_perm_b32 v2, v2, v5, s3
	global_store_dwordx2 v[0:1], v[2:3], off
	s_endpgm
	.section	.rodata,"a",@progbits
	.p2align	6, 0x0
	.amdhsa_kernel _ZL21dequantize_block_q3_KIN3c108BFloat16EEvPKvPT_
		.amdhsa_group_segment_fixed_size 0
		.amdhsa_private_segment_fixed_size 0
		.amdhsa_kernarg_size 16
		.amdhsa_user_sgpr_count 2
		.amdhsa_user_sgpr_dispatch_ptr 0
		.amdhsa_user_sgpr_queue_ptr 0
		.amdhsa_user_sgpr_kernarg_segment_ptr 1
		.amdhsa_user_sgpr_dispatch_id 0
		.amdhsa_user_sgpr_kernarg_preload_length 0
		.amdhsa_user_sgpr_kernarg_preload_offset 0
		.amdhsa_user_sgpr_private_segment_size 0
		.amdhsa_uses_dynamic_stack 0
		.amdhsa_enable_private_segment 0
		.amdhsa_system_sgpr_workgroup_id_x 1
		.amdhsa_system_sgpr_workgroup_id_y 0
		.amdhsa_system_sgpr_workgroup_id_z 0
		.amdhsa_system_sgpr_workgroup_info 0
		.amdhsa_system_vgpr_workitem_id 0
		.amdhsa_next_free_vgpr 20
		.amdhsa_next_free_sgpr 16
		.amdhsa_accum_offset 20
		.amdhsa_reserve_vcc 1
		.amdhsa_float_round_mode_32 0
		.amdhsa_float_round_mode_16_64 0
		.amdhsa_float_denorm_mode_32 3
		.amdhsa_float_denorm_mode_16_64 3
		.amdhsa_dx10_clamp 1
		.amdhsa_ieee_mode 1
		.amdhsa_fp16_overflow 0
		.amdhsa_tg_split 0
		.amdhsa_exception_fp_ieee_invalid_op 0
		.amdhsa_exception_fp_denorm_src 0
		.amdhsa_exception_fp_ieee_div_zero 0
		.amdhsa_exception_fp_ieee_overflow 0
		.amdhsa_exception_fp_ieee_underflow 0
		.amdhsa_exception_fp_ieee_inexact 0
		.amdhsa_exception_int_div_zero 0
	.end_amdhsa_kernel
	.section	.text._ZL21dequantize_block_q3_KIN3c108BFloat16EEvPKvPT_,"axG",@progbits,_ZL21dequantize_block_q3_KIN3c108BFloat16EEvPKvPT_,comdat
.Lfunc_end44:
	.size	_ZL21dequantize_block_q3_KIN3c108BFloat16EEvPKvPT_, .Lfunc_end44-_ZL21dequantize_block_q3_KIN3c108BFloat16EEvPKvPT_
                                        ; -- End function
	.section	.AMDGPU.csdata,"",@progbits
; Kernel info:
; codeLenInByte = 1024
; NumSgprs: 22
; NumVgprs: 20
; NumAgprs: 0
; TotalNumVgprs: 20
; ScratchSize: 0
; MemoryBound: 0
; FloatMode: 240
; IeeeMode: 1
; LDSByteSize: 0 bytes/workgroup (compile time only)
; SGPRBlocks: 2
; VGPRBlocks: 2
; NumSGPRsForWavesPerEU: 22
; NumVGPRsForWavesPerEU: 20
; AccumOffset: 20
; Occupancy: 8
; WaveLimiterHint : 0
; COMPUTE_PGM_RSRC2:SCRATCH_EN: 0
; COMPUTE_PGM_RSRC2:USER_SGPR: 2
; COMPUTE_PGM_RSRC2:TRAP_HANDLER: 0
; COMPUTE_PGM_RSRC2:TGID_X_EN: 1
; COMPUTE_PGM_RSRC2:TGID_Y_EN: 0
; COMPUTE_PGM_RSRC2:TGID_Z_EN: 0
; COMPUTE_PGM_RSRC2:TIDIG_COMP_CNT: 0
; COMPUTE_PGM_RSRC3_GFX90A:ACCUM_OFFSET: 4
; COMPUTE_PGM_RSRC3_GFX90A:TG_SPLIT: 0
	.section	.text._ZL21dequantize_block_q4_KIN3c108BFloat16EEvPKvPT_,"axG",@progbits,_ZL21dequantize_block_q4_KIN3c108BFloat16EEvPKvPT_,comdat
	.globl	_ZL21dequantize_block_q4_KIN3c108BFloat16EEvPKvPT_ ; -- Begin function _ZL21dequantize_block_q4_KIN3c108BFloat16EEvPKvPT_
	.p2align	8
	.type	_ZL21dequantize_block_q4_KIN3c108BFloat16EEvPKvPT_,@function
_ZL21dequantize_block_q4_KIN3c108BFloat16EEvPKvPT_: ; @_ZL21dequantize_block_q4_KIN3c108BFloat16EEvPKvPT_
; %bb.0:
	s_load_dwordx2 s[4:5], s[0:1], 0x0
	s_mul_i32 s6, s2, 0x90
	v_lshrrev_b32_e32 v1, 3, v0
	s_mul_hi_u32 s3, s2, 0x90
	v_lshlrev_b32_e32 v2, 1, v1
	s_waitcnt lgkmcnt(0)
	s_add_u32 s6, s4, s6
	s_addc_u32 s7, s5, s3
	v_mov_b32_e32 v3, 0
	v_cmp_lt_u32_e32 vcc, 15, v0
	v_lshl_add_u64 v[4:5], s[6:7], 0, v[2:3]
                                        ; implicit-def: $vgpr7
                                        ; implicit-def: $vgpr6
	s_and_saveexec_b64 s[4:5], vcc
	s_xor_b64 s[4:5], exec, s[4:5]
	s_cbranch_execz .LBB45_2
; %bb.1:
	global_load_ubyte v6, v[4:5], off offset:8
	global_load_ubyte v7, v[4:5], off
	global_load_ubyte v8, v[4:5], off offset:4
	s_waitcnt vmcnt(2)
	v_and_b32_e32 v4, 15, v6
	s_waitcnt vmcnt(1)
	v_lshrrev_b16_e32 v5, 2, v7
	v_lshrrev_b16_e32 v7, 4, v6
	s_waitcnt vmcnt(0)
	v_lshrrev_b16_e32 v6, 2, v8
	v_and_b32_e32 v5, 48, v5
	v_and_b32_e32 v8, 48, v6
	v_or_b32_e32 v6, v5, v4
	v_or_b32_e32 v7, v8, v7
                                        ; implicit-def: $vgpr4_vgpr5
.LBB45_2:
	s_andn2_saveexec_b64 s[4:5], s[4:5]
	s_cbranch_execz .LBB45_4
; %bb.3:
	global_load_ubyte v6, v[4:5], off offset:4
	global_load_ubyte v7, v[4:5], off offset:8
	s_waitcnt vmcnt(1)
	v_and_b32_e32 v6, 63, v6
	s_waitcnt vmcnt(0)
	v_and_b32_e32 v7, 63, v7
.LBB45_4:
	s_or_b64 exec, exec, s[4:5]
	s_load_dwordx2 s[4:5], s[0:1], 0x8
	s_load_dword s3, s[6:7], 0x0
	s_add_u32 s0, s6, 4
	s_addc_u32 s1, s7, 0
	v_lshl_add_u64 v[2:3], s[0:1], 0, v[2:3]
                                        ; implicit-def: $vgpr5
                                        ; implicit-def: $vgpr4
	s_and_saveexec_b64 s[0:1], vcc
	s_xor_b64 s[0:1], exec, s[0:1]
	s_cbranch_execz .LBB45_6
; %bb.5:
	global_load_ubyte v4, v[2:3], off offset:5
	global_load_ubyte v5, v[2:3], off offset:-3
	global_load_ubyte v8, v[2:3], off offset:1
	s_waitcnt vmcnt(2)
	v_and_b32_e32 v2, 15, v4
	s_waitcnt vmcnt(1)
	v_lshrrev_b16_e32 v3, 2, v5
	v_lshrrev_b16_e32 v5, 4, v4
	s_waitcnt vmcnt(0)
	v_lshrrev_b16_e32 v4, 2, v8
	v_and_b32_e32 v3, 48, v3
	v_and_b32_e32 v8, 48, v4
	v_or_b32_e32 v4, v3, v2
	v_or_b32_e32 v5, v8, v5
                                        ; implicit-def: $vgpr2_vgpr3
.LBB45_6:
	s_andn2_saveexec_b64 s[0:1], s[0:1]
	s_cbranch_execz .LBB45_8
; %bb.7:
	global_load_ubyte v4, v[2:3], off offset:1
	global_load_ubyte v5, v[2:3], off offset:5
	s_waitcnt vmcnt(1)
	v_and_b32_e32 v4, 63, v4
	s_waitcnt vmcnt(0)
	v_and_b32_e32 v5, 63, v5
.LBB45_8:
	s_or_b64 exec, exec, s[0:1]
	v_lshlrev_b32_e32 v2, 5, v1
	v_mov_b32_e32 v3, 0
	v_lshlrev_b32_e32 v0, 2, v0
	v_lshl_add_u64 v[8:9], s[6:7], 0, v[2:3]
	v_and_b32_e32 v2, 28, v0
	v_lshl_add_u64 v[8:9], v[8:9], 0, v[2:3]
	global_load_dword v8, v[8:9], off offset:16
	s_mov_b32 s1, 0
	s_lshl_b32 s0, s2, 8
	s_waitcnt lgkmcnt(0)
	s_lshr_b32 s6, s3, 16
	s_lshl_b64 s[0:1], s[0:1], 1
	s_add_u32 s0, s4, s0
	v_lshlrev_b32_e32 v0, 7, v1
	v_mov_b32_e32 v1, v3
	s_addc_u32 s1, s5, s1
	v_mov_b32_e32 v10, 15
	v_lshlrev_b32_e32 v2, 1, v2
	v_lshl_add_u64 v[0:1], s[0:1], 0, v[0:1]
	v_mov_b32_e32 v11, 4
	v_lshl_add_u64 v[0:1], v[0:1], 0, v[2:3]
	v_cvt_f16_u16_sdwa v7, v7 dst_sel:DWORD dst_unused:UNUSED_PAD src0_sel:BYTE_0
	v_cvt_f16_u16_sdwa v6, v6 dst_sel:DWORD dst_unused:UNUSED_PAD src0_sel:BYTE_0
	v_mul_f16_e32 v7, s6, v7
	v_mul_f16_e32 v6, s3, v6
	v_cvt_f16_u16_sdwa v4, v4 dst_sel:DWORD dst_unused:UNUSED_PAD src0_sel:BYTE_0
	v_cvt_f16_u16_sdwa v5, v5 dst_sel:DWORD dst_unused:UNUSED_PAD src0_sel:BYTE_0
	v_mul_f16_e32 v4, s3, v4
	v_mul_f16_e32 v5, s6, v5
	s_movk_i32 s2, 0x7fff
	v_mov_b32_e32 v9, 0x7fc0
	s_mov_b32 s7, 0x5040100
	s_waitcnt vmcnt(0)
	v_lshrrev_b32_e32 v2, 8, v8
	v_and_b32_sdwa v13, v8, v10 dst_sel:DWORD dst_unused:UNUSED_PAD src0_sel:WORD_1 src1_sel:DWORD
	v_and_b32_sdwa v10, v8, v10 dst_sel:DWORD dst_unused:UNUSED_PAD src0_sel:BYTE_3 src1_sel:DWORD
	v_and_b32_e32 v3, 15, v8
	v_lshrrev_b16_e32 v12, 4, v8
	v_lshrrev_b32_e32 v14, 20, v8
	v_lshrrev_b16_sdwa v8, v11, v8 dst_sel:DWORD dst_unused:UNUSED_PAD src0_sel:DWORD src1_sel:BYTE_3
	v_and_b32_e32 v11, 15, v2
	v_cvt_f16_u16_e32 v10, v10
	v_cvt_f16_u16_e32 v13, v13
	;; [unrolled: 1-line block ×4, first 2 shown]
	v_pack_b32_f16 v10, v13, v10
	v_lshrrev_b16_e32 v2, 4, v2
	v_pack_b32_f16 v3, v3, v11
	v_pk_fma_f16 v10, v6, v10, v7 op_sel_hi:[0,1,0] neg_lo:[0,0,1] neg_hi:[0,0,1]
	v_and_b32_e32 v12, 15, v12
	v_and_b32_e32 v2, 15, v2
	v_pk_fma_f16 v3, v6, v3, v7 op_sel_hi:[0,1,0] neg_lo:[0,0,1] neg_hi:[0,0,1]
	v_cvt_f32_f16_e32 v7, v10
	v_cvt_f16_u16_e32 v12, v12
	v_cvt_f16_u16_e32 v2, v2
	v_cvt_f32_f16_sdwa v6, v10 dst_sel:DWORD dst_unused:UNUSED_PAD src0_sel:WORD_1
	v_and_b32_e32 v14, 15, v14
	v_pack_b32_f16 v2, v12, v2
	v_cvt_f32_f16_e32 v12, v3
	v_cvt_f16_u16_e32 v8, v8
	v_cvt_f16_u16_e32 v13, v14
	v_cvt_f32_f16_sdwa v11, v3 dst_sel:DWORD dst_unused:UNUSED_PAD src0_sel:WORD_1
	v_pk_fma_f16 v2, v4, v2, v5 op_sel_hi:[0,1,0] neg_lo:[0,0,1] neg_hi:[0,0,1]
	v_pack_b32_f16 v8, v13, v8
	v_cvt_f32_f16_e32 v13, v2
	v_bfe_u32 v14, v7, 16, 1
	v_bfe_u32 v15, v6, 16, 1
	v_add3_u32 v7, v7, v14, s2
	v_bfe_u32 v16, v12, 16, 1
	v_add3_u32 v6, v6, v15, s2
	v_lshrrev_b32_e32 v7, 16, v7
	v_cmp_o_f16_e32 vcc, v10, v10
	v_pk_fma_f16 v8, v4, v8, v5 op_sel_hi:[0,1,0] neg_lo:[0,0,1] neg_hi:[0,0,1]
	v_cvt_f32_f16_sdwa v5, v2 dst_sel:DWORD dst_unused:UNUSED_PAD src0_sel:WORD_1
	v_bfe_u32 v17, v11, 16, 1
	v_add3_u32 v12, v12, v16, s2
	v_lshrrev_b32_e32 v6, 16, v6
	v_cndmask_b32_e32 v7, v9, v7, vcc
	v_cmp_o_f16_sdwa vcc, v10, v10 src0_sel:WORD_1 src1_sel:WORD_1
	v_cvt_f32_f16_e32 v4, v8
	v_add3_u32 v11, v11, v17, s2
	v_bfe_u32 v14, v13, 16, 1
	v_lshrrev_b32_e32 v12, 16, v12
	v_cndmask_b32_e32 v6, v9, v6, vcc
	v_cmp_o_f16_e32 vcc, v3, v3
	v_lshrrev_b32_e32 v11, 16, v11
	v_add3_u32 v13, v13, v14, s2
	v_cndmask_b32_e32 v10, v9, v12, vcc
	v_cmp_o_f16_sdwa vcc, v3, v3 src0_sel:WORD_1 src1_sel:WORD_1
	v_perm_b32 v3, v6, v7, s7
	v_cvt_f32_f16_sdwa v7, v8 dst_sel:DWORD dst_unused:UNUSED_PAD src0_sel:WORD_1
	v_cndmask_b32_e32 v11, v9, v11, vcc
	v_lshrrev_b32_e32 v12, 16, v13
	v_cmp_o_f16_e32 vcc, v2, v2
	v_bfe_u32 v15, v5, 16, 1
	v_add3_u32 v5, v5, v15, s2
	v_cndmask_b32_e32 v6, v9, v12, vcc
	v_cmp_o_f16_sdwa vcc, v2, v2 src0_sel:WORD_1 src1_sel:WORD_1
	v_perm_b32 v2, v11, v10, s7
	global_store_dwordx2 v[0:1], v[2:3], off
	v_bfe_u32 v2, v4, 16, 1
	v_lshrrev_b32_e32 v5, 16, v5
	v_bfe_u32 v3, v7, 16, 1
	v_add3_u32 v2, v4, v2, s2
	v_cndmask_b32_e32 v5, v9, v5, vcc
	v_add3_u32 v3, v7, v3, s2
	v_lshrrev_b32_e32 v2, 16, v2
	v_cmp_o_f16_e32 vcc, v8, v8
	v_lshrrev_b32_e32 v3, 16, v3
	s_nop 0
	v_cndmask_b32_e32 v2, v9, v2, vcc
	v_cmp_o_f16_sdwa vcc, v8, v8 src0_sel:WORD_1 src1_sel:WORD_1
	s_nop 1
	v_cndmask_b32_e32 v3, v9, v3, vcc
	v_perm_b32 v3, v3, v2, s7
	v_perm_b32 v2, v5, v6, s7
	global_store_dwordx2 v[0:1], v[2:3], off offset:64
	s_endpgm
	.section	.rodata,"a",@progbits
	.p2align	6, 0x0
	.amdhsa_kernel _ZL21dequantize_block_q4_KIN3c108BFloat16EEvPKvPT_
		.amdhsa_group_segment_fixed_size 0
		.amdhsa_private_segment_fixed_size 0
		.amdhsa_kernarg_size 16
		.amdhsa_user_sgpr_count 2
		.amdhsa_user_sgpr_dispatch_ptr 0
		.amdhsa_user_sgpr_queue_ptr 0
		.amdhsa_user_sgpr_kernarg_segment_ptr 1
		.amdhsa_user_sgpr_dispatch_id 0
		.amdhsa_user_sgpr_kernarg_preload_length 0
		.amdhsa_user_sgpr_kernarg_preload_offset 0
		.amdhsa_user_sgpr_private_segment_size 0
		.amdhsa_uses_dynamic_stack 0
		.amdhsa_enable_private_segment 0
		.amdhsa_system_sgpr_workgroup_id_x 1
		.amdhsa_system_sgpr_workgroup_id_y 0
		.amdhsa_system_sgpr_workgroup_id_z 0
		.amdhsa_system_sgpr_workgroup_info 0
		.amdhsa_system_vgpr_workitem_id 0
		.amdhsa_next_free_vgpr 18
		.amdhsa_next_free_sgpr 8
		.amdhsa_accum_offset 20
		.amdhsa_reserve_vcc 1
		.amdhsa_float_round_mode_32 0
		.amdhsa_float_round_mode_16_64 0
		.amdhsa_float_denorm_mode_32 3
		.amdhsa_float_denorm_mode_16_64 3
		.amdhsa_dx10_clamp 1
		.amdhsa_ieee_mode 1
		.amdhsa_fp16_overflow 0
		.amdhsa_tg_split 0
		.amdhsa_exception_fp_ieee_invalid_op 0
		.amdhsa_exception_fp_denorm_src 0
		.amdhsa_exception_fp_ieee_div_zero 0
		.amdhsa_exception_fp_ieee_overflow 0
		.amdhsa_exception_fp_ieee_underflow 0
		.amdhsa_exception_fp_ieee_inexact 0
		.amdhsa_exception_int_div_zero 0
	.end_amdhsa_kernel
	.section	.text._ZL21dequantize_block_q4_KIN3c108BFloat16EEvPKvPT_,"axG",@progbits,_ZL21dequantize_block_q4_KIN3c108BFloat16EEvPKvPT_,comdat
.Lfunc_end45:
	.size	_ZL21dequantize_block_q4_KIN3c108BFloat16EEvPKvPT_, .Lfunc_end45-_ZL21dequantize_block_q4_KIN3c108BFloat16EEvPKvPT_
                                        ; -- End function
	.section	.AMDGPU.csdata,"",@progbits
; Kernel info:
; codeLenInByte = 1020
; NumSgprs: 14
; NumVgprs: 18
; NumAgprs: 0
; TotalNumVgprs: 18
; ScratchSize: 0
; MemoryBound: 0
; FloatMode: 240
; IeeeMode: 1
; LDSByteSize: 0 bytes/workgroup (compile time only)
; SGPRBlocks: 1
; VGPRBlocks: 2
; NumSGPRsForWavesPerEU: 14
; NumVGPRsForWavesPerEU: 18
; AccumOffset: 20
; Occupancy: 8
; WaveLimiterHint : 0
; COMPUTE_PGM_RSRC2:SCRATCH_EN: 0
; COMPUTE_PGM_RSRC2:USER_SGPR: 2
; COMPUTE_PGM_RSRC2:TRAP_HANDLER: 0
; COMPUTE_PGM_RSRC2:TGID_X_EN: 1
; COMPUTE_PGM_RSRC2:TGID_Y_EN: 0
; COMPUTE_PGM_RSRC2:TGID_Z_EN: 0
; COMPUTE_PGM_RSRC2:TIDIG_COMP_CNT: 0
; COMPUTE_PGM_RSRC3_GFX90A:ACCUM_OFFSET: 4
; COMPUTE_PGM_RSRC3_GFX90A:TG_SPLIT: 0
	.section	.text._ZL21dequantize_block_q5_KIN3c108BFloat16EEvPKvPT_,"axG",@progbits,_ZL21dequantize_block_q5_KIN3c108BFloat16EEvPKvPT_,comdat
	.globl	_ZL21dequantize_block_q5_KIN3c108BFloat16EEvPKvPT_ ; -- Begin function _ZL21dequantize_block_q5_KIN3c108BFloat16EEvPKvPT_
	.p2align	8
	.type	_ZL21dequantize_block_q5_KIN3c108BFloat16EEvPKvPT_,@function
_ZL21dequantize_block_q5_KIN3c108BFloat16EEvPKvPT_: ; @_ZL21dequantize_block_q5_KIN3c108BFloat16EEvPKvPT_
; %bb.0:
	s_load_dwordx2 s[4:5], s[0:1], 0x0
	s_mul_i32 s6, s2, 0xb0
	v_lshrrev_b32_e32 v1, 4, v0
	s_mul_hi_u32 s3, s2, 0xb0
	v_lshlrev_b32_e32 v2, 1, v1
	s_waitcnt lgkmcnt(0)
	s_add_u32 s4, s4, s6
	s_addc_u32 s5, s5, s3
	v_mov_b32_e32 v3, 0
	v_cmp_lt_u32_e32 vcc, 31, v0
	v_lshl_add_u64 v[4:5], s[4:5], 0, v[2:3]
                                        ; implicit-def: $vgpr7
                                        ; implicit-def: $vgpr6
	s_and_saveexec_b64 s[6:7], vcc
	s_xor_b64 s[6:7], exec, s[6:7]
	s_cbranch_execz .LBB46_2
; %bb.1:
	global_load_ubyte v6, v[4:5], off offset:8
	global_load_ubyte v7, v[4:5], off
	global_load_ubyte v8, v[4:5], off offset:4
	s_waitcnt vmcnt(2)
	v_and_b32_e32 v4, 15, v6
	s_waitcnt vmcnt(1)
	v_lshrrev_b16_e32 v5, 2, v7
	v_lshrrev_b16_e32 v7, 4, v6
	s_waitcnt vmcnt(0)
	v_lshrrev_b16_e32 v6, 2, v8
	v_and_b32_e32 v5, 48, v5
	v_and_b32_e32 v8, 48, v6
	v_or_b32_e32 v6, v5, v4
	v_or_b32_e32 v7, v8, v7
                                        ; implicit-def: $vgpr4_vgpr5
.LBB46_2:
	s_andn2_saveexec_b64 s[6:7], s[6:7]
	s_cbranch_execz .LBB46_4
; %bb.3:
	global_load_ubyte v6, v[4:5], off offset:4
	global_load_ubyte v7, v[4:5], off offset:8
	s_waitcnt vmcnt(1)
	v_and_b32_e32 v6, 63, v6
	s_waitcnt vmcnt(0)
	v_and_b32_e32 v7, 63, v7
.LBB46_4:
	s_or_b64 exec, exec, s[6:7]
	s_load_dwordx2 s[6:7], s[0:1], 0x8
	s_load_dword s3, s[4:5], 0x0
	s_add_u32 s0, s4, 4
	s_addc_u32 s1, s5, 0
	v_lshl_add_u64 v[4:5], s[0:1], 0, v[2:3]
                                        ; implicit-def: $vgpr8
                                        ; implicit-def: $vgpr3
	s_and_saveexec_b64 s[0:1], vcc
	s_xor_b64 s[0:1], exec, s[0:1]
	s_cbranch_execz .LBB46_6
; %bb.5:
	global_load_ubyte v3, v[4:5], off offset:5
	global_load_ubyte v8, v[4:5], off offset:-3
	global_load_ubyte v9, v[4:5], off offset:1
	s_waitcnt vmcnt(2)
	v_and_b32_e32 v4, 15, v3
	s_waitcnt vmcnt(1)
	v_lshrrev_b16_e32 v5, 2, v8
	v_lshrrev_b16_e32 v8, 4, v3
	s_waitcnt vmcnt(0)
	v_lshrrev_b16_e32 v3, 2, v9
	v_and_b32_e32 v5, 48, v5
	v_and_b32_e32 v9, 48, v3
	v_or_b32_e32 v3, v5, v4
	v_or_b32_e32 v8, v9, v8
                                        ; implicit-def: $vgpr4_vgpr5
.LBB46_6:
	s_andn2_saveexec_b64 s[0:1], s[0:1]
	s_cbranch_execz .LBB46_8
; %bb.7:
	global_load_ubyte v3, v[4:5], off offset:1
	global_load_ubyte v8, v[4:5], off offset:5
	s_waitcnt vmcnt(1)
	v_and_b32_e32 v3, 63, v3
	s_waitcnt vmcnt(0)
	v_and_b32_e32 v8, 63, v8
.LBB46_8:
	s_or_b64 exec, exec, s[0:1]
	v_lshlrev_b32_e32 v0, 1, v0
	v_and_b32_e32 v4, 30, v0
	v_mov_b32_e32 v5, 0
	v_lshl_add_u64 v[10:11], s[4:5], 0, v[4:5]
	v_lshlrev_b32_e32 v12, 5, v1
	v_mov_b32_e32 v13, v5
	v_lshl_add_u64 v[10:11], v[10:11], 0, v[12:13]
	global_load_ushort v9, v[10:11], off offset:48
	global_load_ushort v12, v4, s[4:5] offset:16
	s_mov_b32 s1, 0
	s_lshl_b32 s0, s2, 8
	s_waitcnt lgkmcnt(0)
	s_lshr_b32 s4, s3, 16
	s_lshl_b64 s[0:1], s[0:1], 1
	s_add_u32 s0, s6, s0
	v_lshlrev_b32_e32 v0, 7, v1
	v_mov_b32_e32 v1, v5
	s_addc_u32 s1, s7, s1
	v_lshlrev_b32_e64 v10, v2, 1
	v_lshlrev_b32_e32 v4, 1, v4
	v_lshl_add_u64 v[0:1], s[0:1], 0, v[0:1]
	v_lshl_add_u64 v[0:1], v[0:1], 0, v[4:5]
	v_lshlrev_b32_e64 v2, v2, 2
	v_mov_b32_e32 v13, 15
	v_cvt_f16_u16_sdwa v7, v7 dst_sel:DWORD dst_unused:UNUSED_PAD src0_sel:BYTE_0
	v_cvt_f16_u16_sdwa v6, v6 dst_sel:DWORD dst_unused:UNUSED_PAD src0_sel:BYTE_0
	;; [unrolled: 1-line block ×4, first 2 shown]
	v_mul_f16_e32 v7, s4, v7
	v_mul_f16_e32 v6, s3, v6
	;; [unrolled: 1-line block ×4, first 2 shown]
	s_movk_i32 s2, 0x7fff
	v_mov_b32_e32 v11, 0x7fc0
	s_mov_b32 s5, 0x5040100
	s_waitcnt vmcnt(1)
	v_lshrrev_b16_e32 v14, 4, v9
	s_waitcnt vmcnt(0)
	v_and_b32_sdwa v5, v10, v12 dst_sel:DWORD dst_unused:UNUSED_PAD src0_sel:DWORD src1_sel:BYTE_0
	v_and_b32_sdwa v10, v10, v12 dst_sel:DWORD dst_unused:UNUSED_PAD src0_sel:DWORD src1_sel:BYTE_1
	v_cmp_ne_u32_e32 vcc, 0, v5
	v_and_b32_sdwa v15, v2, v12 dst_sel:DWORD dst_unused:UNUSED_PAD src0_sel:DWORD src1_sel:BYTE_0
	v_and_b32_sdwa v2, v2, v12 dst_sel:DWORD dst_unused:UNUSED_PAD src0_sel:DWORD src1_sel:BYTE_1
	v_cndmask_b32_e64 v5, 0, 1, vcc
	v_cmp_ne_u32_e32 vcc, 0, v10
	v_and_b32_e32 v4, 15, v9
	v_and_b32_e32 v12, 15, v14
	v_cndmask_b32_e64 v10, 0, 1, vcc
	v_cmp_ne_u32_e32 vcc, 0, v15
	v_and_b32_sdwa v13, v9, v13 dst_sel:DWORD dst_unused:UNUSED_PAD src0_sel:BYTE_1 src1_sel:DWORD
	v_lshrrev_b16_e32 v9, 12, v9
	v_cndmask_b32_e64 v14, 0, 1, vcc
	v_cmp_ne_u32_e32 vcc, 0, v2
	v_lshl_or_b32 v4, v5, 4, v4
	v_lshl_or_b32 v5, v10, 4, v13
	v_cndmask_b32_e64 v2, 0, 1, vcc
	v_lshl_or_b32 v10, v14, 4, v12
	v_lshl_or_b32 v2, v2, 4, v9
	v_cvt_f32_ubyte0_e32 v4, v4
	v_cvt_f32_ubyte0_e32 v5, v5
	;; [unrolled: 1-line block ×4, first 2 shown]
	v_cvt_f16_f32_e32 v4, v4
	v_cvt_f16_f32_e32 v5, v5
	;; [unrolled: 1-line block ×4, first 2 shown]
	v_fma_f16 v4, v6, v4, -v7
	v_fma_f16 v5, v6, v5, -v7
	;; [unrolled: 1-line block ×4, first 2 shown]
	v_cvt_f32_f16_e32 v3, v4
	v_cvt_f32_f16_e32 v7, v5
	;; [unrolled: 1-line block ×4, first 2 shown]
	v_bfe_u32 v10, v3, 16, 1
	v_bfe_u32 v12, v7, 16, 1
	v_add3_u32 v3, v3, v10, s2
	v_bfe_u32 v13, v8, 16, 1
	v_add3_u32 v7, v7, v12, s2
	v_lshrrev_b32_e32 v3, 16, v3
	v_cmp_o_f16_e32 vcc, v4, v4
	v_bfe_u32 v14, v9, 16, 1
	v_add3_u32 v8, v8, v13, s2
	v_lshrrev_b32_e32 v7, 16, v7
	v_cndmask_b32_e32 v3, v11, v3, vcc
	v_cmp_o_f16_e32 vcc, v5, v5
	v_add3_u32 v9, v9, v14, s2
	v_lshrrev_b32_e32 v8, 16, v8
	v_cndmask_b32_e32 v4, v11, v7, vcc
	v_cmp_o_f16_e32 vcc, v6, v6
	v_lshrrev_b32_e32 v9, 16, v9
	v_perm_b32 v3, v4, v3, s5
	v_cndmask_b32_e32 v5, v11, v8, vcc
	v_cmp_o_f16_e32 vcc, v2, v2
	s_nop 1
	v_cndmask_b32_e32 v2, v11, v9, vcc
	v_perm_b32 v2, v2, v5, s5
	global_store_dword v[0:1], v3, off
	global_store_dword v[0:1], v2, off offset:64
	s_endpgm
	.section	.rodata,"a",@progbits
	.p2align	6, 0x0
	.amdhsa_kernel _ZL21dequantize_block_q5_KIN3c108BFloat16EEvPKvPT_
		.amdhsa_group_segment_fixed_size 0
		.amdhsa_private_segment_fixed_size 0
		.amdhsa_kernarg_size 16
		.amdhsa_user_sgpr_count 2
		.amdhsa_user_sgpr_dispatch_ptr 0
		.amdhsa_user_sgpr_queue_ptr 0
		.amdhsa_user_sgpr_kernarg_segment_ptr 1
		.amdhsa_user_sgpr_dispatch_id 0
		.amdhsa_user_sgpr_kernarg_preload_length 0
		.amdhsa_user_sgpr_kernarg_preload_offset 0
		.amdhsa_user_sgpr_private_segment_size 0
		.amdhsa_uses_dynamic_stack 0
		.amdhsa_enable_private_segment 0
		.amdhsa_system_sgpr_workgroup_id_x 1
		.amdhsa_system_sgpr_workgroup_id_y 0
		.amdhsa_system_sgpr_workgroup_id_z 0
		.amdhsa_system_sgpr_workgroup_info 0
		.amdhsa_system_vgpr_workitem_id 0
		.amdhsa_next_free_vgpr 16
		.amdhsa_next_free_sgpr 8
		.amdhsa_accum_offset 16
		.amdhsa_reserve_vcc 1
		.amdhsa_float_round_mode_32 0
		.amdhsa_float_round_mode_16_64 0
		.amdhsa_float_denorm_mode_32 3
		.amdhsa_float_denorm_mode_16_64 3
		.amdhsa_dx10_clamp 1
		.amdhsa_ieee_mode 1
		.amdhsa_fp16_overflow 0
		.amdhsa_tg_split 0
		.amdhsa_exception_fp_ieee_invalid_op 0
		.amdhsa_exception_fp_denorm_src 0
		.amdhsa_exception_fp_ieee_div_zero 0
		.amdhsa_exception_fp_ieee_overflow 0
		.amdhsa_exception_fp_ieee_underflow 0
		.amdhsa_exception_fp_ieee_inexact 0
		.amdhsa_exception_int_div_zero 0
	.end_amdhsa_kernel
	.section	.text._ZL21dequantize_block_q5_KIN3c108BFloat16EEvPKvPT_,"axG",@progbits,_ZL21dequantize_block_q5_KIN3c108BFloat16EEvPKvPT_,comdat
.Lfunc_end46:
	.size	_ZL21dequantize_block_q5_KIN3c108BFloat16EEvPKvPT_, .Lfunc_end46-_ZL21dequantize_block_q5_KIN3c108BFloat16EEvPKvPT_
                                        ; -- End function
	.section	.AMDGPU.csdata,"",@progbits
; Kernel info:
; codeLenInByte = 912
; NumSgprs: 14
; NumVgprs: 16
; NumAgprs: 0
; TotalNumVgprs: 16
; ScratchSize: 0
; MemoryBound: 0
; FloatMode: 240
; IeeeMode: 1
; LDSByteSize: 0 bytes/workgroup (compile time only)
; SGPRBlocks: 1
; VGPRBlocks: 1
; NumSGPRsForWavesPerEU: 14
; NumVGPRsForWavesPerEU: 16
; AccumOffset: 16
; Occupancy: 8
; WaveLimiterHint : 0
; COMPUTE_PGM_RSRC2:SCRATCH_EN: 0
; COMPUTE_PGM_RSRC2:USER_SGPR: 2
; COMPUTE_PGM_RSRC2:TRAP_HANDLER: 0
; COMPUTE_PGM_RSRC2:TGID_X_EN: 1
; COMPUTE_PGM_RSRC2:TGID_Y_EN: 0
; COMPUTE_PGM_RSRC2:TGID_Z_EN: 0
; COMPUTE_PGM_RSRC2:TIDIG_COMP_CNT: 0
; COMPUTE_PGM_RSRC3_GFX90A:ACCUM_OFFSET: 3
; COMPUTE_PGM_RSRC3_GFX90A:TG_SPLIT: 0
	.section	.text._ZL21dequantize_block_q6_KIN3c108BFloat16EEvPKvPT_,"axG",@progbits,_ZL21dequantize_block_q6_KIN3c108BFloat16EEvPKvPT_,comdat
	.globl	_ZL21dequantize_block_q6_KIN3c108BFloat16EEvPKvPT_ ; -- Begin function _ZL21dequantize_block_q6_KIN3c108BFloat16EEvPKvPT_
	.p2align	8
	.type	_ZL21dequantize_block_q6_KIN3c108BFloat16EEvPKvPT_,@function
_ZL21dequantize_block_q6_KIN3c108BFloat16EEvPKvPT_: ; @_ZL21dequantize_block_q6_KIN3c108BFloat16EEvPKvPT_
; %bb.0:
	s_load_dwordx4 s[4:7], s[0:1], 0x0
	s_lshl_b32 s0, s2, 8
	s_mov_b32 s1, 0
	s_lshl_b64 s[0:1], s[0:1], 1
	v_lshrrev_b32_e32 v1, 5, v0
	s_waitcnt lgkmcnt(0)
	s_add_u32 s0, s6, s0
	s_addc_u32 s1, s7, s1
	v_lshlrev_b32_e32 v6, 8, v1
	v_mov_b32_e32 v7, 0
	v_and_b32_e32 v4, 31, v0
	v_lshl_add_u64 v[2:3], s[0:1], 0, v[6:7]
	s_mul_hi_u32 s1, s2, 0xd2
	s_mulk_i32 s2, 0xd2
	s_add_u32 s0, s4, s2
	v_lshlrev_b32_e32 v6, 1, v4
	s_addc_u32 s1, s5, s1
	v_lshl_add_u64 v[2:3], v[2:3], 0, v[6:7]
	v_lshlrev_b32_e32 v6, 6, v1
	global_load_ubyte v10, v0, s[0:1] offset:128
	v_mov_b32_e32 v5, v7
	v_lshl_add_u64 v[8:9], s[0:1], 0, v[6:7]
	v_lshl_add_u64 v[4:5], v[8:9], 0, v[4:5]
	global_load_ubyte v6, v[4:5], off
	global_load_ubyte v8, v[4:5], off offset:32
	v_bfe_u32 v0, v0, 4, 1
	v_lshl_or_b32 v0, v1, 3, v0
	global_load_sbyte v1, v0, s[0:1] offset:192
	global_load_sbyte v4, v0, s[0:1] offset:194
	;; [unrolled: 1-line block ×4, first 2 shown]
	global_load_ushort v11, v7, s[0:1] offset:208
	v_mov_b32_e32 v0, 32
	s_movk_i32 s0, 0x7fff
	v_mov_b32_e32 v7, 0x7fc0
	s_waitcnt vmcnt(7)
	v_lshlrev_b16_e32 v12, 4, v10
	v_lshlrev_b16_e32 v13, 2, v10
	v_and_b32_e32 v14, 48, v10
	v_lshrrev_b16_e32 v10, 2, v10
	v_and_b32_e32 v12, 48, v12
	s_waitcnt vmcnt(6)
	v_and_b32_e32 v15, 15, v6
	v_and_b32_e32 v13, 48, v13
	v_and_b32_e32 v10, 48, v10
	s_waitcnt vmcnt(5)
	v_and_b32_e32 v16, 15, v8
	v_lshrrev_b16_e32 v8, 4, v8
	v_or_b32_e32 v12, v15, v12
	v_lshrrev_b16_e32 v6, 4, v6
	v_or_b32_e32 v13, v16, v13
	v_or_b32_e32 v8, v8, v10
	v_sub_u32_sdwa v10, v12, v0 dst_sel:DWORD dst_unused:UNUSED_PAD src0_sel:WORD_0 src1_sel:DWORD
	v_or_b32_e32 v6, v6, v14
	v_sub_u32_sdwa v12, v13, v0 dst_sel:DWORD dst_unused:UNUSED_PAD src0_sel:WORD_0 src1_sel:DWORD
	s_waitcnt vmcnt(4)
	v_mul_i32_i24_e32 v1, v10, v1
	v_sub_u32_sdwa v6, v6, v0 dst_sel:DWORD dst_unused:UNUSED_PAD src0_sel:WORD_0 src1_sel:DWORD
	s_waitcnt vmcnt(3)
	v_mul_i32_i24_e32 v4, v12, v4
	v_cvt_f32_i32_e32 v1, v1
	v_sub_u32_sdwa v0, v8, v0 dst_sel:DWORD dst_unused:UNUSED_PAD src0_sel:WORD_0 src1_sel:DWORD
	s_waitcnt vmcnt(2)
	v_mul_i32_i24_e32 v5, v6, v5
	v_cvt_f32_i32_e32 v4, v4
	s_waitcnt vmcnt(1)
	v_mul_i32_i24_e32 v0, v0, v9
	v_cvt_f32_i32_e32 v5, v5
	v_cvt_f32_i32_e32 v0, v0
	v_cvt_f16_f32_e32 v1, v1
	v_cvt_f16_f32_e32 v4, v4
	;; [unrolled: 1-line block ×4, first 2 shown]
	s_waitcnt vmcnt(0)
	v_mul_f16_e32 v1, v11, v1
	v_mul_f16_e32 v4, v11, v4
	v_cvt_f32_f16_e32 v6, v1
	v_mul_f16_e32 v5, v11, v5
	v_cvt_f32_f16_e32 v8, v4
	;; [unrolled: 2-line block ×3, first 2 shown]
	v_cvt_f32_f16_e32 v10, v0
	v_bfe_u32 v11, v6, 16, 1
	v_bfe_u32 v12, v8, 16, 1
	v_add3_u32 v6, v6, v11, s0
	v_bfe_u32 v13, v9, 16, 1
	v_add3_u32 v8, v8, v12, s0
	v_lshrrev_b32_e32 v6, 16, v6
	v_cmp_o_f16_e32 vcc, v1, v1
	v_bfe_u32 v14, v10, 16, 1
	v_add3_u32 v9, v9, v13, s0
	v_lshrrev_b32_e32 v8, 16, v8
	v_cndmask_b32_e32 v1, v7, v6, vcc
	v_cmp_o_f16_e32 vcc, v4, v4
	v_add3_u32 v10, v10, v14, s0
	v_lshrrev_b32_e32 v9, 16, v9
	v_cndmask_b32_e32 v4, v7, v8, vcc
	v_cmp_o_f16_e32 vcc, v5, v5
	v_lshrrev_b32_e32 v10, 16, v10
	s_nop 0
	v_cndmask_b32_e32 v5, v7, v9, vcc
	v_cmp_o_f16_e32 vcc, v0, v0
	s_nop 1
	v_cndmask_b32_e32 v0, v7, v10, vcc
	global_store_short v[2:3], v1, off
	global_store_short v[2:3], v4, off offset:64
	global_store_short v[2:3], v5, off offset:128
	;; [unrolled: 1-line block ×3, first 2 shown]
	s_endpgm
	.section	.rodata,"a",@progbits
	.p2align	6, 0x0
	.amdhsa_kernel _ZL21dequantize_block_q6_KIN3c108BFloat16EEvPKvPT_
		.amdhsa_group_segment_fixed_size 0
		.amdhsa_private_segment_fixed_size 0
		.amdhsa_kernarg_size 16
		.amdhsa_user_sgpr_count 2
		.amdhsa_user_sgpr_dispatch_ptr 0
		.amdhsa_user_sgpr_queue_ptr 0
		.amdhsa_user_sgpr_kernarg_segment_ptr 1
		.amdhsa_user_sgpr_dispatch_id 0
		.amdhsa_user_sgpr_kernarg_preload_length 0
		.amdhsa_user_sgpr_kernarg_preload_offset 0
		.amdhsa_user_sgpr_private_segment_size 0
		.amdhsa_uses_dynamic_stack 0
		.amdhsa_enable_private_segment 0
		.amdhsa_system_sgpr_workgroup_id_x 1
		.amdhsa_system_sgpr_workgroup_id_y 0
		.amdhsa_system_sgpr_workgroup_id_z 0
		.amdhsa_system_sgpr_workgroup_info 0
		.amdhsa_system_vgpr_workitem_id 0
		.amdhsa_next_free_vgpr 17
		.amdhsa_next_free_sgpr 8
		.amdhsa_accum_offset 20
		.amdhsa_reserve_vcc 1
		.amdhsa_float_round_mode_32 0
		.amdhsa_float_round_mode_16_64 0
		.amdhsa_float_denorm_mode_32 3
		.amdhsa_float_denorm_mode_16_64 3
		.amdhsa_dx10_clamp 1
		.amdhsa_ieee_mode 1
		.amdhsa_fp16_overflow 0
		.amdhsa_tg_split 0
		.amdhsa_exception_fp_ieee_invalid_op 0
		.amdhsa_exception_fp_denorm_src 0
		.amdhsa_exception_fp_ieee_div_zero 0
		.amdhsa_exception_fp_ieee_overflow 0
		.amdhsa_exception_fp_ieee_underflow 0
		.amdhsa_exception_fp_ieee_inexact 0
		.amdhsa_exception_int_div_zero 0
	.end_amdhsa_kernel
	.section	.text._ZL21dequantize_block_q6_KIN3c108BFloat16EEvPKvPT_,"axG",@progbits,_ZL21dequantize_block_q6_KIN3c108BFloat16EEvPKvPT_,comdat
.Lfunc_end47:
	.size	_ZL21dequantize_block_q6_KIN3c108BFloat16EEvPKvPT_, .Lfunc_end47-_ZL21dequantize_block_q6_KIN3c108BFloat16EEvPKvPT_
                                        ; -- End function
	.section	.AMDGPU.csdata,"",@progbits
; Kernel info:
; codeLenInByte = 568
; NumSgprs: 14
; NumVgprs: 17
; NumAgprs: 0
; TotalNumVgprs: 17
; ScratchSize: 0
; MemoryBound: 0
; FloatMode: 240
; IeeeMode: 1
; LDSByteSize: 0 bytes/workgroup (compile time only)
; SGPRBlocks: 1
; VGPRBlocks: 2
; NumSGPRsForWavesPerEU: 14
; NumVGPRsForWavesPerEU: 17
; AccumOffset: 20
; Occupancy: 8
; WaveLimiterHint : 0
; COMPUTE_PGM_RSRC2:SCRATCH_EN: 0
; COMPUTE_PGM_RSRC2:USER_SGPR: 2
; COMPUTE_PGM_RSRC2:TRAP_HANDLER: 0
; COMPUTE_PGM_RSRC2:TGID_X_EN: 1
; COMPUTE_PGM_RSRC2:TGID_Y_EN: 0
; COMPUTE_PGM_RSRC2:TGID_Z_EN: 0
; COMPUTE_PGM_RSRC2:TIDIG_COMP_CNT: 0
; COMPUTE_PGM_RSRC3_GFX90A:ACCUM_OFFSET: 4
; COMPUTE_PGM_RSRC3_GFX90A:TG_SPLIT: 0
	.section	.text._ZL24dequantize_block_iq2_xxsIN3c108BFloat16EEvPKvPT_,"axG",@progbits,_ZL24dequantize_block_iq2_xxsIN3c108BFloat16EEvPKvPT_,comdat
	.globl	_ZL24dequantize_block_iq2_xxsIN3c108BFloat16EEvPKvPT_ ; -- Begin function _ZL24dequantize_block_iq2_xxsIN3c108BFloat16EEvPKvPT_
	.p2align	8
	.type	_ZL24dequantize_block_iq2_xxsIN3c108BFloat16EEvPKvPT_,@function
_ZL24dequantize_block_iq2_xxsIN3c108BFloat16EEvPKvPT_: ; @_ZL24dequantize_block_iq2_xxsIN3c108BFloat16EEvPKvPT_
; %bb.0:
	s_load_dwordx4 s[4:7], s[0:1], 0x0
	s_lshl_b32 s0, s2, 8
	s_mov_b32 s1, 0
	s_lshl_b64 s[0:1], s[0:1], 1
	v_and_b32_e32 v1, 7, v0
	s_waitcnt lgkmcnt(0)
	s_add_u32 s0, s6, s0
	s_addc_u32 s1, s7, s1
	v_lshlrev_b32_e32 v4, 6, v1
	v_mov_b32_e32 v5, 0
	v_lshl_add_u64 v[2:3], s[0:1], 0, v[4:5]
	v_and_b32_e32 v4, 0x3f8, v0
	s_mul_hi_u32 s1, s2, 0x42
	s_mulk_i32 s2, 0x42
	v_lshlrev_b32_e32 v4, 1, v4
	s_add_u32 s0, s4, s2
	v_lshl_add_u64 v[2:3], v[2:3], 0, v[4:5]
	s_addc_u32 s1, s5, s1
	v_lshlrev_b32_e32 v4, 3, v1
	global_load_dword v8, v4, s[0:1] offset:6
	v_lshrrev_b32_e32 v0, 3, v0
	v_lshl_add_u64 v[6:7], s[0:1], 0, v[4:5]
	v_mov_b32_e32 v1, v5
	v_lshl_add_u64 v[6:7], v[6:7], 0, v[0:1]
	global_load_ubyte v1, v[6:7], off offset:2
	global_load_ushort v4, v5, s[0:1]
	v_mul_u32_u24_e32 v0, 7, v0
	s_getpc_b64 s[0:1]
	s_add_u32 s0, s0, _ZL12ksigns_iq2xs@rel32@lo+4
	s_addc_u32 s1, s1, _ZL12ksigns_iq2xs@rel32@hi+12
	v_mov_b32_e32 v11, 0x7fc0
	s_waitcnt vmcnt(2)
	v_bfe_u32 v5, v8, v0, 7
	global_load_sbyte v10, v5, s[0:1]
	s_getpc_b64 s[0:1]
	s_add_u32 s0, s0, _ZL11iq2xxs_grid@rel32@lo+4
	s_addc_u32 s1, s1, _ZL11iq2xxs_grid@rel32@hi+12
	v_lshrrev_b32_e32 v6, 28, v8
	s_waitcnt vmcnt(2)
	v_lshlrev_b32_e32 v0, 3, v1
	global_load_dwordx2 v[0:1], v0, s[0:1]
	s_waitcnt vmcnt(2)
	v_cvt_f32_f16_e32 v4, v4
	v_cvt_f32_ubyte0_e32 v6, v6
	v_add_f32_e32 v6, 0.5, v6
	s_movk_i32 s0, 0x7fff
	v_mul_f32_e32 v4, v6, v4
	v_mul_f32_e32 v4, 0x3e800000, v4
	s_mov_b32 s1, 0x5040100
	s_waitcnt vmcnt(1)
	v_and_b32_e32 v12, 1, v10
	v_and_b32_e32 v13, 2, v10
	v_cmp_eq_u16_e32 vcc, 0, v12
	v_and_b32_e32 v14, 4, v10
	s_waitcnt vmcnt(0)
	v_cvt_f32_ubyte0_e32 v18, v0
	v_cvt_f32_ubyte1_e32 v19, v0
	v_cvt_f32_ubyte2_e32 v9, v1
	v_cvt_f32_ubyte1_e32 v8, v1
	v_mul_f32_e32 v18, v4, v18
	v_cvt_f32_ubyte2_e32 v20, v0
	v_cvt_f32_ubyte0_e32 v7, v1
	v_cvt_f32_ubyte3_e32 v6, v0
	v_cvt_f32_ubyte3_e32 v21, v1
	v_mul_f32_e32 v19, v4, v19
	v_pk_mul_f32 v[0:1], v[4:5], v[8:9] op_sel_hi:[0,1]
	v_cndmask_b32_e64 v8, -v18, v18, vcc
	v_cmp_eq_u16_e32 vcc, 0, v13
	v_and_b32_e32 v17, 32, v10
	v_mul_f32_e32 v20, v4, v20
	v_cndmask_b32_e64 v9, -v19, v19, vcc
	v_cmp_eq_u16_e32 vcc, 0, v14
	v_and_b32_e32 v16, 16, v10
	v_pk_mul_f32 v[6:7], v[4:5], v[6:7] op_sel_hi:[0,1]
	v_cndmask_b32_e64 v12, -v20, v20, vcc
	v_cmp_eq_u16_e32 vcc, 0, v17
	v_and_b32_e32 v15, 8, v10
	v_mul_f32_e32 v4, v4, v21
	v_cndmask_b32_e64 v0, -v0, v0, vcc
	v_cmp_eq_u16_e32 vcc, 0, v16
	v_bfe_u32 v13, v12, 16, 1
	v_add3_u32 v13, v12, v13, s0
	v_cndmask_b32_e64 v7, -v7, v7, vcc
	v_cmp_gt_u32_e32 vcc, 64, v5
	v_lshrrev_b32_e32 v13, 16, v13
	v_bfe_u32 v16, v7, 16, 1
	v_cndmask_b32_e64 v1, -v1, v1, vcc
	v_cmp_eq_u16_e32 vcc, 0, v15
	v_bfe_u32 v15, v1, 16, 1
	v_add3_u32 v15, v1, v15, s0
	v_cndmask_b32_e64 v5, -v6, v6, vcc
	v_bfe_u32 v6, v8, 16, 1
	v_cmp_gt_i16_e32 vcc, 0, v10
	v_bfe_u32 v10, v9, 16, 1
	v_add3_u32 v6, v8, v6, s0
	v_cndmask_b32_e64 v4, v4, -v4, vcc
	v_add3_u32 v10, v9, v10, s0
	v_lshrrev_b32_e32 v6, 16, v6
	v_cmp_o_f32_e32 vcc, v8, v8
	v_bfe_u32 v14, v5, 16, 1
	v_lshrrev_b32_e32 v10, 16, v10
	v_cndmask_b32_e32 v8, v11, v6, vcc
	v_cmp_o_f32_e32 vcc, v9, v9
	v_add3_u32 v14, v5, v14, s0
	v_lshrrev_b32_e32 v14, 16, v14
	v_cndmask_b32_e32 v9, v11, v10, vcc
	v_cmp_o_f32_e32 vcc, v12, v12
	v_bfe_u32 v17, v0, 16, 1
	v_add3_u32 v16, v7, v16, s0
	v_cndmask_b32_e32 v10, v11, v13, vcc
	v_cmp_o_f32_e32 vcc, v5, v5
	v_lshrrev_b32_e32 v15, 16, v15
	v_bfe_u32 v18, v4, 16, 1
	v_cndmask_b32_e32 v5, v11, v14, vcc
	v_cmp_o_f32_e32 vcc, v1, v1
	v_add3_u32 v17, v0, v17, s0
	v_lshrrev_b32_e32 v16, 16, v16
	v_cndmask_b32_e32 v1, v11, v15, vcc
	v_cmp_o_f32_e32 vcc, v7, v7
	v_add3_u32 v18, v4, v18, s0
	v_lshrrev_b32_e32 v17, 16, v17
	v_cndmask_b32_e32 v6, v11, v16, vcc
	v_cmp_o_f32_e32 vcc, v0, v0
	v_lshrrev_b32_e32 v18, 16, v18
	v_perm_b32 v5, v5, v10, s1
	v_cndmask_b32_e32 v0, v11, v17, vcc
	v_cmp_o_f32_e32 vcc, v4, v4
	v_perm_b32 v6, v0, v6, s1
	v_perm_b32 v4, v9, v8, s1
	v_cndmask_b32_e32 v7, v11, v18, vcc
	v_perm_b32 v7, v7, v1, s1
	global_store_dwordx4 v[2:3], v[4:7], off
	s_endpgm
	.section	.rodata,"a",@progbits
	.p2align	6, 0x0
	.amdhsa_kernel _ZL24dequantize_block_iq2_xxsIN3c108BFloat16EEvPKvPT_
		.amdhsa_group_segment_fixed_size 0
		.amdhsa_private_segment_fixed_size 0
		.amdhsa_kernarg_size 16
		.amdhsa_user_sgpr_count 2
		.amdhsa_user_sgpr_dispatch_ptr 0
		.amdhsa_user_sgpr_queue_ptr 0
		.amdhsa_user_sgpr_kernarg_segment_ptr 1
		.amdhsa_user_sgpr_dispatch_id 0
		.amdhsa_user_sgpr_kernarg_preload_length 0
		.amdhsa_user_sgpr_kernarg_preload_offset 0
		.amdhsa_user_sgpr_private_segment_size 0
		.amdhsa_uses_dynamic_stack 0
		.amdhsa_enable_private_segment 0
		.amdhsa_system_sgpr_workgroup_id_x 1
		.amdhsa_system_sgpr_workgroup_id_y 0
		.amdhsa_system_sgpr_workgroup_id_z 0
		.amdhsa_system_sgpr_workgroup_info 0
		.amdhsa_system_vgpr_workitem_id 0
		.amdhsa_next_free_vgpr 22
		.amdhsa_next_free_sgpr 8
		.amdhsa_accum_offset 24
		.amdhsa_reserve_vcc 1
		.amdhsa_float_round_mode_32 0
		.amdhsa_float_round_mode_16_64 0
		.amdhsa_float_denorm_mode_32 3
		.amdhsa_float_denorm_mode_16_64 3
		.amdhsa_dx10_clamp 1
		.amdhsa_ieee_mode 1
		.amdhsa_fp16_overflow 0
		.amdhsa_tg_split 0
		.amdhsa_exception_fp_ieee_invalid_op 0
		.amdhsa_exception_fp_denorm_src 0
		.amdhsa_exception_fp_ieee_div_zero 0
		.amdhsa_exception_fp_ieee_overflow 0
		.amdhsa_exception_fp_ieee_underflow 0
		.amdhsa_exception_fp_ieee_inexact 0
		.amdhsa_exception_int_div_zero 0
	.end_amdhsa_kernel
	.section	.text._ZL24dequantize_block_iq2_xxsIN3c108BFloat16EEvPKvPT_,"axG",@progbits,_ZL24dequantize_block_iq2_xxsIN3c108BFloat16EEvPKvPT_,comdat
.Lfunc_end48:
	.size	_ZL24dequantize_block_iq2_xxsIN3c108BFloat16EEvPKvPT_, .Lfunc_end48-_ZL24dequantize_block_iq2_xxsIN3c108BFloat16EEvPKvPT_
                                        ; -- End function
	.section	.AMDGPU.csdata,"",@progbits
; Kernel info:
; codeLenInByte = 736
; NumSgprs: 14
; NumVgprs: 22
; NumAgprs: 0
; TotalNumVgprs: 22
; ScratchSize: 0
; MemoryBound: 0
; FloatMode: 240
; IeeeMode: 1
; LDSByteSize: 0 bytes/workgroup (compile time only)
; SGPRBlocks: 1
; VGPRBlocks: 2
; NumSGPRsForWavesPerEU: 14
; NumVGPRsForWavesPerEU: 22
; AccumOffset: 24
; Occupancy: 8
; WaveLimiterHint : 0
; COMPUTE_PGM_RSRC2:SCRATCH_EN: 0
; COMPUTE_PGM_RSRC2:USER_SGPR: 2
; COMPUTE_PGM_RSRC2:TRAP_HANDLER: 0
; COMPUTE_PGM_RSRC2:TGID_X_EN: 1
; COMPUTE_PGM_RSRC2:TGID_Y_EN: 0
; COMPUTE_PGM_RSRC2:TGID_Z_EN: 0
; COMPUTE_PGM_RSRC2:TIDIG_COMP_CNT: 0
; COMPUTE_PGM_RSRC3_GFX90A:ACCUM_OFFSET: 5
; COMPUTE_PGM_RSRC3_GFX90A:TG_SPLIT: 0
	.section	.text._ZL23dequantize_block_iq2_xsIN3c108BFloat16EEvPKvPT_,"axG",@progbits,_ZL23dequantize_block_iq2_xsIN3c108BFloat16EEvPKvPT_,comdat
	.globl	_ZL23dequantize_block_iq2_xsIN3c108BFloat16EEvPKvPT_ ; -- Begin function _ZL23dequantize_block_iq2_xsIN3c108BFloat16EEvPKvPT_
	.p2align	8
	.type	_ZL23dequantize_block_iq2_xsIN3c108BFloat16EEvPKvPT_,@function
_ZL23dequantize_block_iq2_xsIN3c108BFloat16EEvPKvPT_: ; @_ZL23dequantize_block_iq2_xsIN3c108BFloat16EEvPKvPT_
; %bb.0:
	s_load_dwordx4 s[4:7], s[0:1], 0x0
	s_lshl_b32 s0, s2, 8
	s_mov_b32 s1, 0
	s_lshl_b64 s[0:1], s[0:1], 1
	v_and_b32_e32 v8, 7, v0
	s_waitcnt lgkmcnt(0)
	s_add_u32 s0, s6, s0
	s_addc_u32 s1, s7, s1
	v_lshlrev_b32_e32 v4, 6, v8
	v_mov_b32_e32 v5, 0
	v_lshl_add_u64 v[2:3], s[0:1], 0, v[4:5]
	v_and_b32_e32 v1, 0x3f8, v0
	s_mul_hi_u32 s1, s2, 0x4a
	s_mulk_i32 s2, 0x4a
	v_lshlrev_b32_e32 v4, 1, v1
	s_add_u32 s0, s4, s2
	v_lshl_add_u64 v[2:3], v[2:3], 0, v[4:5]
	s_addc_u32 s1, s5, s1
	v_lshlrev_b32_e32 v4, 3, v8
	v_lshrrev_b32_e32 v9, 2, v0
	v_lshl_add_u64 v[6:7], s[0:1], 0, v[4:5]
	v_and_b32_e32 v4, 0xfe, v9
	v_lshl_add_u64 v[0:1], v[6:7], 0, v[4:5]
	global_load_ushort v10, v[0:1], off offset:2
	global_load_ushort v6, v5, s[0:1]
	global_load_ubyte v7, v8, s[0:1] offset:66
	v_mov_b32_e32 v0, 3
	s_getpc_b64 s[2:3]
	s_add_u32 s2, s2, _ZL10iq2xs_grid@rel32@lo+4
	s_addc_u32 s3, s3, _ZL10iq2xs_grid@rel32@hi+12
	s_getpc_b64 s[4:5]
	s_add_u32 s4, s4, _ZL12ksigns_iq2xs@rel32@lo+4
	s_addc_u32 s5, s5, _ZL12ksigns_iq2xs@rel32@hi+12
	s_movk_i32 s0, 0x7fff
	s_mov_b32 s1, 0x5040100
	s_waitcnt vmcnt(1)
	v_cvt_f32_f16_e32 v6, v6
	v_and_b32_e32 v1, 0x1ff, v10
	v_lshrrev_b16_e32 v4, 9, v10
	v_lshlrev_b32_sdwa v8, v0, v1 dst_sel:DWORD dst_unused:UNUSED_PAD src0_sel:DWORD src1_sel:WORD_0
	v_lshl_add_u64 v[0:1], v[4:5], 0, s[4:5]
	global_load_dwordx2 v[4:5], v8, s[2:3]
	global_load_sbyte v11, v[0:1], off
	v_and_b32_e32 v0, 0xfc, v9
	s_waitcnt vmcnt(2)
	v_bfe_u32 v0, v7, v0, 4
	v_cvt_f32_ubyte0_e32 v0, v0
	v_add_f32_e32 v0, 0.5, v0
	v_mul_f32_e32 v0, v0, v6
	v_mul_f32_e32 v0, 0x3e800000, v0
	v_mov_b32_e32 v1, 0x7fc0
	s_waitcnt vmcnt(1)
	v_cvt_f32_ubyte0_e32 v8, v4
	s_waitcnt vmcnt(0)
	v_and_b32_e32 v9, 1, v11
	v_cvt_f32_ubyte1_e32 v12, v4
	v_and_b32_e32 v13, 2, v11
	v_mul_f32_e32 v8, v0, v8
	v_cmp_eq_u16_e32 vcc, 0, v9
	v_cvt_f32_ubyte2_e32 v14, v4
	v_and_b32_e32 v15, 4, v11
	v_mul_f32_e32 v12, v0, v12
	v_cndmask_b32_e64 v8, -v8, v8, vcc
	v_cmp_eq_u16_e32 vcc, 0, v13
	v_and_b32_e32 v17, 16, v11
	v_cvt_f32_ubyte0_e32 v7, v5
	v_cvt_f32_ubyte3_e32 v6, v4
	v_mul_f32_e32 v14, v0, v14
	v_cndmask_b32_e64 v9, -v12, v12, vcc
	v_cmp_eq_u16_e32 vcc, 0, v15
	v_and_b32_e32 v16, 8, v11
	v_cvt_f32_ubyte1_e32 v18, v5
	v_cvt_f32_ubyte2_e32 v20, v5
	v_cvt_f32_ubyte3_e32 v21, v5
	v_pk_mul_f32 v[4:5], v[0:1], v[6:7] op_sel_hi:[0,1]
	v_cndmask_b32_e64 v12, -v14, v14, vcc
	v_cmp_eq_u16_e32 vcc, 0, v17
	v_and_b32_e32 v19, 32, v11
	v_mul_f32_e32 v7, v0, v20
	v_cndmask_b32_e64 v5, -v5, v5, vcc
	v_cmp_eq_u16_e32 vcc, 0, v16
	v_mul_f32_e32 v6, v0, v18
	v_mul_f32_e32 v0, v0, v21
	v_cndmask_b32_e64 v4, -v4, v4, vcc
	v_cmp_gt_i16_e32 vcc, 0, v10
	v_bfe_u32 v10, v8, 16, 1
	v_add3_u32 v10, v8, v10, s0
	v_cndmask_b32_e64 v7, v7, -v7, vcc
	v_cmp_eq_u16_e32 vcc, 0, v19
	v_bfe_u32 v13, v12, 16, 1
	v_lshrrev_b32_e32 v10, 16, v10
	v_cndmask_b32_e64 v6, -v6, v6, vcc
	v_cmp_gt_i16_e32 vcc, 0, v11
	v_bfe_u32 v11, v9, 16, 1
	v_add3_u32 v11, v9, v11, s0
	v_cndmask_b32_e64 v0, v0, -v0, vcc
	v_cmp_o_f32_e32 vcc, v8, v8
	v_bfe_u32 v14, v4, 16, 1
	v_add3_u32 v13, v12, v13, s0
	v_lshrrev_b32_e32 v11, 16, v11
	v_cndmask_b32_e32 v8, v1, v10, vcc
	v_cmp_o_f32_e32 vcc, v9, v9
	v_bfe_u32 v15, v5, 16, 1
	v_add3_u32 v14, v4, v14, s0
	v_lshrrev_b32_e32 v13, 16, v13
	v_cndmask_b32_e32 v9, v1, v11, vcc
	;; [unrolled: 5-line block ×5, first 2 shown]
	v_cmp_o_f32_e32 vcc, v6, v6
	v_add3_u32 v18, v0, v18, s0
	v_lshrrev_b32_e32 v17, 16, v17
	v_cndmask_b32_e32 v6, v1, v16, vcc
	v_cmp_o_f32_e32 vcc, v7, v7
	v_lshrrev_b32_e32 v18, 16, v18
	v_perm_b32 v6, v6, v5, s1
	v_cndmask_b32_e32 v4, v1, v17, vcc
	v_cmp_o_f32_e32 vcc, v0, v0
	v_perm_b32 v5, v11, v10, s1
	s_nop 0
	v_cndmask_b32_e32 v0, v1, v18, vcc
	v_perm_b32 v7, v0, v4, s1
	v_perm_b32 v4, v9, v8, s1
	global_store_dwordx4 v[2:3], v[4:7], off
	s_endpgm
	.section	.rodata,"a",@progbits
	.p2align	6, 0x0
	.amdhsa_kernel _ZL23dequantize_block_iq2_xsIN3c108BFloat16EEvPKvPT_
		.amdhsa_group_segment_fixed_size 0
		.amdhsa_private_segment_fixed_size 0
		.amdhsa_kernarg_size 16
		.amdhsa_user_sgpr_count 2
		.amdhsa_user_sgpr_dispatch_ptr 0
		.amdhsa_user_sgpr_queue_ptr 0
		.amdhsa_user_sgpr_kernarg_segment_ptr 1
		.amdhsa_user_sgpr_dispatch_id 0
		.amdhsa_user_sgpr_kernarg_preload_length 0
		.amdhsa_user_sgpr_kernarg_preload_offset 0
		.amdhsa_user_sgpr_private_segment_size 0
		.amdhsa_uses_dynamic_stack 0
		.amdhsa_enable_private_segment 0
		.amdhsa_system_sgpr_workgroup_id_x 1
		.amdhsa_system_sgpr_workgroup_id_y 0
		.amdhsa_system_sgpr_workgroup_id_z 0
		.amdhsa_system_sgpr_workgroup_info 0
		.amdhsa_system_vgpr_workitem_id 0
		.amdhsa_next_free_vgpr 22
		.amdhsa_next_free_sgpr 8
		.amdhsa_accum_offset 24
		.amdhsa_reserve_vcc 1
		.amdhsa_float_round_mode_32 0
		.amdhsa_float_round_mode_16_64 0
		.amdhsa_float_denorm_mode_32 3
		.amdhsa_float_denorm_mode_16_64 3
		.amdhsa_dx10_clamp 1
		.amdhsa_ieee_mode 1
		.amdhsa_fp16_overflow 0
		.amdhsa_tg_split 0
		.amdhsa_exception_fp_ieee_invalid_op 0
		.amdhsa_exception_fp_denorm_src 0
		.amdhsa_exception_fp_ieee_div_zero 0
		.amdhsa_exception_fp_ieee_overflow 0
		.amdhsa_exception_fp_ieee_underflow 0
		.amdhsa_exception_fp_ieee_inexact 0
		.amdhsa_exception_int_div_zero 0
	.end_amdhsa_kernel
	.section	.text._ZL23dequantize_block_iq2_xsIN3c108BFloat16EEvPKvPT_,"axG",@progbits,_ZL23dequantize_block_iq2_xsIN3c108BFloat16EEvPKvPT_,comdat
.Lfunc_end49:
	.size	_ZL23dequantize_block_iq2_xsIN3c108BFloat16EEvPKvPT_, .Lfunc_end49-_ZL23dequantize_block_iq2_xsIN3c108BFloat16EEvPKvPT_
                                        ; -- End function
	.section	.AMDGPU.csdata,"",@progbits
; Kernel info:
; codeLenInByte = 768
; NumSgprs: 14
; NumVgprs: 22
; NumAgprs: 0
; TotalNumVgprs: 22
; ScratchSize: 0
; MemoryBound: 0
; FloatMode: 240
; IeeeMode: 1
; LDSByteSize: 0 bytes/workgroup (compile time only)
; SGPRBlocks: 1
; VGPRBlocks: 2
; NumSGPRsForWavesPerEU: 14
; NumVGPRsForWavesPerEU: 22
; AccumOffset: 24
; Occupancy: 8
; WaveLimiterHint : 0
; COMPUTE_PGM_RSRC2:SCRATCH_EN: 0
; COMPUTE_PGM_RSRC2:USER_SGPR: 2
; COMPUTE_PGM_RSRC2:TRAP_HANDLER: 0
; COMPUTE_PGM_RSRC2:TGID_X_EN: 1
; COMPUTE_PGM_RSRC2:TGID_Y_EN: 0
; COMPUTE_PGM_RSRC2:TGID_Z_EN: 0
; COMPUTE_PGM_RSRC2:TIDIG_COMP_CNT: 0
; COMPUTE_PGM_RSRC3_GFX90A:ACCUM_OFFSET: 5
; COMPUTE_PGM_RSRC3_GFX90A:TG_SPLIT: 0
	.section	.text._ZL24dequantize_block_iq3_xxsIN3c108BFloat16EEvPKvPT_,"axG",@progbits,_ZL24dequantize_block_iq3_xxsIN3c108BFloat16EEvPKvPT_,comdat
	.globl	_ZL24dequantize_block_iq3_xxsIN3c108BFloat16EEvPKvPT_ ; -- Begin function _ZL24dequantize_block_iq3_xxsIN3c108BFloat16EEvPKvPT_
	.p2align	8
	.type	_ZL24dequantize_block_iq3_xxsIN3c108BFloat16EEvPKvPT_,@function
_ZL24dequantize_block_iq3_xxsIN3c108BFloat16EEvPKvPT_: ; @_ZL24dequantize_block_iq3_xxsIN3c108BFloat16EEvPKvPT_
; %bb.0:
	s_load_dwordx4 s[4:7], s[0:1], 0x0
	s_lshl_b32 s0, s2, 8
	s_mov_b32 s1, 0
	s_lshl_b64 s[0:1], s[0:1], 1
	v_and_b32_e32 v7, 7, v0
	s_waitcnt lgkmcnt(0)
	s_add_u32 s0, s6, s0
	s_addc_u32 s1, s7, s1
	v_lshlrev_b32_e32 v2, 6, v7
	v_mov_b32_e32 v3, 0
	v_lshrrev_b32_e32 v6, 3, v0
	v_lshl_add_u64 v[4:5], s[0:1], 0, v[2:3]
	v_and_b32_e32 v0, 0x3f8, v0
	s_mul_hi_u32 s1, s2, 0x62
	s_mulk_i32 s2, 0x62
	v_lshlrev_b32_e32 v2, 1, v0
	s_add_u32 s0, s4, s2
	v_lshl_add_u64 v[0:1], v[4:5], 0, v[2:3]
	s_addc_u32 s1, s5, s1
	v_lshlrev_b32_e32 v2, 3, v7
	v_lshl_add_u64 v[4:5], s[0:1], 0, v[2:3]
	v_lshlrev_b32_e32 v2, 1, v6
	v_lshlrev_b32_e32 v7, 2, v7
	v_lshl_add_u64 v[4:5], v[4:5], 0, v[2:3]
	global_load_ushort v2, v3, s[0:1]
	global_load_ushort v8, v[4:5], off offset:2
	global_load_dword v9, v7, s[0:1] offset:66
	v_mov_b32_e32 v3, 2
	s_getpc_b64 s[0:1]
	s_add_u32 s0, s0, _ZL11iq3xxs_grid@rel32@lo+4
	s_addc_u32 s1, s1, _ZL11iq3xxs_grid@rel32@hi+12
	v_mul_u32_u24_e32 v4, 7, v6
	s_getpc_b64 s[2:3]
	s_add_u32 s2, s2, _ZL12ksigns_iq2xs@rel32@lo+4
	s_addc_u32 s3, s3, _ZL12ksigns_iq2xs@rel32@hi+12
	s_waitcnt vmcnt(2)
	v_cvt_f32_f16_e32 v2, v2
	s_waitcnt vmcnt(1)
	v_lshlrev_b32_sdwa v5, v3, v8 dst_sel:DWORD dst_unused:UNUSED_PAD src0_sel:DWORD src1_sel:BYTE_0
	s_waitcnt vmcnt(0)
	v_bfe_u32 v10, v9, v4, 7
	global_load_dword v4, v5, s[0:1]
	global_load_sbyte v11, v10, s[2:3]
	v_lshlrev_b32_sdwa v3, v3, v8 dst_sel:DWORD dst_unused:UNUSED_PAD src0_sel:DWORD src1_sel:BYTE_1
	global_load_dword v3, v3, s[0:1]
	v_lshrrev_b32_e32 v5, 28, v9
	v_cvt_f32_ubyte0_e32 v5, v5
	v_add_f32_e32 v5, 0.5, v5
	v_mul_f32_e32 v2, v5, v2
	v_mul_f32_e32 v2, 0.5, v2
	s_movk_i32 s0, 0x7fff
	v_mov_b32_e32 v8, 0x7fc0
	s_mov_b32 s1, 0x5040100
	s_waitcnt vmcnt(2)
	v_cvt_f32_ubyte0_e32 v9, v4
	s_waitcnt vmcnt(1)
	v_and_b32_e32 v12, 1, v11
	v_cvt_f32_ubyte1_e32 v14, v4
	v_and_b32_e32 v15, 2, v11
	v_cvt_f32_ubyte2_e32 v17, v4
	s_waitcnt vmcnt(0)
	v_cvt_f32_ubyte0_e32 v5, v3
	v_cvt_f32_ubyte3_e32 v4, v4
	v_cvt_f32_ubyte2_e32 v7, v3
	v_cvt_f32_ubyte1_e32 v6, v3
	v_cvt_f32_ubyte3_e32 v3, v3
	v_mul_f32_e32 v9, v2, v9
	v_cmp_eq_u16_e32 vcc, 0, v12
	v_and_b32_e32 v18, 4, v11
	v_mul_f32_e32 v14, v2, v14
	v_mul_f32_e32 v17, v2, v17
	v_pk_mul_f32 v[6:7], v[2:3], v[6:7] op_sel_hi:[0,1]
	v_pk_mul_f32 v[4:5], v[2:3], v[4:5] op_sel_hi:[0,1]
	v_mul_f32_e32 v2, v2, v3
	v_cndmask_b32_e64 v3, -v9, v9, vcc
	v_cmp_eq_u16_e32 vcc, 0, v15
	v_and_b32_e32 v13, 16, v11
	v_and_b32_e32 v16, 32, v11
	v_cndmask_b32_e64 v9, -v14, v14, vcc
	v_cmp_eq_u16_e32 vcc, 0, v18
	v_and_b32_e32 v19, 8, v11
	s_nop 0
	v_cndmask_b32_e64 v12, -v17, v17, vcc
	v_cmp_eq_u16_e32 vcc, 0, v13
	v_bfe_u32 v13, v12, 16, 1
	v_add3_u32 v13, v12, v13, s0
	v_cndmask_b32_e64 v5, -v5, v5, vcc
	v_cmp_eq_u16_e32 vcc, 0, v16
	v_lshrrev_b32_e32 v13, 16, v13
	v_bfe_u32 v17, v5, 16, 1
	v_cndmask_b32_e64 v6, -v6, v6, vcc
	v_cmp_gt_u32_e32 vcc, 64, v10
	v_bfe_u32 v10, v3, 16, 1
	v_add3_u32 v10, v3, v10, s0
	v_cndmask_b32_e64 v7, -v7, v7, vcc
	v_cmp_eq_u16_e32 vcc, 0, v19
	v_lshrrev_b32_e32 v10, 16, v10
	v_bfe_u32 v15, v7, 16, 1
	v_cndmask_b32_e64 v4, -v4, v4, vcc
	v_cmp_gt_i16_e32 vcc, 0, v11
	v_bfe_u32 v11, v9, 16, 1
	v_add3_u32 v11, v9, v11, s0
	v_cndmask_b32_e64 v2, v2, -v2, vcc
	v_cmp_o_f32_e32 vcc, v3, v3
	v_bfe_u32 v14, v4, 16, 1
	v_lshrrev_b32_e32 v11, 16, v11
	v_cndmask_b32_e32 v3, v8, v10, vcc
	v_cmp_o_f32_e32 vcc, v9, v9
	v_add3_u32 v14, v4, v14, s0
	v_bfe_u32 v16, v6, 16, 1
	v_cndmask_b32_e32 v9, v8, v11, vcc
	v_cmp_o_f32_e32 vcc, v12, v12
	v_add3_u32 v15, v7, v15, s0
	v_lshrrev_b32_e32 v14, 16, v14
	v_cndmask_b32_e32 v10, v8, v13, vcc
	v_cmp_o_f32_e32 vcc, v4, v4
	v_add3_u32 v16, v6, v16, s0
	v_lshrrev_b32_e32 v15, 16, v15
	v_cndmask_b32_e32 v11, v8, v14, vcc
	v_cmp_o_f32_e32 vcc, v7, v7
	v_bfe_u32 v18, v2, 16, 1
	v_add3_u32 v17, v5, v17, s0
	v_lshrrev_b32_e32 v16, 16, v16
	v_cndmask_b32_e32 v7, v8, v15, vcc
	v_cmp_o_f32_e32 vcc, v6, v6
	v_add3_u32 v18, v2, v18, s0
	v_lshrrev_b32_e32 v17, 16, v17
	v_cndmask_b32_e32 v4, v8, v16, vcc
	v_cmp_o_f32_e32 vcc, v5, v5
	v_lshrrev_b32_e32 v18, 16, v18
	s_nop 0
	v_cndmask_b32_e32 v5, v8, v17, vcc
	v_cmp_o_f32_e32 vcc, v2, v2
	v_perm_b32 v4, v4, v5, s1
	v_perm_b32 v2, v9, v3, s1
	v_cndmask_b32_e32 v6, v8, v18, vcc
	v_perm_b32 v5, v6, v7, s1
	v_perm_b32 v3, v11, v10, s1
	global_store_dwordx4 v[0:1], v[2:5], off
	s_endpgm
	.section	.rodata,"a",@progbits
	.p2align	6, 0x0
	.amdhsa_kernel _ZL24dequantize_block_iq3_xxsIN3c108BFloat16EEvPKvPT_
		.amdhsa_group_segment_fixed_size 0
		.amdhsa_private_segment_fixed_size 0
		.amdhsa_kernarg_size 16
		.amdhsa_user_sgpr_count 2
		.amdhsa_user_sgpr_dispatch_ptr 0
		.amdhsa_user_sgpr_queue_ptr 0
		.amdhsa_user_sgpr_kernarg_segment_ptr 1
		.amdhsa_user_sgpr_dispatch_id 0
		.amdhsa_user_sgpr_kernarg_preload_length 0
		.amdhsa_user_sgpr_kernarg_preload_offset 0
		.amdhsa_user_sgpr_private_segment_size 0
		.amdhsa_uses_dynamic_stack 0
		.amdhsa_enable_private_segment 0
		.amdhsa_system_sgpr_workgroup_id_x 1
		.amdhsa_system_sgpr_workgroup_id_y 0
		.amdhsa_system_sgpr_workgroup_id_z 0
		.amdhsa_system_sgpr_workgroup_info 0
		.amdhsa_system_vgpr_workitem_id 0
		.amdhsa_next_free_vgpr 20
		.amdhsa_next_free_sgpr 8
		.amdhsa_accum_offset 20
		.amdhsa_reserve_vcc 1
		.amdhsa_float_round_mode_32 0
		.amdhsa_float_round_mode_16_64 0
		.amdhsa_float_denorm_mode_32 3
		.amdhsa_float_denorm_mode_16_64 3
		.amdhsa_dx10_clamp 1
		.amdhsa_ieee_mode 1
		.amdhsa_fp16_overflow 0
		.amdhsa_tg_split 0
		.amdhsa_exception_fp_ieee_invalid_op 0
		.amdhsa_exception_fp_denorm_src 0
		.amdhsa_exception_fp_ieee_div_zero 0
		.amdhsa_exception_fp_ieee_overflow 0
		.amdhsa_exception_fp_ieee_underflow 0
		.amdhsa_exception_fp_ieee_inexact 0
		.amdhsa_exception_int_div_zero 0
	.end_amdhsa_kernel
	.section	.text._ZL24dequantize_block_iq3_xxsIN3c108BFloat16EEvPKvPT_,"axG",@progbits,_ZL24dequantize_block_iq3_xxsIN3c108BFloat16EEvPKvPT_,comdat
.Lfunc_end50:
	.size	_ZL24dequantize_block_iq3_xxsIN3c108BFloat16EEvPKvPT_, .Lfunc_end50-_ZL24dequantize_block_iq3_xxsIN3c108BFloat16EEvPKvPT_
                                        ; -- End function
	.section	.AMDGPU.csdata,"",@progbits
; Kernel info:
; codeLenInByte = 772
; NumSgprs: 14
; NumVgprs: 20
; NumAgprs: 0
; TotalNumVgprs: 20
; ScratchSize: 0
; MemoryBound: 0
; FloatMode: 240
; IeeeMode: 1
; LDSByteSize: 0 bytes/workgroup (compile time only)
; SGPRBlocks: 1
; VGPRBlocks: 2
; NumSGPRsForWavesPerEU: 14
; NumVGPRsForWavesPerEU: 20
; AccumOffset: 20
; Occupancy: 8
; WaveLimiterHint : 0
; COMPUTE_PGM_RSRC2:SCRATCH_EN: 0
; COMPUTE_PGM_RSRC2:USER_SGPR: 2
; COMPUTE_PGM_RSRC2:TRAP_HANDLER: 0
; COMPUTE_PGM_RSRC2:TGID_X_EN: 1
; COMPUTE_PGM_RSRC2:TGID_Y_EN: 0
; COMPUTE_PGM_RSRC2:TGID_Z_EN: 0
; COMPUTE_PGM_RSRC2:TIDIG_COMP_CNT: 0
; COMPUTE_PGM_RSRC3_GFX90A:ACCUM_OFFSET: 4
; COMPUTE_PGM_RSRC3_GFX90A:TG_SPLIT: 0
	.section	.text._ZL22dequantize_block_iq1_sIN3c108BFloat16EEvPKvPT_,"axG",@progbits,_ZL22dequantize_block_iq1_sIN3c108BFloat16EEvPKvPT_,comdat
	.globl	_ZL22dequantize_block_iq1_sIN3c108BFloat16EEvPKvPT_ ; -- Begin function _ZL22dequantize_block_iq1_sIN3c108BFloat16EEvPKvPT_
	.p2align	8
	.type	_ZL22dequantize_block_iq1_sIN3c108BFloat16EEvPKvPT_,@function
_ZL22dequantize_block_iq1_sIN3c108BFloat16EEvPKvPT_: ; @_ZL22dequantize_block_iq1_sIN3c108BFloat16EEvPKvPT_
; %bb.0:
	s_load_dwordx4 s[4:7], s[0:1], 0x0
	s_mov_b32 s3, 0
	s_lshl_b64 s[0:1], s[2:3], 9
	s_mul_hi_u32 s3, s2, 50
	s_mul_i32 s2, s2, 50
	s_waitcnt lgkmcnt(0)
	s_add_u32 s0, s6, s0
	s_addc_u32 s1, s7, s1
	v_and_b32_e32 v6, 7, v0
	s_add_u32 s2, s4, s2
	v_mov_b32_e32 v3, 0
	s_addc_u32 s3, s5, s3
	v_lshlrev_b32_e32 v1, 1, v6
	v_lshrrev_b32_e32 v2, 3, v0
	global_load_ushort v7, v1, s[2:3] offset:34
	v_lshlrev_b32_e32 v4, 2, v6
	v_mov_b32_e32 v5, v3
	v_lshl_add_u64 v[4:5], v[4:5], 0, v[2:3]
	v_lshl_add_u64 v[4:5], s[2:3], 0, v[4:5]
	global_load_ubyte v1, v[4:5], off offset:2
	global_load_ushort v8, v3, s[2:3]
	v_mul_u32_u24_e32 v2, 3, v2
	s_movk_i32 s4, 0x700
	s_getpc_b64 s[2:3]
	s_add_u32 s2, s2, _ZL13iq1s_grid_gpu@rel32@lo+4
	s_addc_u32 s3, s3, _ZL13iq1s_grid_gpu@rel32@hi+12
	v_mov_b32_e32 v10, 0xbf900000
	v_mov_b32_e32 v11, 0xbf600000
	;; [unrolled: 1-line block ×3, first 2 shown]
	s_waitcnt vmcnt(2)
	v_lshrrev_b32_sdwa v2, v2, v7 dst_sel:DWORD dst_unused:UNUSED_PAD src0_sel:DWORD src1_sel:WORD_0
	v_lshlrev_b32_e32 v2, 8, v2
	v_cmp_lt_i16_e32 vcc, -1, v7
	s_waitcnt vmcnt(1)
	v_and_or_b32 v1, v2, s4, v1
	v_lshlrev_b32_e32 v1, 3, v1
	global_load_dword v9, v1, s[2:3]
	v_mov_b32_e32 v1, v3
	v_and_b32_e32 v2, 0x3f8, v0
	v_lshlrev_b32_e32 v0, 6, v6
	v_lshlrev_b32_e32 v2, 1, v2
	v_lshl_add_u64 v[0:1], s[0:1], 0, v[0:1]
	v_lshl_add_u64 v[4:5], v[0:1], 0, v[2:3]
	s_waitcnt vmcnt(1)
	v_cvt_f32_f16_e32 v1, v8
	v_lshrrev_b16_e32 v2, 11, v7
	v_and_b32_e32 v2, 14, v2
	v_or_b32_e32 v2, 1, v2
	v_cvt_f32_ubyte0_e32 v2, v2
	v_cndmask_b32_e32 v0, v10, v11, vcc
	v_mul_f32_e32 v2, v1, v2
	s_movk_i32 s2, 0x7fff
	s_mov_b32 s3, 0x5040100
	s_waitcnt vmcnt(0)
	v_bfe_u32 v3, v9, 8, 4
	v_and_b32_e32 v6, 15, v9
	v_and_b32_e32 v1, 0xf0f0f0f, v9
	v_cvt_f32_ubyte0_e32 v7, v3
	v_cvt_f32_ubyte0_e32 v6, v6
	v_bfe_u32 v8, v9, 16, 4
	v_lshrrev_b32_e32 v12, 28, v9
	v_bfe_u32 v10, v9, 12, 4
	v_bfe_u32 v13, v9, 4, 4
	;; [unrolled: 1-line block ×3, first 2 shown]
	v_pk_add_f32 v[6:7], v[0:1], v[6:7] op_sel_hi:[0,1]
	v_cvt_f32_ubyte3_e32 v9, v1
	v_cvt_f32_ubyte0_e32 v8, v8
	v_cvt_f32_ubyte0_e32 v11, v10
	;; [unrolled: 1-line block ×5, first 2 shown]
	v_pk_mul_f32 v[6:7], v[2:3], v[6:7] op_sel_hi:[0,1]
	v_pk_add_f32 v[8:9], v[0:1], v[8:9] op_sel_hi:[0,1]
	v_pk_add_f32 v[12:13], v[0:1], v[12:13] op_sel_hi:[0,1]
	;; [unrolled: 1-line block ×3, first 2 shown]
	v_bfe_u32 v10, v6, 16, 1
	v_pk_mul_f32 v[8:9], v[2:3], v[8:9] op_sel_hi:[0,1]
	v_bfe_u32 v11, v7, 16, 1
	v_add3_u32 v10, v6, v10, s2
	v_pk_mul_f32 v[0:1], v[2:3], v[0:1] op_sel_hi:[0,1]
	v_pk_mul_f32 v[2:3], v[2:3], v[12:13] op_sel_hi:[0,1]
	v_bfe_u32 v12, v8, 16, 1
	v_add3_u32 v11, v7, v11, s2
	v_lshrrev_b32_e32 v10, 16, v10
	v_cmp_o_f32_e32 vcc, v6, v6
	v_bfe_u32 v13, v9, 16, 1
	v_add3_u32 v12, v8, v12, s2
	v_lshrrev_b32_e32 v11, 16, v11
	v_cndmask_b32_e32 v6, v14, v10, vcc
	v_cmp_o_f32_e32 vcc, v7, v7
	v_bfe_u32 v15, v0, 16, 1
	v_add3_u32 v13, v9, v13, s2
	v_lshrrev_b32_e32 v12, 16, v12
	v_cndmask_b32_e32 v7, v14, v11, vcc
	;; [unrolled: 5-line block ×5, first 2 shown]
	v_cmp_o_f32_e32 vcc, v1, v1
	v_add3_u32 v18, v3, v18, s2
	v_lshrrev_b32_e32 v17, 16, v17
	v_cndmask_b32_e32 v1, v14, v16, vcc
	v_cmp_o_f32_e32 vcc, v2, v2
	v_lshrrev_b32_e32 v18, 16, v18
	s_nop 0
	v_cndmask_b32_e32 v2, v14, v17, vcc
	v_cmp_o_f32_e32 vcc, v3, v3
	s_nop 1
	v_cndmask_b32_e32 v3, v14, v18, vcc
	v_perm_b32 v3, v3, v2, s3
	v_perm_b32 v2, v1, v0, s3
	;; [unrolled: 1-line block ×4, first 2 shown]
	global_store_dwordx4 v[4:5], v[0:3], off
	s_endpgm
	.section	.rodata,"a",@progbits
	.p2align	6, 0x0
	.amdhsa_kernel _ZL22dequantize_block_iq1_sIN3c108BFloat16EEvPKvPT_
		.amdhsa_group_segment_fixed_size 0
		.amdhsa_private_segment_fixed_size 0
		.amdhsa_kernarg_size 16
		.amdhsa_user_sgpr_count 2
		.amdhsa_user_sgpr_dispatch_ptr 0
		.amdhsa_user_sgpr_queue_ptr 0
		.amdhsa_user_sgpr_kernarg_segment_ptr 1
		.amdhsa_user_sgpr_dispatch_id 0
		.amdhsa_user_sgpr_kernarg_preload_length 0
		.amdhsa_user_sgpr_kernarg_preload_offset 0
		.amdhsa_user_sgpr_private_segment_size 0
		.amdhsa_uses_dynamic_stack 0
		.amdhsa_enable_private_segment 0
		.amdhsa_system_sgpr_workgroup_id_x 1
		.amdhsa_system_sgpr_workgroup_id_y 0
		.amdhsa_system_sgpr_workgroup_id_z 0
		.amdhsa_system_sgpr_workgroup_info 0
		.amdhsa_system_vgpr_workitem_id 0
		.amdhsa_next_free_vgpr 19
		.amdhsa_next_free_sgpr 8
		.amdhsa_accum_offset 20
		.amdhsa_reserve_vcc 1
		.amdhsa_float_round_mode_32 0
		.amdhsa_float_round_mode_16_64 0
		.amdhsa_float_denorm_mode_32 3
		.amdhsa_float_denorm_mode_16_64 3
		.amdhsa_dx10_clamp 1
		.amdhsa_ieee_mode 1
		.amdhsa_fp16_overflow 0
		.amdhsa_tg_split 0
		.amdhsa_exception_fp_ieee_invalid_op 0
		.amdhsa_exception_fp_denorm_src 0
		.amdhsa_exception_fp_ieee_div_zero 0
		.amdhsa_exception_fp_ieee_overflow 0
		.amdhsa_exception_fp_ieee_underflow 0
		.amdhsa_exception_fp_ieee_inexact 0
		.amdhsa_exception_int_div_zero 0
	.end_amdhsa_kernel
	.section	.text._ZL22dequantize_block_iq1_sIN3c108BFloat16EEvPKvPT_,"axG",@progbits,_ZL22dequantize_block_iq1_sIN3c108BFloat16EEvPKvPT_,comdat
.Lfunc_end51:
	.size	_ZL22dequantize_block_iq1_sIN3c108BFloat16EEvPKvPT_, .Lfunc_end51-_ZL22dequantize_block_iq1_sIN3c108BFloat16EEvPKvPT_
                                        ; -- End function
	.section	.AMDGPU.csdata,"",@progbits
; Kernel info:
; codeLenInByte = 716
; NumSgprs: 14
; NumVgprs: 19
; NumAgprs: 0
; TotalNumVgprs: 19
; ScratchSize: 0
; MemoryBound: 0
; FloatMode: 240
; IeeeMode: 1
; LDSByteSize: 0 bytes/workgroup (compile time only)
; SGPRBlocks: 1
; VGPRBlocks: 2
; NumSGPRsForWavesPerEU: 14
; NumVGPRsForWavesPerEU: 19
; AccumOffset: 20
; Occupancy: 8
; WaveLimiterHint : 0
; COMPUTE_PGM_RSRC2:SCRATCH_EN: 0
; COMPUTE_PGM_RSRC2:USER_SGPR: 2
; COMPUTE_PGM_RSRC2:TRAP_HANDLER: 0
; COMPUTE_PGM_RSRC2:TGID_X_EN: 1
; COMPUTE_PGM_RSRC2:TGID_Y_EN: 0
; COMPUTE_PGM_RSRC2:TGID_Z_EN: 0
; COMPUTE_PGM_RSRC2:TIDIG_COMP_CNT: 0
; COMPUTE_PGM_RSRC3_GFX90A:ACCUM_OFFSET: 4
; COMPUTE_PGM_RSRC3_GFX90A:TG_SPLIT: 0
	.section	.text._ZL23dequantize_block_iq4_nlIN3c108BFloat16EEvPKvPT_,"axG",@progbits,_ZL23dequantize_block_iq4_nlIN3c108BFloat16EEvPKvPT_,comdat
	.globl	_ZL23dequantize_block_iq4_nlIN3c108BFloat16EEvPKvPT_ ; -- Begin function _ZL23dequantize_block_iq4_nlIN3c108BFloat16EEvPKvPT_
	.p2align	8
	.type	_ZL23dequantize_block_iq4_nlIN3c108BFloat16EEvPKvPT_,@function
_ZL23dequantize_block_iq4_nlIN3c108BFloat16EEvPKvPT_: ; @_ZL23dequantize_block_iq4_nlIN3c108BFloat16EEvPKvPT_
; %bb.0:
	s_load_dwordx4 s[4:7], s[0:1], 0x0
	s_lshl_b32 s0, s2, 3
	s_mul_i32 s1, s2, 0x90
	s_mul_hi_u32 s3, s0, 18
	v_and_b32_e32 v1, 7, v0
	s_waitcnt lgkmcnt(0)
	s_add_u32 s0, s4, s1
	s_addc_u32 s1, s5, s3
	s_lshl_b32 s2, s2, 8
	s_mov_b32 s3, 0
	s_lshl_b64 s[4:5], s[2:3], 1
	s_add_u32 s4, s6, s4
	s_addc_u32 s5, s7, s5
	v_lshlrev_b32_e32 v2, 6, v1
	v_mov_b32_e32 v3, 0
	v_lshrrev_b32_e32 v0, 1, v0
	v_lshl_add_u64 v[4:5], s[4:5], 0, v[2:3]
	v_and_b32_e32 v2, 0x1fc, v0
	v_mad_u64_u32 v[0:1], s[0:1], v1, 18, s[0:1]
	v_lshl_add_u64 v[6:7], v[0:1], 0, v[2:3]
	global_load_dword v8, v[6:7], off offset:2
	global_load_ushort v9, v[0:1], off
	v_mov_b32_e32 v1, s3
	s_getpc_b64 s[0:1]
	s_add_u32 s0, s0, _ZL13kvalues_iq4nl@rel32@lo+4
	s_addc_u32 s1, s1, _ZL13kvalues_iq4nl@rel32@hi+12
	v_mov_b32_e32 v10, 4
	v_mov_b32_e32 v7, s3
	s_waitcnt vmcnt(1)
	v_lshrrev_b32_e32 v0, 8, v8
	v_lshrrev_b16_e32 v6, 4, v8
	v_and_b32_e32 v6, 15, v6
	v_lshrrev_b16_e32 v16, 4, v0
	v_and_b32_e32 v0, 0xffff, v6
	v_and_b32_e32 v6, 15, v16
	v_and_b32_e32 v11, 15, v8
	v_lshl_add_u64 v[0:1], v[0:1], 0, s[0:1]
	v_and_b32_e32 v6, 0xffff, v6
	v_bfe_u32 v12, v8, 8, 4
	v_bfe_u32 v13, v8, 16, 4
	;; [unrolled: 1-line block ×4, first 2 shown]
	v_lshl_add_u64 v[6:7], v[6:7], 0, s[0:1]
	global_load_sbyte v16, v11, s[0:1]
	global_load_sbyte v17, v[0:1], off
	global_load_sbyte v18, v12, s[0:1]
	global_load_sbyte v19, v[6:7], off
	global_load_sbyte v20, v13, s[0:1]
	global_load_sbyte v21, v14, s[0:1]
	;; [unrolled: 1-line block ×3, first 2 shown]
	v_lshlrev_b32_e32 v0, 1, v2
	v_lshrrev_b16_sdwa v2, v10, v8 dst_sel:DWORD dst_unused:UNUSED_PAD src0_sel:DWORD src1_sel:BYTE_3
	v_lshl_add_u64 v[6:7], v[2:3], 0, s[0:1]
	global_load_sbyte v11, v[6:7], off
	v_mov_b32_e32 v1, v3
	v_lshl_add_u64 v[0:1], v[4:5], 0, v[0:1]
	s_waitcnt vmcnt(8)
	v_cvt_f32_f16_e32 v2, v9
	s_movk_i32 s0, 0x7fff
	v_mov_b32_e32 v12, 0x7fc0
	s_mov_b32 s1, 0x5040100
	s_waitcnt vmcnt(7)
	v_cvt_f32_i32_e32 v4, v16
	s_waitcnt vmcnt(6)
	v_cvt_f32_i32_e32 v6, v17
	;; [unrolled: 2-line block ×7, first 2 shown]
	v_pk_mul_f32 v[4:5], v[2:3], v[4:5] op_sel_hi:[0,1]
	v_bfe_u32 v13, v4, 16, 1
	v_bfe_u32 v14, v5, 16, 1
	s_waitcnt vmcnt(0)
	v_cvt_f32_i32_e32 v11, v11
	v_pk_mul_f32 v[8:9], v[2:3], v[8:9] op_sel_hi:[0,1]
	v_add3_u32 v13, v4, v13, s0
	v_add3_u32 v14, v5, v14, s0
	v_pk_mul_f32 v[10:11], v[2:3], v[10:11] op_sel_hi:[0,1]
	v_pk_mul_f32 v[2:3], v[2:3], v[6:7] op_sel_hi:[0,1]
	v_bfe_u32 v6, v8, 16, 1
	v_lshrrev_b32_e32 v13, 16, v13
	v_cmp_o_f32_e32 vcc, v4, v4
	v_bfe_u32 v7, v9, 16, 1
	v_add3_u32 v6, v8, v6, s0
	v_lshrrev_b32_e32 v14, 16, v14
	v_cndmask_b32_e32 v4, v12, v13, vcc
	v_cmp_o_f32_e32 vcc, v5, v5
	v_bfe_u32 v15, v10, 16, 1
	v_add3_u32 v7, v9, v7, s0
	v_lshrrev_b32_e32 v6, 16, v6
	v_cndmask_b32_e32 v5, v12, v14, vcc
	;; [unrolled: 5-line block ×5, first 2 shown]
	v_cmp_o_f32_e32 vcc, v11, v11
	v_add3_u32 v18, v3, v18, s0
	v_lshrrev_b32_e32 v15, 16, v17
	v_cndmask_b32_e32 v9, v12, v14, vcc
	v_cmp_o_f32_e32 vcc, v2, v2
	v_lshrrev_b32_e32 v16, 16, v18
	v_perm_b32 v4, v5, v4, s1
	v_cndmask_b32_e32 v2, v12, v15, vcc
	v_cmp_o_f32_e32 vcc, v3, v3
	v_perm_b32 v5, v7, v6, s1
	v_perm_b32 v3, v9, v8, s1
	v_cndmask_b32_e32 v10, v12, v16, vcc
	v_perm_b32 v2, v10, v2, s1
	global_store_dwordx2 v[0:1], v[4:5], off
	global_store_dwordx2 v[0:1], v[2:3], off offset:32
	s_endpgm
	.section	.rodata,"a",@progbits
	.p2align	6, 0x0
	.amdhsa_kernel _ZL23dequantize_block_iq4_nlIN3c108BFloat16EEvPKvPT_
		.amdhsa_group_segment_fixed_size 0
		.amdhsa_private_segment_fixed_size 0
		.amdhsa_kernarg_size 16
		.amdhsa_user_sgpr_count 2
		.amdhsa_user_sgpr_dispatch_ptr 0
		.amdhsa_user_sgpr_queue_ptr 0
		.amdhsa_user_sgpr_kernarg_segment_ptr 1
		.amdhsa_user_sgpr_dispatch_id 0
		.amdhsa_user_sgpr_kernarg_preload_length 0
		.amdhsa_user_sgpr_kernarg_preload_offset 0
		.amdhsa_user_sgpr_private_segment_size 0
		.amdhsa_uses_dynamic_stack 0
		.amdhsa_enable_private_segment 0
		.amdhsa_system_sgpr_workgroup_id_x 1
		.amdhsa_system_sgpr_workgroup_id_y 0
		.amdhsa_system_sgpr_workgroup_id_z 0
		.amdhsa_system_sgpr_workgroup_info 0
		.amdhsa_system_vgpr_workitem_id 0
		.amdhsa_next_free_vgpr 23
		.amdhsa_next_free_sgpr 8
		.amdhsa_accum_offset 24
		.amdhsa_reserve_vcc 1
		.amdhsa_float_round_mode_32 0
		.amdhsa_float_round_mode_16_64 0
		.amdhsa_float_denorm_mode_32 3
		.amdhsa_float_denorm_mode_16_64 3
		.amdhsa_dx10_clamp 1
		.amdhsa_ieee_mode 1
		.amdhsa_fp16_overflow 0
		.amdhsa_tg_split 0
		.amdhsa_exception_fp_ieee_invalid_op 0
		.amdhsa_exception_fp_denorm_src 0
		.amdhsa_exception_fp_ieee_div_zero 0
		.amdhsa_exception_fp_ieee_overflow 0
		.amdhsa_exception_fp_ieee_underflow 0
		.amdhsa_exception_fp_ieee_inexact 0
		.amdhsa_exception_int_div_zero 0
	.end_amdhsa_kernel
	.section	.text._ZL23dequantize_block_iq4_nlIN3c108BFloat16EEvPKvPT_,"axG",@progbits,_ZL23dequantize_block_iq4_nlIN3c108BFloat16EEvPKvPT_,comdat
.Lfunc_end52:
	.size	_ZL23dequantize_block_iq4_nlIN3c108BFloat16EEvPKvPT_, .Lfunc_end52-_ZL23dequantize_block_iq4_nlIN3c108BFloat16EEvPKvPT_
                                        ; -- End function
	.section	.AMDGPU.csdata,"",@progbits
; Kernel info:
; codeLenInByte = 740
; NumSgprs: 14
; NumVgprs: 23
; NumAgprs: 0
; TotalNumVgprs: 23
; ScratchSize: 0
; MemoryBound: 0
; FloatMode: 240
; IeeeMode: 1
; LDSByteSize: 0 bytes/workgroup (compile time only)
; SGPRBlocks: 1
; VGPRBlocks: 2
; NumSGPRsForWavesPerEU: 14
; NumVGPRsForWavesPerEU: 23
; AccumOffset: 24
; Occupancy: 8
; WaveLimiterHint : 0
; COMPUTE_PGM_RSRC2:SCRATCH_EN: 0
; COMPUTE_PGM_RSRC2:USER_SGPR: 2
; COMPUTE_PGM_RSRC2:TRAP_HANDLER: 0
; COMPUTE_PGM_RSRC2:TGID_X_EN: 1
; COMPUTE_PGM_RSRC2:TGID_Y_EN: 0
; COMPUTE_PGM_RSRC2:TGID_Z_EN: 0
; COMPUTE_PGM_RSRC2:TIDIG_COMP_CNT: 0
; COMPUTE_PGM_RSRC3_GFX90A:ACCUM_OFFSET: 5
; COMPUTE_PGM_RSRC3_GFX90A:TG_SPLIT: 0
	.section	.text._ZL22dequantize_block_iq3_sIN3c108BFloat16EEvPKvPT_,"axG",@progbits,_ZL22dequantize_block_iq3_sIN3c108BFloat16EEvPKvPT_,comdat
	.globl	_ZL22dequantize_block_iq3_sIN3c108BFloat16EEvPKvPT_ ; -- Begin function _ZL22dequantize_block_iq3_sIN3c108BFloat16EEvPKvPT_
	.p2align	8
	.type	_ZL22dequantize_block_iq3_sIN3c108BFloat16EEvPKvPT_,@function
_ZL22dequantize_block_iq3_sIN3c108BFloat16EEvPKvPT_: ; @_ZL22dequantize_block_iq3_sIN3c108BFloat16EEvPKvPT_
; %bb.0:
	s_load_dwordx4 s[4:7], s[0:1], 0x0
	s_lshl_b32 s0, s2, 8
	s_mov_b32 s1, 0
	s_lshl_b64 s[0:1], s[0:1], 1
	v_and_b32_e32 v8, 7, v0
	s_waitcnt lgkmcnt(0)
	s_add_u32 s0, s6, s0
	s_addc_u32 s1, s7, s1
	v_lshlrev_b32_e32 v4, 6, v8
	v_mov_b32_e32 v5, 0
	v_lshl_add_u64 v[2:3], s[0:1], 0, v[4:5]
	v_and_b32_e32 v4, 0x3f8, v0
	s_mul_hi_u32 s1, s2, 0x6e
	s_mulk_i32 s2, 0x6e
	v_lshlrev_b32_e32 v4, 1, v4
	s_add_u32 s0, s4, s2
	v_lshrrev_b32_e32 v1, 3, v0
	v_lshl_add_u64 v[2:3], v[2:3], 0, v[4:5]
	s_addc_u32 s1, s5, s1
	v_lshlrev_b32_e32 v4, 3, v8
	v_lshl_add_u64 v[6:7], s[0:1], 0, v[4:5]
	v_lshlrev_b32_e32 v4, 1, v1
	v_bfe_u32 v9, v0, 1, 2
	v_lshl_add_u32 v1, v8, 2, v1
	v_lshl_add_u64 v[6:7], v[6:7], 0, v[4:5]
	global_load_ubyte v9, v9, s[0:1] offset:106
	s_nop 0
	global_load_sbyte v10, v1, s[0:1] offset:74
	global_load_ushort v11, v[6:7], off offset:2
	global_load_ubyte v12, v8, s[0:1] offset:66
	global_load_ushort v13, v5, s[0:1]
	v_sub_u32_e32 v1, 8, v4
	s_movk_i32 s2, 0x100
	v_sub_u32_e32 v4, 7, v4
	s_getpc_b64 s[0:1]
	s_add_u32 s0, s0, _ZL10iq3xs_grid@rel32@lo+4
	s_addc_u32 s1, s1, _ZL10iq3xs_grid@rel32@hi+12
	v_lshlrev_b32_e32 v0, 2, v0
	v_and_b32_e32 v0, 4, v0
	s_waitcnt vmcnt(3)
	v_and_b32_e32 v7, 1, v10
	s_waitcnt vmcnt(2)
	;; [unrolled: 2-line block ×3, first 2 shown]
	v_lshlrev_b32_e32 v1, v1, v12
	v_lshrrev_b16_e32 v6, 8, v11
	v_lshlrev_b32_e32 v4, v4, v12
	v_and_or_b32 v1, v1, s2, v5
	v_and_or_b32 v4, v4, s2, v6
	v_lshlrev_b32_e32 v1, 2, v1
	v_lshlrev_b32_e32 v4, 2, v4
	global_load_dword v5, v1, s[0:1]
	global_load_dword v6, v4, s[0:1]
	s_waitcnt vmcnt(2)
	v_cvt_f32_f16_e32 v4, v13
	v_bfe_u32 v0, v9, v0, 4
	v_cvt_f32_ubyte0_e32 v0, v0
	v_add_f32_e32 v0, 0.5, v0
	v_mul_f32_e32 v0, v0, v4
	v_mul_f32_e32 v0, 0.5, v0
	v_and_b32_e32 v8, 16, v10
	v_cmp_eq_u16_e32 vcc, 0, v7
	v_and_b32_e32 v9, 2, v10
	v_and_b32_e32 v11, 32, v10
	;; [unrolled: 1-line block ×4, first 2 shown]
	s_movk_i32 s0, 0x7fff
	v_and_b32_e32 v13, 64, v10
	v_mov_b32_e32 v1, 0x7fc0
	s_mov_b32 s1, 0x5040100
	s_waitcnt vmcnt(1)
	v_cvt_f32_ubyte0_e32 v4, v5
	s_waitcnt vmcnt(0)
	v_cvt_f32_ubyte0_e32 v15, v6
	v_mul_f32_e32 v4, v0, v4
	v_cvt_f32_ubyte1_e32 v16, v5
	v_cvt_f32_ubyte1_e32 v17, v6
	v_cvt_f32_ubyte2_e32 v18, v5
	v_cvt_f32_ubyte2_e32 v19, v6
	v_cvt_f32_ubyte3_e32 v5, v5
	v_cvt_f32_ubyte3_e32 v6, v6
	v_mul_f32_e32 v15, v0, v15
	v_cndmask_b32_e64 v4, -v4, v4, vcc
	v_cmp_eq_u16_e32 vcc, 0, v8
	v_mul_f32_e32 v16, v0, v16
	v_mul_f32_e32 v17, v0, v17
	;; [unrolled: 1-line block ×6, first 2 shown]
	v_cndmask_b32_e64 v6, -v15, v15, vcc
	v_cmp_eq_u16_e32 vcc, 0, v9
	s_nop 1
	v_cndmask_b32_e64 v7, -v16, v16, vcc
	v_cmp_eq_u16_e32 vcc, 0, v11
	v_bfe_u32 v11, v4, 16, 1
	v_add3_u32 v11, v4, v11, s0
	v_cndmask_b32_e64 v8, -v17, v17, vcc
	v_cmp_eq_u16_e32 vcc, 0, v12
	v_bfe_u32 v12, v6, 16, 1
	v_add3_u32 v12, v6, v12, s0
	v_cndmask_b32_e64 v9, -v18, v18, vcc
	v_cmp_eq_u16_e32 vcc, 0, v14
	v_lshrrev_b32_e32 v11, 16, v11
	v_bfe_u32 v14, v8, 16, 1
	v_cndmask_b32_e64 v5, -v5, v5, vcc
	v_cmp_gt_i16_e32 vcc, 0, v10
	v_lshrrev_b32_e32 v12, 16, v12
	v_bfe_u32 v15, v9, 16, 1
	v_cndmask_b32_e64 v0, v0, -v0, vcc
	v_cmp_eq_u16_e32 vcc, 0, v13
	v_bfe_u32 v13, v7, 16, 1
	v_add3_u32 v13, v7, v13, s0
	v_cndmask_b32_e64 v10, -v19, v19, vcc
	v_cmp_o_f32_e32 vcc, v4, v4
	v_add3_u32 v14, v8, v14, s0
	v_lshrrev_b32_e32 v13, 16, v13
	v_cndmask_b32_e32 v4, v1, v11, vcc
	v_cmp_o_f32_e32 vcc, v6, v6
	v_bfe_u32 v16, v5, 16, 1
	v_add3_u32 v15, v9, v15, s0
	v_cndmask_b32_e32 v6, v1, v12, vcc
	v_cmp_o_f32_e32 vcc, v7, v7
	v_lshrrev_b32_e32 v14, 16, v14
	v_bfe_u32 v17, v10, 16, 1
	v_cndmask_b32_e32 v11, v1, v13, vcc
	v_cmp_o_f32_e32 vcc, v8, v8
	v_add3_u32 v16, v5, v16, s0
	v_lshrrev_b32_e32 v15, 16, v15
	v_cndmask_b32_e32 v8, v1, v14, vcc
	v_cmp_o_f32_e32 vcc, v9, v9
	v_bfe_u32 v18, v0, 16, 1
	v_add3_u32 v17, v10, v17, s0
	v_lshrrev_b32_e32 v16, 16, v16
	v_cndmask_b32_e32 v9, v1, v15, vcc
	v_cmp_o_f32_e32 vcc, v5, v5
	v_add3_u32 v18, v0, v18, s0
	v_lshrrev_b32_e32 v17, 16, v17
	v_cndmask_b32_e32 v5, v1, v16, vcc
	v_cmp_o_f32_e32 vcc, v10, v10
	v_lshrrev_b32_e32 v18, 16, v18
	v_perm_b32 v6, v8, v6, s1
	v_cndmask_b32_e32 v7, v1, v17, vcc
	v_cmp_o_f32_e32 vcc, v0, v0
	v_perm_b32 v5, v5, v9, s1
	v_perm_b32 v4, v11, v4, s1
	v_cndmask_b32_e32 v0, v1, v18, vcc
	v_perm_b32 v7, v0, v7, s1
	global_store_dwordx4 v[2:3], v[4:7], off
	s_endpgm
	.section	.rodata,"a",@progbits
	.p2align	6, 0x0
	.amdhsa_kernel _ZL22dequantize_block_iq3_sIN3c108BFloat16EEvPKvPT_
		.amdhsa_group_segment_fixed_size 0
		.amdhsa_private_segment_fixed_size 0
		.amdhsa_kernarg_size 16
		.amdhsa_user_sgpr_count 2
		.amdhsa_user_sgpr_dispatch_ptr 0
		.amdhsa_user_sgpr_queue_ptr 0
		.amdhsa_user_sgpr_kernarg_segment_ptr 1
		.amdhsa_user_sgpr_dispatch_id 0
		.amdhsa_user_sgpr_kernarg_preload_length 0
		.amdhsa_user_sgpr_kernarg_preload_offset 0
		.amdhsa_user_sgpr_private_segment_size 0
		.amdhsa_uses_dynamic_stack 0
		.amdhsa_enable_private_segment 0
		.amdhsa_system_sgpr_workgroup_id_x 1
		.amdhsa_system_sgpr_workgroup_id_y 0
		.amdhsa_system_sgpr_workgroup_id_z 0
		.amdhsa_system_sgpr_workgroup_info 0
		.amdhsa_system_vgpr_workitem_id 0
		.amdhsa_next_free_vgpr 20
		.amdhsa_next_free_sgpr 8
		.amdhsa_accum_offset 20
		.amdhsa_reserve_vcc 1
		.amdhsa_float_round_mode_32 0
		.amdhsa_float_round_mode_16_64 0
		.amdhsa_float_denorm_mode_32 3
		.amdhsa_float_denorm_mode_16_64 3
		.amdhsa_dx10_clamp 1
		.amdhsa_ieee_mode 1
		.amdhsa_fp16_overflow 0
		.amdhsa_tg_split 0
		.amdhsa_exception_fp_ieee_invalid_op 0
		.amdhsa_exception_fp_denorm_src 0
		.amdhsa_exception_fp_ieee_div_zero 0
		.amdhsa_exception_fp_ieee_overflow 0
		.amdhsa_exception_fp_ieee_underflow 0
		.amdhsa_exception_fp_ieee_inexact 0
		.amdhsa_exception_int_div_zero 0
	.end_amdhsa_kernel
	.section	.text._ZL22dequantize_block_iq3_sIN3c108BFloat16EEvPKvPT_,"axG",@progbits,_ZL22dequantize_block_iq3_sIN3c108BFloat16EEvPKvPT_,comdat
.Lfunc_end53:
	.size	_ZL22dequantize_block_iq3_sIN3c108BFloat16EEvPKvPT_, .Lfunc_end53-_ZL22dequantize_block_iq3_sIN3c108BFloat16EEvPKvPT_
                                        ; -- End function
	.section	.AMDGPU.csdata,"",@progbits
; Kernel info:
; codeLenInByte = 812
; NumSgprs: 14
; NumVgprs: 20
; NumAgprs: 0
; TotalNumVgprs: 20
; ScratchSize: 0
; MemoryBound: 0
; FloatMode: 240
; IeeeMode: 1
; LDSByteSize: 0 bytes/workgroup (compile time only)
; SGPRBlocks: 1
; VGPRBlocks: 2
; NumSGPRsForWavesPerEU: 14
; NumVGPRsForWavesPerEU: 20
; AccumOffset: 20
; Occupancy: 8
; WaveLimiterHint : 0
; COMPUTE_PGM_RSRC2:SCRATCH_EN: 0
; COMPUTE_PGM_RSRC2:USER_SGPR: 2
; COMPUTE_PGM_RSRC2:TRAP_HANDLER: 0
; COMPUTE_PGM_RSRC2:TGID_X_EN: 1
; COMPUTE_PGM_RSRC2:TGID_Y_EN: 0
; COMPUTE_PGM_RSRC2:TGID_Z_EN: 0
; COMPUTE_PGM_RSRC2:TIDIG_COMP_CNT: 0
; COMPUTE_PGM_RSRC3_GFX90A:ACCUM_OFFSET: 4
; COMPUTE_PGM_RSRC3_GFX90A:TG_SPLIT: 0
	.section	.text._ZL22dequantize_block_iq2_sIN3c108BFloat16EEvPKvPT_,"axG",@progbits,_ZL22dequantize_block_iq2_sIN3c108BFloat16EEvPKvPT_,comdat
	.globl	_ZL22dequantize_block_iq2_sIN3c108BFloat16EEvPKvPT_ ; -- Begin function _ZL22dequantize_block_iq2_sIN3c108BFloat16EEvPKvPT_
	.p2align	8
	.type	_ZL22dequantize_block_iq2_sIN3c108BFloat16EEvPKvPT_,@function
_ZL22dequantize_block_iq2_sIN3c108BFloat16EEvPKvPT_: ; @_ZL22dequantize_block_iq2_sIN3c108BFloat16EEvPKvPT_
; %bb.0:
	s_load_dwordx4 s[4:7], s[0:1], 0x0
	s_lshl_b32 s0, s2, 8
	s_mov_b32 s1, 0
	s_lshl_b64 s[0:1], s[0:1], 1
	v_and_b32_e32 v1, 7, v0
	s_waitcnt lgkmcnt(0)
	s_add_u32 s0, s6, s0
	s_addc_u32 s1, s7, s1
	v_lshlrev_b32_e32 v6, 6, v1
	v_mov_b32_e32 v7, 0
	v_lshl_add_u64 v[2:3], s[0:1], 0, v[6:7]
	v_and_b32_e32 v5, 0x3f8, v0
	s_mul_hi_u32 s1, s2, 0x52
	s_mulk_i32 s2, 0x52
	v_lshlrev_b32_e32 v6, 1, v5
	s_add_u32 s0, s4, s2
	v_lshrrev_b32_e32 v4, 3, v0
	v_lshl_add_u64 v[2:3], v[2:3], 0, v[6:7]
	s_addc_u32 s1, s5, s1
	v_lshlrev_b32_e32 v6, 2, v1
	v_add_u32_e32 v5, v6, v4
	global_load_ubyte v10, v1, s[0:1] offset:66
	global_load_ubyte v11, v5, s[0:1] offset:2
	v_mov_b32_e32 v5, v7
	s_add_u32 s2, s0, 2
	v_lshl_add_u64 v[8:9], v[4:5], 0, v[6:7]
	s_addc_u32 s3, s1, 0
	v_lshl_add_u64 v[8:9], s[2:3], 0, v[8:9]
	global_load_ushort v6, v7, s[0:1]
	global_load_sbyte v12, v[8:9], off offset:32
	global_load_ubyte v13, v1, s[0:1] offset:74
	v_lshlrev_b32_e32 v1, 1, v4
	v_sub_u32_e32 v1, 8, v1
	s_movk_i32 s2, 0x300
	s_getpc_b64 s[0:1]
	s_add_u32 s0, s0, _ZL9iq2s_grid@rel32@lo+4
	s_addc_u32 s1, s1, _ZL9iq2s_grid@rel32@hi+12
	v_lshrrev_b32_e32 v0, 2, v0
	v_and_b32_e32 v0, 0xfc, v0
	s_waitcnt vmcnt(4)
	v_lshlrev_b32_e32 v1, v1, v10
	s_waitcnt vmcnt(3)
	v_and_or_b32 v1, v1, s2, v11
	v_lshlrev_b32_e32 v1, 3, v1
	global_load_dwordx2 v[4:5], v1, s[0:1]
	s_movk_i32 s0, 0x7fff
	s_waitcnt vmcnt(3)
	v_cvt_f32_f16_e32 v6, v6
	s_waitcnt vmcnt(2)
	v_and_b32_e32 v7, 1, v12
	s_waitcnt vmcnt(1)
	v_bfe_u32 v0, v13, v0, 4
	v_cvt_f32_ubyte0_e32 v0, v0
	v_add_f32_e32 v0, 0.5, v0
	v_mul_f32_e32 v0, v0, v6
	v_mul_f32_e32 v0, 0x3e800000, v0
	v_and_b32_e32 v8, 2, v12
	v_cmp_eq_u16_e32 vcc, 0, v7
	v_and_b32_e32 v9, 4, v12
	v_and_b32_e32 v10, 8, v12
	;; [unrolled: 1-line block ×5, first 2 shown]
	v_mov_b32_e32 v1, 0x7fc0
	s_mov_b32 s1, 0x5040100
	s_waitcnt vmcnt(0)
	v_cvt_f32_ubyte0_e32 v6, v4
	v_cvt_f32_ubyte1_e32 v15, v4
	v_cvt_f32_ubyte2_e32 v16, v4
	v_cvt_f32_ubyte3_e32 v4, v4
	v_cvt_f32_ubyte0_e32 v17, v5
	v_cvt_f32_ubyte1_e32 v18, v5
	v_cvt_f32_ubyte2_e32 v19, v5
	v_cvt_f32_ubyte3_e32 v5, v5
	v_mul_f32_e32 v6, v0, v6
	v_mul_f32_e32 v15, v0, v15
	;; [unrolled: 1-line block ×8, first 2 shown]
	v_cndmask_b32_e64 v5, -v6, v6, vcc
	v_cmp_eq_u16_e32 vcc, 0, v8
	s_nop 1
	v_cndmask_b32_e64 v6, -v15, v15, vcc
	v_cmp_eq_u16_e32 vcc, 0, v9
	s_nop 1
	;; [unrolled: 3-line block ×3, first 2 shown]
	v_cndmask_b32_e64 v4, -v4, v4, vcc
	v_cmp_eq_u16_e32 vcc, 0, v11
	v_bfe_u32 v11, v5, 16, 1
	v_add3_u32 v11, v5, v11, s0
	v_cndmask_b32_e64 v8, -v17, v17, vcc
	v_cmp_eq_u16_e32 vcc, 0, v13
	v_bfe_u32 v13, v7, 16, 1
	v_lshrrev_b32_e32 v11, 16, v11
	v_cndmask_b32_e64 v9, -v18, v18, vcc
	v_cmp_gt_i16_e32 vcc, 0, v12
	v_bfe_u32 v12, v6, 16, 1
	v_add3_u32 v12, v6, v12, s0
	v_cndmask_b32_e64 v0, v0, -v0, vcc
	v_cmp_eq_u16_e32 vcc, 0, v14
	v_bfe_u32 v14, v4, 16, 1
	v_add3_u32 v13, v7, v13, s0
	v_cndmask_b32_e64 v10, -v19, v19, vcc
	v_cmp_o_f32_e32 vcc, v5, v5
	v_lshrrev_b32_e32 v12, 16, v12
	v_bfe_u32 v15, v8, 16, 1
	v_cndmask_b32_e32 v11, v1, v11, vcc
	v_cmp_o_f32_e32 vcc, v6, v6
	v_add3_u32 v14, v4, v14, s0
	v_lshrrev_b32_e32 v13, 16, v13
	v_cndmask_b32_e32 v12, v1, v12, vcc
	v_cmp_o_f32_e32 vcc, v7, v7
	v_bfe_u32 v16, v9, 16, 1
	v_add3_u32 v15, v8, v15, s0
	v_lshrrev_b32_e32 v14, 16, v14
	v_cndmask_b32_e32 v5, v1, v13, vcc
	v_cmp_o_f32_e32 vcc, v4, v4
	v_bfe_u32 v17, v10, 16, 1
	;; [unrolled: 5-line block ×3, first 2 shown]
	v_add3_u32 v17, v10, v17, s0
	v_lshrrev_b32_e32 v16, 16, v16
	v_cndmask_b32_e32 v6, v1, v15, vcc
	v_cmp_o_f32_e32 vcc, v9, v9
	v_add3_u32 v18, v0, v18, s0
	v_lshrrev_b32_e32 v17, 16, v17
	v_cndmask_b32_e32 v8, v1, v16, vcc
	v_cmp_o_f32_e32 vcc, v10, v10
	v_lshrrev_b32_e32 v18, 16, v18
	v_perm_b32 v6, v8, v6, s1
	v_cndmask_b32_e32 v7, v1, v17, vcc
	v_cmp_o_f32_e32 vcc, v0, v0
	v_perm_b32 v5, v4, v5, s1
	v_perm_b32 v4, v12, v11, s1
	v_cndmask_b32_e32 v0, v1, v18, vcc
	v_perm_b32 v7, v0, v7, s1
	global_store_dwordx4 v[2:3], v[4:7], off
	s_endpgm
	.section	.rodata,"a",@progbits
	.p2align	6, 0x0
	.amdhsa_kernel _ZL22dequantize_block_iq2_sIN3c108BFloat16EEvPKvPT_
		.amdhsa_group_segment_fixed_size 0
		.amdhsa_private_segment_fixed_size 0
		.amdhsa_kernarg_size 16
		.amdhsa_user_sgpr_count 2
		.amdhsa_user_sgpr_dispatch_ptr 0
		.amdhsa_user_sgpr_queue_ptr 0
		.amdhsa_user_sgpr_kernarg_segment_ptr 1
		.amdhsa_user_sgpr_dispatch_id 0
		.amdhsa_user_sgpr_kernarg_preload_length 0
		.amdhsa_user_sgpr_kernarg_preload_offset 0
		.amdhsa_user_sgpr_private_segment_size 0
		.amdhsa_uses_dynamic_stack 0
		.amdhsa_enable_private_segment 0
		.amdhsa_system_sgpr_workgroup_id_x 1
		.amdhsa_system_sgpr_workgroup_id_y 0
		.amdhsa_system_sgpr_workgroup_id_z 0
		.amdhsa_system_sgpr_workgroup_info 0
		.amdhsa_system_vgpr_workitem_id 0
		.amdhsa_next_free_vgpr 20
		.amdhsa_next_free_sgpr 8
		.amdhsa_accum_offset 20
		.amdhsa_reserve_vcc 1
		.amdhsa_float_round_mode_32 0
		.amdhsa_float_round_mode_16_64 0
		.amdhsa_float_denorm_mode_32 3
		.amdhsa_float_denorm_mode_16_64 3
		.amdhsa_dx10_clamp 1
		.amdhsa_ieee_mode 1
		.amdhsa_fp16_overflow 0
		.amdhsa_tg_split 0
		.amdhsa_exception_fp_ieee_invalid_op 0
		.amdhsa_exception_fp_denorm_src 0
		.amdhsa_exception_fp_ieee_div_zero 0
		.amdhsa_exception_fp_ieee_overflow 0
		.amdhsa_exception_fp_ieee_underflow 0
		.amdhsa_exception_fp_ieee_inexact 0
		.amdhsa_exception_int_div_zero 0
	.end_amdhsa_kernel
	.section	.text._ZL22dequantize_block_iq2_sIN3c108BFloat16EEvPKvPT_,"axG",@progbits,_ZL22dequantize_block_iq2_sIN3c108BFloat16EEvPKvPT_,comdat
.Lfunc_end54:
	.size	_ZL22dequantize_block_iq2_sIN3c108BFloat16EEvPKvPT_, .Lfunc_end54-_ZL22dequantize_block_iq2_sIN3c108BFloat16EEvPKvPT_
                                        ; -- End function
	.section	.AMDGPU.csdata,"",@progbits
; Kernel info:
; codeLenInByte = 784
; NumSgprs: 14
; NumVgprs: 20
; NumAgprs: 0
; TotalNumVgprs: 20
; ScratchSize: 0
; MemoryBound: 0
; FloatMode: 240
; IeeeMode: 1
; LDSByteSize: 0 bytes/workgroup (compile time only)
; SGPRBlocks: 1
; VGPRBlocks: 2
; NumSGPRsForWavesPerEU: 14
; NumVGPRsForWavesPerEU: 20
; AccumOffset: 20
; Occupancy: 8
; WaveLimiterHint : 0
; COMPUTE_PGM_RSRC2:SCRATCH_EN: 0
; COMPUTE_PGM_RSRC2:USER_SGPR: 2
; COMPUTE_PGM_RSRC2:TRAP_HANDLER: 0
; COMPUTE_PGM_RSRC2:TGID_X_EN: 1
; COMPUTE_PGM_RSRC2:TGID_Y_EN: 0
; COMPUTE_PGM_RSRC2:TGID_Z_EN: 0
; COMPUTE_PGM_RSRC2:TIDIG_COMP_CNT: 0
; COMPUTE_PGM_RSRC3_GFX90A:ACCUM_OFFSET: 4
; COMPUTE_PGM_RSRC3_GFX90A:TG_SPLIT: 0
	.section	.text._ZL23dequantize_block_iq4_xsIN3c108BFloat16EEvPKvPT_,"axG",@progbits,_ZL23dequantize_block_iq4_xsIN3c108BFloat16EEvPKvPT_,comdat
	.globl	_ZL23dequantize_block_iq4_xsIN3c108BFloat16EEvPKvPT_ ; -- Begin function _ZL23dequantize_block_iq4_xsIN3c108BFloat16EEvPKvPT_
	.p2align	8
	.type	_ZL23dequantize_block_iq4_xsIN3c108BFloat16EEvPKvPT_,@function
_ZL23dequantize_block_iq4_xsIN3c108BFloat16EEvPKvPT_: ; @_ZL23dequantize_block_iq4_xsIN3c108BFloat16EEvPKvPT_
; %bb.0:
	s_load_dwordx4 s[4:7], s[0:1], 0x0
	s_lshl_b32 s0, s2, 8
	s_mov_b32 s1, 0
	s_lshl_b64 s[8:9], s[0:1], 1
	v_and_b32_e32 v1, 7, v0
	s_waitcnt lgkmcnt(0)
	s_add_u32 s6, s6, s8
	s_addc_u32 s7, s7, s9
	s_mul_hi_u32 s0, s2, 0x88
	s_mulk_i32 s2, 0x88
	v_lshlrev_b32_e32 v2, 6, v1
	v_mov_b32_e32 v3, 0
	s_add_u32 s2, s4, s2
	v_lshl_add_u64 v[4:5], s[6:7], 0, v[2:3]
	v_lshrrev_b32_e32 v2, 1, v0
	s_addc_u32 s3, s5, s0
	v_lshlrev_b32_e32 v6, 4, v1
	v_mov_b32_e32 v7, v3
	v_and_b32_e32 v2, 0x1fc, v2
	v_lshl_add_u64 v[6:7], s[2:3], 0, v[6:7]
	v_lshl_add_u64 v[6:7], v[6:7], 0, v[2:3]
	global_load_dword v10, v[6:7], off offset:8
	v_bfe_u32 v6, v0, 1, 2
	global_load_dword v11, v3, s[2:3]
	global_load_ubyte v12, v6, s[2:3] offset:4
	v_mov_b32_e32 v7, s1
	v_mov_b32_e32 v9, s1
	s_getpc_b64 s[0:1]
	s_add_u32 s0, s0, _ZL13kvalues_iq4nl@rel32@lo+4
	s_addc_u32 s1, s1, _ZL13kvalues_iq4nl@rel32@hi+12
	v_mov_b32_e32 v13, 4
	v_lshlrev_b32_e32 v0, 2, v0
	v_lshlrev_b32_e32 v1, 1, v1
	v_and_b32_e32 v0, 4, v0
	s_waitcnt vmcnt(2)
	v_lshrrev_b32_e32 v6, 8, v10
	v_lshrrev_b16_e32 v8, 4, v10
	v_and_b32_e32 v8, 15, v8
	v_lshrrev_b16_e32 v19, 4, v6
	v_and_b32_e32 v6, 0xffff, v8
	v_and_b32_e32 v8, 15, v19
	;; [unrolled: 1-line block ×3, first 2 shown]
	v_lshl_add_u64 v[6:7], v[6:7], 0, s[0:1]
	v_and_b32_e32 v8, 0xffff, v8
	v_bfe_u32 v15, v10, 8, 4
	v_bfe_u32 v16, v10, 16, 4
	;; [unrolled: 1-line block ×4, first 2 shown]
	v_lshl_add_u64 v[8:9], v[8:9], 0, s[0:1]
	global_load_sbyte v19, v14, s[0:1]
	global_load_sbyte v20, v[6:7], off
	global_load_sbyte v21, v15, s[0:1]
	global_load_sbyte v22, v[8:9], off
	global_load_sbyte v23, v16, s[0:1]
	global_load_sbyte v24, v17, s[0:1]
	;; [unrolled: 1-line block ×3, first 2 shown]
	v_lshlrev_b32_e32 v6, 1, v2
	v_lshrrev_b16_sdwa v2, v13, v10 dst_sel:DWORD dst_unused:UNUSED_PAD src0_sel:DWORD src1_sel:BYTE_3
	v_lshl_add_u64 v[8:9], v[2:3], 0, s[0:1]
	global_load_sbyte v13, v[8:9], off
	s_waitcnt vmcnt(9)
	v_lshrrev_b32_sdwa v1, v1, v11 dst_sel:DWORD dst_unused:UNUSED_PAD src0_sel:DWORD src1_sel:WORD_1
	s_waitcnt vmcnt(8)
	v_bfe_u32 v0, v12, v0, 4
	v_lshlrev_b32_e32 v1, 4, v1
	v_and_or_b32 v0, v1, 48, v0
	v_subrev_u32_e32 v0, 32, v0
	v_cvt_f32_f16_e32 v2, v11
	v_cvt_f32_i32_e32 v8, v0
	v_mov_b32_e32 v7, v3
	v_lshl_add_u64 v[0:1], v[4:5], 0, v[6:7]
	s_movk_i32 s0, 0x7fff
	v_mul_f32_e32 v2, v2, v8
	v_mov_b32_e32 v14, 0x7fc0
	s_mov_b32 s1, 0x5040100
	s_waitcnt vmcnt(7)
	v_cvt_f32_i32_e32 v4, v19
	s_waitcnt vmcnt(6)
	v_cvt_f32_i32_e32 v6, v20
	;; [unrolled: 2-line block ×7, first 2 shown]
	v_pk_mul_f32 v[4:5], v[2:3], v[4:5] op_sel_hi:[0,1]
	v_bfe_u32 v12, v4, 16, 1
	v_add3_u32 v12, v4, v12, s0
	s_waitcnt vmcnt(0)
	v_cvt_f32_i32_e32 v11, v13
	v_pk_mul_f32 v[8:9], v[2:3], v[8:9] op_sel_hi:[0,1]
	v_bfe_u32 v13, v5, 16, 1
	v_add3_u32 v13, v5, v13, s0
	v_pk_mul_f32 v[10:11], v[2:3], v[10:11] op_sel_hi:[0,1]
	v_pk_mul_f32 v[2:3], v[2:3], v[6:7] op_sel_hi:[0,1]
	v_bfe_u32 v6, v8, 16, 1
	v_lshrrev_b32_e32 v12, 16, v12
	v_cmp_o_f32_e32 vcc, v4, v4
	v_bfe_u32 v7, v9, 16, 1
	v_add3_u32 v6, v8, v6, s0
	v_lshrrev_b32_e32 v13, 16, v13
	v_cndmask_b32_e32 v4, v14, v12, vcc
	v_cmp_o_f32_e32 vcc, v5, v5
	v_bfe_u32 v15, v10, 16, 1
	v_add3_u32 v7, v9, v7, s0
	v_lshrrev_b32_e32 v6, 16, v6
	v_cndmask_b32_e32 v5, v14, v13, vcc
	;; [unrolled: 5-line block ×5, first 2 shown]
	v_cmp_o_f32_e32 vcc, v11, v11
	v_add3_u32 v18, v3, v18, s0
	v_lshrrev_b32_e32 v15, 16, v17
	v_cndmask_b32_e32 v9, v14, v13, vcc
	v_cmp_o_f32_e32 vcc, v2, v2
	v_lshrrev_b32_e32 v16, 16, v18
	v_perm_b32 v4, v5, v4, s1
	v_cndmask_b32_e32 v2, v14, v15, vcc
	v_cmp_o_f32_e32 vcc, v3, v3
	v_perm_b32 v5, v7, v6, s1
	v_perm_b32 v3, v9, v8, s1
	v_cndmask_b32_e32 v10, v14, v16, vcc
	v_perm_b32 v2, v10, v2, s1
	global_store_dwordx2 v[0:1], v[4:5], off
	global_store_dwordx2 v[0:1], v[2:3], off offset:32
	s_endpgm
	.section	.rodata,"a",@progbits
	.p2align	6, 0x0
	.amdhsa_kernel _ZL23dequantize_block_iq4_xsIN3c108BFloat16EEvPKvPT_
		.amdhsa_group_segment_fixed_size 0
		.amdhsa_private_segment_fixed_size 0
		.amdhsa_kernarg_size 16
		.amdhsa_user_sgpr_count 2
		.amdhsa_user_sgpr_dispatch_ptr 0
		.amdhsa_user_sgpr_queue_ptr 0
		.amdhsa_user_sgpr_kernarg_segment_ptr 1
		.amdhsa_user_sgpr_dispatch_id 0
		.amdhsa_user_sgpr_kernarg_preload_length 0
		.amdhsa_user_sgpr_kernarg_preload_offset 0
		.amdhsa_user_sgpr_private_segment_size 0
		.amdhsa_uses_dynamic_stack 0
		.amdhsa_enable_private_segment 0
		.amdhsa_system_sgpr_workgroup_id_x 1
		.amdhsa_system_sgpr_workgroup_id_y 0
		.amdhsa_system_sgpr_workgroup_id_z 0
		.amdhsa_system_sgpr_workgroup_info 0
		.amdhsa_system_vgpr_workitem_id 0
		.amdhsa_next_free_vgpr 26
		.amdhsa_next_free_sgpr 10
		.amdhsa_accum_offset 28
		.amdhsa_reserve_vcc 1
		.amdhsa_float_round_mode_32 0
		.amdhsa_float_round_mode_16_64 0
		.amdhsa_float_denorm_mode_32 3
		.amdhsa_float_denorm_mode_16_64 3
		.amdhsa_dx10_clamp 1
		.amdhsa_ieee_mode 1
		.amdhsa_fp16_overflow 0
		.amdhsa_tg_split 0
		.amdhsa_exception_fp_ieee_invalid_op 0
		.amdhsa_exception_fp_denorm_src 0
		.amdhsa_exception_fp_ieee_div_zero 0
		.amdhsa_exception_fp_ieee_overflow 0
		.amdhsa_exception_fp_ieee_underflow 0
		.amdhsa_exception_fp_ieee_inexact 0
		.amdhsa_exception_int_div_zero 0
	.end_amdhsa_kernel
	.section	.text._ZL23dequantize_block_iq4_xsIN3c108BFloat16EEvPKvPT_,"axG",@progbits,_ZL23dequantize_block_iq4_xsIN3c108BFloat16EEvPKvPT_,comdat
.Lfunc_end55:
	.size	_ZL23dequantize_block_iq4_xsIN3c108BFloat16EEvPKvPT_, .Lfunc_end55-_ZL23dequantize_block_iq4_xsIN3c108BFloat16EEvPKvPT_
                                        ; -- End function
	.section	.AMDGPU.csdata,"",@progbits
; Kernel info:
; codeLenInByte = 816
; NumSgprs: 16
; NumVgprs: 26
; NumAgprs: 0
; TotalNumVgprs: 26
; ScratchSize: 0
; MemoryBound: 0
; FloatMode: 240
; IeeeMode: 1
; LDSByteSize: 0 bytes/workgroup (compile time only)
; SGPRBlocks: 1
; VGPRBlocks: 3
; NumSGPRsForWavesPerEU: 16
; NumVGPRsForWavesPerEU: 26
; AccumOffset: 28
; Occupancy: 8
; WaveLimiterHint : 0
; COMPUTE_PGM_RSRC2:SCRATCH_EN: 0
; COMPUTE_PGM_RSRC2:USER_SGPR: 2
; COMPUTE_PGM_RSRC2:TRAP_HANDLER: 0
; COMPUTE_PGM_RSRC2:TGID_X_EN: 1
; COMPUTE_PGM_RSRC2:TGID_Y_EN: 0
; COMPUTE_PGM_RSRC2:TGID_Z_EN: 0
; COMPUTE_PGM_RSRC2:TIDIG_COMP_CNT: 0
; COMPUTE_PGM_RSRC3_GFX90A:ACCUM_OFFSET: 6
; COMPUTE_PGM_RSRC3_GFX90A:TG_SPLIT: 0
	.section	.text._ZL22dequantize_block_iq1_mIN3c108BFloat16EEvPKvPT_,"axG",@progbits,_ZL22dequantize_block_iq1_mIN3c108BFloat16EEvPKvPT_,comdat
	.globl	_ZL22dequantize_block_iq1_mIN3c108BFloat16EEvPKvPT_ ; -- Begin function _ZL22dequantize_block_iq1_mIN3c108BFloat16EEvPKvPT_
	.p2align	8
	.type	_ZL22dequantize_block_iq1_mIN3c108BFloat16EEvPKvPT_,@function
_ZL22dequantize_block_iq1_mIN3c108BFloat16EEvPKvPT_: ; @_ZL22dequantize_block_iq1_mIN3c108BFloat16EEvPKvPT_
; %bb.0:
	s_load_dwordx4 s[4:7], s[0:1], 0x0
	s_mov_b32 s3, 0
	s_lshl_b64 s[0:1], s[2:3], 9
	v_mov_b32_e32 v3, 0
	v_and_b32_e32 v10, 7, v0
	s_waitcnt lgkmcnt(0)
	s_add_u32 s0, s6, s0
	s_addc_u32 s1, s7, s1
	s_mul_hi_u32 s3, s2, 56
	s_mul_i32 s2, s2, 56
	s_add_u32 s2, s4, s2
	v_lshlrev_b32_e32 v4, 1, v10
	v_mov_b32_e32 v5, v3
	v_lshrrev_b32_e32 v6, 4, v0
	v_mov_b32_e32 v7, v3
	s_addc_u32 s3, s5, s3
	v_lshl_add_u64 v[4:5], v[4:5], 0, v[6:7]
	v_lshl_add_u64 v[6:7], s[2:3], 0, v[4:5]
	v_lshrrev_b32_e32 v2, 3, v0
	global_load_ubyte v1, v[6:7], off offset:32
	v_lshlrev_b32_e32 v6, 2, v10
	v_mov_b32_e32 v7, v3
	v_lshl_add_u64 v[6:7], v[6:7], 0, v[2:3]
	v_lshl_add_u64 v[6:7], s[2:3], 0, v[6:7]
	global_load_ubyte v2, v[6:7], off
	global_load_dwordx2 v[8:9], v3, s[2:3] offset:48
	v_lshrrev_b32_e32 v5, 1, v4
	v_and_b32_e32 v5, 62, v5
	global_load_ushort v6, v5, s[2:3] offset:48
	v_lshrrev_b32_e32 v5, 1, v0
	v_and_b32_e32 v5, 4, v5
	s_movk_i32 s4, 0x700
	s_getpc_b64 s[2:3]
	s_add_u32 s2, s2, _ZL13iq1s_grid_gpu@rel32@lo+4
	s_addc_u32 s3, s3, _ZL13iq1s_grid_gpu@rel32@hi+12
	v_mov_b32_e32 v12, 0xffff
	v_and_b32_e32 v4, 3, v4
	v_mov_b32_e32 v13, 0xbf900000
	v_mov_b32_e32 v14, 0xbf600000
	;; [unrolled: 1-line block ×3, first 2 shown]
	s_mov_b32 s5, 0x5040100
	s_waitcnt vmcnt(3)
	v_lshrrev_b32_e32 v7, v5, v1
	v_lshlrev_b32_e32 v1, 8, v7
	s_waitcnt vmcnt(2)
	v_and_or_b32 v1, v1, s4, v2
	v_lshlrev_b32_e32 v1, 3, v1
	global_load_dword v11, v1, s[2:3]
	v_mov_b32_e32 v1, v3
	v_and_b32_e32 v2, 0x3f8, v0
	v_lshlrev_b32_e32 v0, 6, v10
	v_lshlrev_b32_e32 v2, 1, v2
	v_lshl_add_u64 v[0:1], s[0:1], 0, v[0:1]
	v_mul_u32_u24_e32 v10, 3, v4
	v_lshl_add_u64 v[4:5], v[0:1], 0, v[2:3]
	s_waitcnt vmcnt(2)
	v_and_b32_sdwa v0, v12, v8 dst_sel:DWORD dst_unused:UNUSED_PAD src0_sel:DWORD src1_sel:WORD_1
	s_mov_b32 s2, 0x40008
	v_lshl_or_b32 v0, v9, 16, v0
	v_pk_lshrrev_b16 v0, s2, v0
	v_bfe_u32 v1, v8, 12, 4
	v_and_b32_e32 v0, 0xf0000f0, v0
	s_mov_b32 s3, 0xf000
	v_or_b32_e32 v1, v0, v1
	v_and_b32_sdwa v2, v9, s3 dst_sel:DWORD dst_unused:UNUSED_PAD src0_sel:WORD_1 src1_sel:DWORD
	v_or_b32_sdwa v0, v1, v0 dst_sel:DWORD dst_unused:UNUSED_PAD src0_sel:DWORD src1_sel:WORD_1
	v_or_b32_e32 v0, v0, v2
	s_waitcnt vmcnt(1)
	v_lshrrev_b32_e32 v3, v10, v6
	v_cvt_f32_f16_e32 v1, v0
	v_lshlrev_b32_e32 v3, 1, v3
	v_and_or_b32 v3, v3, 14, 1
	v_and_b32_e32 v6, 8, v7
	v_cvt_f32_ubyte0_e32 v2, v3
	v_cmp_eq_u32_e32 vcc, 0, v6
	v_mul_f32_e32 v2, v1, v2
	s_movk_i32 s4, 0x7fff
	v_cndmask_b32_e32 v0, v13, v14, vcc
	s_waitcnt vmcnt(0)
	v_bfe_u32 v3, v11, 8, 4
	v_and_b32_e32 v6, 15, v11
	v_and_b32_e32 v1, 0xf0f0f0f, v11
	v_cvt_f32_ubyte0_e32 v7, v3
	v_cvt_f32_ubyte0_e32 v6, v6
	v_bfe_u32 v8, v11, 16, 4
	v_lshrrev_b32_e32 v12, 28, v11
	v_bfe_u32 v10, v11, 12, 4
	v_bfe_u32 v13, v11, 4, 4
	;; [unrolled: 1-line block ×3, first 2 shown]
	v_pk_add_f32 v[6:7], v[0:1], v[6:7] op_sel_hi:[0,1]
	v_cvt_f32_ubyte3_e32 v9, v1
	v_cvt_f32_ubyte0_e32 v8, v8
	v_cvt_f32_ubyte0_e32 v11, v10
	;; [unrolled: 1-line block ×5, first 2 shown]
	v_pk_mul_f32 v[6:7], v[2:3], v[6:7] op_sel_hi:[0,1]
	v_pk_add_f32 v[8:9], v[0:1], v[8:9] op_sel_hi:[0,1]
	v_pk_add_f32 v[12:13], v[0:1], v[12:13] op_sel_hi:[0,1]
	;; [unrolled: 1-line block ×3, first 2 shown]
	v_bfe_u32 v10, v6, 16, 1
	v_pk_mul_f32 v[8:9], v[2:3], v[8:9] op_sel_hi:[0,1]
	v_bfe_u32 v11, v7, 16, 1
	v_add3_u32 v10, v6, v10, s4
	v_pk_mul_f32 v[0:1], v[2:3], v[0:1] op_sel_hi:[0,1]
	v_pk_mul_f32 v[2:3], v[2:3], v[12:13] op_sel_hi:[0,1]
	v_bfe_u32 v12, v8, 16, 1
	v_add3_u32 v11, v7, v11, s4
	v_lshrrev_b32_e32 v10, 16, v10
	v_cmp_o_f32_e32 vcc, v6, v6
	v_bfe_u32 v13, v9, 16, 1
	v_add3_u32 v12, v8, v12, s4
	v_lshrrev_b32_e32 v11, 16, v11
	v_cndmask_b32_e32 v6, v15, v10, vcc
	v_cmp_o_f32_e32 vcc, v7, v7
	v_bfe_u32 v14, v0, 16, 1
	v_add3_u32 v13, v9, v13, s4
	v_lshrrev_b32_e32 v12, 16, v12
	v_cndmask_b32_e32 v7, v15, v11, vcc
	;; [unrolled: 5-line block ×5, first 2 shown]
	v_cmp_o_f32_e32 vcc, v1, v1
	v_add3_u32 v18, v3, v18, s4
	v_lshrrev_b32_e32 v17, 16, v17
	v_cndmask_b32_e32 v1, v15, v16, vcc
	v_cmp_o_f32_e32 vcc, v2, v2
	v_lshrrev_b32_e32 v18, 16, v18
	s_nop 0
	v_cndmask_b32_e32 v2, v15, v17, vcc
	v_cmp_o_f32_e32 vcc, v3, v3
	s_nop 1
	v_cndmask_b32_e32 v3, v15, v18, vcc
	v_perm_b32 v3, v3, v2, s5
	v_perm_b32 v2, v1, v0, s5
	;; [unrolled: 1-line block ×4, first 2 shown]
	global_store_dwordx4 v[4:5], v[0:3], off
	s_endpgm
	.section	.rodata,"a",@progbits
	.p2align	6, 0x0
	.amdhsa_kernel _ZL22dequantize_block_iq1_mIN3c108BFloat16EEvPKvPT_
		.amdhsa_group_segment_fixed_size 0
		.amdhsa_private_segment_fixed_size 0
		.amdhsa_kernarg_size 16
		.amdhsa_user_sgpr_count 2
		.amdhsa_user_sgpr_dispatch_ptr 0
		.amdhsa_user_sgpr_queue_ptr 0
		.amdhsa_user_sgpr_kernarg_segment_ptr 1
		.amdhsa_user_sgpr_dispatch_id 0
		.amdhsa_user_sgpr_kernarg_preload_length 0
		.amdhsa_user_sgpr_kernarg_preload_offset 0
		.amdhsa_user_sgpr_private_segment_size 0
		.amdhsa_uses_dynamic_stack 0
		.amdhsa_enable_private_segment 0
		.amdhsa_system_sgpr_workgroup_id_x 1
		.amdhsa_system_sgpr_workgroup_id_y 0
		.amdhsa_system_sgpr_workgroup_id_z 0
		.amdhsa_system_sgpr_workgroup_info 0
		.amdhsa_system_vgpr_workitem_id 0
		.amdhsa_next_free_vgpr 19
		.amdhsa_next_free_sgpr 8
		.amdhsa_accum_offset 20
		.amdhsa_reserve_vcc 1
		.amdhsa_float_round_mode_32 0
		.amdhsa_float_round_mode_16_64 0
		.amdhsa_float_denorm_mode_32 3
		.amdhsa_float_denorm_mode_16_64 3
		.amdhsa_dx10_clamp 1
		.amdhsa_ieee_mode 1
		.amdhsa_fp16_overflow 0
		.amdhsa_tg_split 0
		.amdhsa_exception_fp_ieee_invalid_op 0
		.amdhsa_exception_fp_denorm_src 0
		.amdhsa_exception_fp_ieee_div_zero 0
		.amdhsa_exception_fp_ieee_overflow 0
		.amdhsa_exception_fp_ieee_underflow 0
		.amdhsa_exception_fp_ieee_inexact 0
		.amdhsa_exception_int_div_zero 0
	.end_amdhsa_kernel
	.section	.text._ZL22dequantize_block_iq1_mIN3c108BFloat16EEvPKvPT_,"axG",@progbits,_ZL22dequantize_block_iq1_mIN3c108BFloat16EEvPKvPT_,comdat
.Lfunc_end56:
	.size	_ZL22dequantize_block_iq1_mIN3c108BFloat16EEvPKvPT_, .Lfunc_end56-_ZL22dequantize_block_iq1_mIN3c108BFloat16EEvPKvPT_
                                        ; -- End function
	.section	.AMDGPU.csdata,"",@progbits
; Kernel info:
; codeLenInByte = 868
; NumSgprs: 14
; NumVgprs: 19
; NumAgprs: 0
; TotalNumVgprs: 19
; ScratchSize: 0
; MemoryBound: 0
; FloatMode: 240
; IeeeMode: 1
; LDSByteSize: 0 bytes/workgroup (compile time only)
; SGPRBlocks: 1
; VGPRBlocks: 2
; NumSGPRsForWavesPerEU: 14
; NumVGPRsForWavesPerEU: 19
; AccumOffset: 20
; Occupancy: 8
; WaveLimiterHint : 0
; COMPUTE_PGM_RSRC2:SCRATCH_EN: 0
; COMPUTE_PGM_RSRC2:USER_SGPR: 2
; COMPUTE_PGM_RSRC2:TRAP_HANDLER: 0
; COMPUTE_PGM_RSRC2:TGID_X_EN: 1
; COMPUTE_PGM_RSRC2:TGID_Y_EN: 0
; COMPUTE_PGM_RSRC2:TGID_Z_EN: 0
; COMPUTE_PGM_RSRC2:TIDIG_COMP_CNT: 0
; COMPUTE_PGM_RSRC3_GFX90A:ACCUM_OFFSET: 4
; COMPUTE_PGM_RSRC3_GFX90A:TG_SPLIT: 0
	.section	.text._ZL13quantize_q8_1IfEvPKT_Pvii,"axG",@progbits,_ZL13quantize_q8_1IfEvPKT_Pvii,comdat
	.globl	_ZL13quantize_q8_1IfEvPKT_Pvii  ; -- Begin function _ZL13quantize_q8_1IfEvPKT_Pvii
	.p2align	8
	.type	_ZL13quantize_q8_1IfEvPKT_Pvii,@function
_ZL13quantize_q8_1IfEvPKT_Pvii:         ; @_ZL13quantize_q8_1IfEvPKT_Pvii
; %bb.0:
	s_load_dword s6, s[0:1], 0x24
	s_load_dwordx2 s[4:5], s[0:1], 0x10
	s_add_u32 s8, s0, 24
	s_addc_u32 s9, s1, 0
	v_and_b32_e32 v1, 0x3ff, v0
	s_waitcnt lgkmcnt(0)
	s_and_b32 s6, s6, 0xffff
	s_mul_i32 s2, s2, s6
	v_add_u32_e32 v2, s2, v1
	v_cmp_gt_u32_e32 vcc, s5, v2
	s_and_saveexec_b64 s[6:7], vcc
	s_cbranch_execz .LBB57_7
; %bb.1:
	s_load_dword s2, s[8:9], 0xc
	s_load_dwordx2 s[6:7], s[0:1], 0x8
	v_bfe_u32 v0, v0, 10, 10
	v_cmp_gt_u32_e32 vcc, s4, v2
	v_mov_b32_e32 v3, 0
	s_waitcnt lgkmcnt(0)
	s_lshr_b32 s2, s2, 16
	s_mul_i32 s3, s3, s2
	v_add_u32_e32 v0, s3, v0
	v_mov_b32_e32 v1, 0
	s_and_saveexec_b64 s[2:3], vcc
	s_cbranch_execz .LBB57_3
; %bb.2:
	s_load_dwordx2 s[0:1], s[0:1], 0x0
	v_mad_u64_u32 v[4:5], s[8:9], v0, s4, v[2:3]
	v_mov_b32_e32 v5, 0
	s_waitcnt lgkmcnt(0)
	v_lshl_add_u64 v[4:5], v[4:5], 2, s[0:1]
	global_load_dword v1, v[4:5], off
.LBB57_3:
	s_or_b64 exec, exec, s[2:3]
	v_mbcnt_lo_u32_b32 v5, -1, 0
	v_mbcnt_hi_u32_b32 v5, -1, v5
	v_and_b32_e32 v6, 0x60, v5
	v_add_u32_e32 v6, 32, v6
	v_xor_b32_e32 v7, 16, v5
	v_cmp_lt_i32_e32 vcc, v7, v6
	s_waitcnt vmcnt(0)
	v_and_b32_e32 v4, 0x7fffffff, v1
	v_max_f32_e64 v8, |v1|, |v1|
	v_cndmask_b32_e32 v7, v5, v7, vcc
	v_lshlrev_b32_e32 v7, 2, v7
	ds_bpermute_b32 v4, v7, v4
	ds_bpermute_b32 v7, v7, v1
	s_mov_b32 s3, 0x42fe0000
	s_brev_b32 s2, -2
	s_waitcnt lgkmcnt(1)
	v_max_f32_e32 v4, v4, v4
	v_max_f32_e32 v4, v8, v4
	v_xor_b32_e32 v8, 8, v5
	v_cmp_lt_i32_e32 vcc, v8, v6
	s_waitcnt lgkmcnt(0)
	v_add_f32_e32 v7, v1, v7
	v_cndmask_b32_e32 v8, v5, v8, vcc
	v_lshlrev_b32_e32 v8, 2, v8
	ds_bpermute_b32 v9, v8, v4
	ds_bpermute_b32 v8, v8, v7
	s_waitcnt lgkmcnt(1)
	v_max_f32_e32 v9, v9, v9
	v_max_f32_e32 v4, v4, v9
	v_xor_b32_e32 v9, 4, v5
	v_cmp_lt_i32_e32 vcc, v9, v6
	s_waitcnt lgkmcnt(0)
	v_add_f32_e32 v7, v7, v8
	v_cndmask_b32_e32 v9, v5, v9, vcc
	v_lshlrev_b32_e32 v9, 2, v9
	ds_bpermute_b32 v10, v9, v4
	ds_bpermute_b32 v8, v9, v7
	;; [unrolled: 11-line block ×3, first 2 shown]
	s_waitcnt lgkmcnt(1)
	v_max_f32_e32 v9, v11, v11
	v_max_f32_e32 v4, v4, v9
	v_xor_b32_e32 v9, 1, v5
	v_cmp_lt_i32_e32 vcc, v9, v6
	s_nop 1
	v_cndmask_b32_e32 v5, v5, v9, vcc
	v_lshlrev_b32_e32 v5, 2, v5
	ds_bpermute_b32 v6, v5, v4
	s_waitcnt lgkmcnt(0)
	v_max_f32_e32 v6, v6, v6
	v_max_f32_e32 v9, v4, v6
	v_div_scale_f32 v6, s[0:1], s3, s3, v9
	v_rcp_f32_e32 v10, v6
	v_add_f32_e32 v4, v7, v8
	ds_bpermute_b32 v5, v5, v4
	v_fma_f32 v7, -v6, v10, 1.0
	v_fmac_f32_e32 v10, v7, v10
	v_div_scale_f32 v7, vcc, v9, s3, v9
	v_mul_f32_e32 v8, v7, v10
	v_fma_f32 v11, -v6, v8, v7
	v_fmac_f32_e32 v8, v11, v10
	v_fma_f32 v6, -v6, v8, v7
	v_div_fmas_f32 v6, v6, v10, v8
	v_div_fixup_f32 v6, v6, s3, v9
	v_cmp_neq_f32_e32 vcc, 0, v9
	s_and_saveexec_b64 s[0:1], vcc
	s_cbranch_execz .LBB57_5
; %bb.4:
	v_div_scale_f32 v3, s[8:9], v6, v6, v1
	v_rcp_f32_e32 v7, v3
	v_div_scale_f32 v8, vcc, v1, v6, v1
	v_fma_f32 v9, -v3, v7, 1.0
	v_fmac_f32_e32 v7, v9, v7
	v_mul_f32_e32 v9, v8, v7
	v_fma_f32 v10, -v3, v9, v8
	v_fmac_f32_e32 v9, v10, v7
	v_fma_f32 v3, -v3, v9, v8
	v_div_fmas_f32 v3, v3, v7, v9
	v_div_fixup_f32 v1, v3, v6, v1
	v_trunc_f32_e32 v3, v1
	v_sub_f32_e32 v7, v1, v3
	v_cmp_ge_f32_e64 s[8:9], |v7|, 0.5
	s_nop 1
	v_cndmask_b32_e64 v7, 0, 1.0, s[8:9]
	v_bfi_b32 v1, s2, v7, v1
	v_add_f32_e32 v1, v3, v1
	v_cvt_i32_f32_e32 v3, v1
.LBB57_5:
	s_or_b64 exec, exec, s[0:1]
	v_mad_u64_u32 v[0:1], s[0:1], v0, s5, v[2:3]
	v_ashrrev_i32_e32 v1, 31, v0
	v_lshrrev_b32_e32 v1, 27, v1
	v_add_u32_e32 v1, v0, v1
	v_ashrrev_i32_e32 v2, 5, v1
	v_and_b32_e32 v1, 0xffffffe0, v1
	v_sub_u32_e32 v8, v0, v1
	v_mad_i64_i32 v[0:1], s[0:1], v2, 36, s[6:7]
	v_ashrrev_i32_e32 v9, 31, v8
	v_lshl_add_u64 v[10:11], v[0:1], 0, v[8:9]
	v_cmp_gt_i32_e32 vcc, 1, v8
	global_store_byte v[10:11], v3, off offset:4
	s_and_b64 exec, exec, vcc
	s_cbranch_execz .LBB57_7
; %bb.6:
	s_waitcnt lgkmcnt(0)
	v_add_f32_e32 v2, v4, v5
	v_cvt_f16_f32_e32 v2, v2
	v_cvt_f16_f32_e32 v3, v6
	v_pack_b32_f16 v2, v3, v2
	global_store_dword v[0:1], v2, off
.LBB57_7:
	s_endpgm
	.section	.rodata,"a",@progbits
	.p2align	6, 0x0
	.amdhsa_kernel _ZL13quantize_q8_1IfEvPKT_Pvii
		.amdhsa_group_segment_fixed_size 0
		.amdhsa_private_segment_fixed_size 0
		.amdhsa_kernarg_size 280
		.amdhsa_user_sgpr_count 2
		.amdhsa_user_sgpr_dispatch_ptr 0
		.amdhsa_user_sgpr_queue_ptr 0
		.amdhsa_user_sgpr_kernarg_segment_ptr 1
		.amdhsa_user_sgpr_dispatch_id 0
		.amdhsa_user_sgpr_kernarg_preload_length 0
		.amdhsa_user_sgpr_kernarg_preload_offset 0
		.amdhsa_user_sgpr_private_segment_size 0
		.amdhsa_uses_dynamic_stack 0
		.amdhsa_enable_private_segment 0
		.amdhsa_system_sgpr_workgroup_id_x 1
		.amdhsa_system_sgpr_workgroup_id_y 1
		.amdhsa_system_sgpr_workgroup_id_z 0
		.amdhsa_system_sgpr_workgroup_info 0
		.amdhsa_system_vgpr_workitem_id 1
		.amdhsa_next_free_vgpr 12
		.amdhsa_next_free_sgpr 10
		.amdhsa_accum_offset 12
		.amdhsa_reserve_vcc 1
		.amdhsa_float_round_mode_32 0
		.amdhsa_float_round_mode_16_64 0
		.amdhsa_float_denorm_mode_32 3
		.amdhsa_float_denorm_mode_16_64 3
		.amdhsa_dx10_clamp 1
		.amdhsa_ieee_mode 1
		.amdhsa_fp16_overflow 0
		.amdhsa_tg_split 0
		.amdhsa_exception_fp_ieee_invalid_op 0
		.amdhsa_exception_fp_denorm_src 0
		.amdhsa_exception_fp_ieee_div_zero 0
		.amdhsa_exception_fp_ieee_overflow 0
		.amdhsa_exception_fp_ieee_underflow 0
		.amdhsa_exception_fp_ieee_inexact 0
		.amdhsa_exception_int_div_zero 0
	.end_amdhsa_kernel
	.section	.text._ZL13quantize_q8_1IfEvPKT_Pvii,"axG",@progbits,_ZL13quantize_q8_1IfEvPKT_Pvii,comdat
.Lfunc_end57:
	.size	_ZL13quantize_q8_1IfEvPKT_Pvii, .Lfunc_end57-_ZL13quantize_q8_1IfEvPKT_Pvii
                                        ; -- End function
	.section	.AMDGPU.csdata,"",@progbits
; Kernel info:
; codeLenInByte = 796
; NumSgprs: 16
; NumVgprs: 12
; NumAgprs: 0
; TotalNumVgprs: 12
; ScratchSize: 0
; MemoryBound: 0
; FloatMode: 240
; IeeeMode: 1
; LDSByteSize: 0 bytes/workgroup (compile time only)
; SGPRBlocks: 1
; VGPRBlocks: 1
; NumSGPRsForWavesPerEU: 16
; NumVGPRsForWavesPerEU: 12
; AccumOffset: 12
; Occupancy: 8
; WaveLimiterHint : 0
; COMPUTE_PGM_RSRC2:SCRATCH_EN: 0
; COMPUTE_PGM_RSRC2:USER_SGPR: 2
; COMPUTE_PGM_RSRC2:TRAP_HANDLER: 0
; COMPUTE_PGM_RSRC2:TGID_X_EN: 1
; COMPUTE_PGM_RSRC2:TGID_Y_EN: 1
; COMPUTE_PGM_RSRC2:TGID_Z_EN: 0
; COMPUTE_PGM_RSRC2:TIDIG_COMP_CNT: 1
; COMPUTE_PGM_RSRC3_GFX90A:ACCUM_OFFSET: 2
; COMPUTE_PGM_RSRC3_GFX90A:TG_SPLIT: 0
	.section	.text._ZL13mul_mat_vec_qIfLi32ELi4E10block_q4_0Li2EXadL_ZL17vec_dot_q4_0_q8_1PKvPK10block_q8_1RKiEEEvS2_S2_PT_iii,"axG",@progbits,_ZL13mul_mat_vec_qIfLi32ELi4E10block_q4_0Li2EXadL_ZL17vec_dot_q4_0_q8_1PKvPK10block_q8_1RKiEEEvS2_S2_PT_iii,comdat
	.globl	_ZL13mul_mat_vec_qIfLi32ELi4E10block_q4_0Li2EXadL_ZL17vec_dot_q4_0_q8_1PKvPK10block_q8_1RKiEEEvS2_S2_PT_iii ; -- Begin function _ZL13mul_mat_vec_qIfLi32ELi4E10block_q4_0Li2EXadL_ZL17vec_dot_q4_0_q8_1PKvPK10block_q8_1RKiEEEvS2_S2_PT_iii
	.p2align	8
	.type	_ZL13mul_mat_vec_qIfLi32ELi4E10block_q4_0Li2EXadL_ZL17vec_dot_q4_0_q8_1PKvPK10block_q8_1RKiEEEvS2_S2_PT_iii,@function
_ZL13mul_mat_vec_qIfLi32ELi4E10block_q4_0Li2EXadL_ZL17vec_dot_q4_0_q8_1PKvPK10block_q8_1RKiEEEvS2_S2_PT_iii: ; @_ZL13mul_mat_vec_qIfLi32ELi4E10block_q4_0Li2EXadL_ZL17vec_dot_q4_0_q8_1PKvPK10block_q8_1RKiEEEvS2_S2_PT_iii
; %bb.0:
	s_load_dword s8, s[0:1], 0x34
	s_load_dwordx4 s[4:7], s[0:1], 0x18
	v_bfe_u32 v1, v0, 10, 10
	s_waitcnt lgkmcnt(0)
	s_lshr_b32 s7, s8, 16
	s_mul_i32 s2, s2, s7
	v_add_u32_e32 v4, s2, v1
	s_cmp_lt_u32 s3, s6
	v_cmp_gt_u32_e32 vcc, s5, v4
	s_cselect_b64 s[6:7], -1, 0
	s_and_b64 s[6:7], s[6:7], vcc
	s_and_saveexec_b64 s[8:9], s[6:7]
	s_cbranch_execz .LBB58_7
; %bb.1:
	s_load_dwordx2 s[6:7], s[0:1], 0x10
	s_ashr_i32 s2, s4, 31
	s_lshr_b32 s2, s2, 27
	s_add_i32 s2, s4, s2
	v_and_b32_e32 v5, 0x3ff, v0
	s_ashr_i32 s2, s2, 5
	v_lshrrev_b32_e32 v7, 1, v5
	v_cmp_gt_u32_e32 vcc, s2, v7
	v_mov_b32_e32 v6, 0
	s_and_saveexec_b64 s[12:13], vcc
	s_cbranch_execz .LBB58_5
; %bb.2:
	s_load_dwordx4 s[8:11], s[0:1], 0x0
	s_add_i32 s0, s4, 0x1ff
	s_ashr_i32 s1, s0, 31
	s_lshr_b32 s1, s1, 23
	s_add_i32 s0, s0, s1
	s_ashr_i32 s0, s0, 9
	s_mul_i32 s0, s3, s0
	v_lshlrev_b32_e32 v0, 3, v5
	v_mov_b32_e32 v1, 0
	v_mul_lo_u32 v8, v4, s2
	s_lshl_b32 s4, s0, 4
	v_and_b32_e32 v0, 8, v0
	s_mov_b64 s[0:1], 0
	v_mov_b32_e32 v3, 4.0
	v_mov_b32_e32 v6, v1
.LBB58_3:                               ; =>This Inner Loop Header: Depth=1
	v_add_u32_e32 v9, s4, v7
	v_add_u32_e32 v2, v8, v7
	s_waitcnt lgkmcnt(0)
	v_mad_i64_i32 v[12:13], s[14:15], v9, 36, s[10:11]
	v_mad_i64_i32 v[10:11], s[14:15], v2, 18, s[8:9]
	v_lshl_add_u64 v[16:17], v[12:13], 0, v[0:1]
	v_lshl_add_u64 v[14:15], v[10:11], 0, v[0:1]
	global_load_dwordx2 v[18:19], v[16:17], off offset:4
	global_load_dwordx2 v[20:21], v[16:17], off offset:20
	global_load_dword v2, v[14:15], off offset:2
	global_load_dword v9, v[14:15], off offset:6
	global_load_dword v22, v[12:13], off
	global_load_ushort v23, v[10:11], off
	v_mov_b32_e32 v12, 0
	v_add_u32_e32 v7, 32, v7
	v_cmp_le_u32_e32 vcc, s2, v7
	s_or_b64 s[0:1], vcc, s[0:1]
	s_waitcnt vmcnt(3)
	v_and_b32_e32 v13, 0xf0f0f0f, v2
	v_lshrrev_b32_e32 v2, 4, v2
	v_and_b32_e32 v2, 0xf0f0f0f, v2
	v_dot4c_i32_i8_e32 v12, v13, v18
	s_waitcnt vmcnt(2)
	v_and_b32_e32 v14, 0xf0f0f0f, v9
	v_lshrrev_b32_e32 v9, 4, v9
	v_dot4c_i32_i8_e32 v12, v2, v20
	v_and_b32_e32 v9, 0xf0f0f0f, v9
	v_dot4c_i32_i8_e32 v12, v14, v19
	v_dot4c_i32_i8_e32 v12, v9, v21
	s_waitcnt vmcnt(1)
	v_cvt_f32_f16_e32 v10, v22
	v_cvt_f32_f16_sdwa v11, v22 dst_sel:DWORD dst_unused:UNUSED_PAD src0_sel:WORD_1
	v_cvt_f32_i32_e32 v2, v12
	v_pk_mul_f32 v[10:11], v[2:3], v[10:11]
	s_nop 0
	v_sub_f32_e32 v2, v10, v11
	s_waitcnt vmcnt(0)
	v_fma_mix_f32 v6, v2, v23, v6 op_sel_hi:[0,1,0]
	s_andn2_b64 exec, exec, s[0:1]
	s_cbranch_execnz .LBB58_3
; %bb.4:
	s_or_b64 exec, exec, s[0:1]
.LBB58_5:
	s_or_b64 exec, exec, s[12:13]
	v_mbcnt_lo_u32_b32 v0, -1, 0
	v_mbcnt_hi_u32_b32 v1, -1, v0
	v_and_b32_e32 v0, 64, v1
	v_add_u32_e32 v2, 64, v0
	v_xor_b32_e32 v0, 32, v1
	v_cmp_lt_i32_e32 vcc, v0, v2
	v_xor_b32_e32 v3, 16, v1
	s_nop 0
	v_cndmask_b32_e32 v0, v1, v0, vcc
	v_lshlrev_b32_e32 v0, 2, v0
	ds_bpermute_b32 v0, v0, v6
	v_cmp_lt_i32_e32 vcc, v3, v2
	s_waitcnt lgkmcnt(0)
	v_add_f32_e32 v0, v6, v0
	v_cndmask_b32_e32 v3, v1, v3, vcc
	v_lshlrev_b32_e32 v3, 2, v3
	ds_bpermute_b32 v3, v3, v0
	v_xor_b32_e32 v6, 8, v1
	v_cmp_lt_i32_e32 vcc, v6, v2
	s_waitcnt lgkmcnt(0)
	v_add_f32_e32 v0, v0, v3
	v_cndmask_b32_e32 v3, v1, v6, vcc
	v_lshlrev_b32_e32 v3, 2, v3
	ds_bpermute_b32 v3, v3, v0
	v_xor_b32_e32 v6, 4, v1
	;; [unrolled: 7-line block ×4, first 2 shown]
	v_cmp_lt_i32_e32 vcc, v6, v2
	s_waitcnt lgkmcnt(0)
	v_add_f32_e32 v0, v0, v3
	v_cndmask_b32_e32 v1, v1, v6, vcc
	v_lshlrev_b32_e32 v1, 2, v1
	ds_bpermute_b32 v1, v1, v0
	v_cmp_eq_u32_e32 vcc, 0, v5
	s_and_b64 exec, exec, vcc
	s_cbranch_execz .LBB58_7
; %bb.6:
	s_mul_i32 s3, s3, s5
	s_waitcnt lgkmcnt(0)
	v_add_f32_e32 v2, v0, v1
	v_add_u32_e32 v0, s3, v4
	v_mov_b32_e32 v1, 0
	v_lshl_add_u64 v[0:1], v[0:1], 2, s[6:7]
	global_store_dword v[0:1], v2, off
.LBB58_7:
	s_endpgm
	.section	.rodata,"a",@progbits
	.p2align	6, 0x0
	.amdhsa_kernel _ZL13mul_mat_vec_qIfLi32ELi4E10block_q4_0Li2EXadL_ZL17vec_dot_q4_0_q8_1PKvPK10block_q8_1RKiEEEvS2_S2_PT_iii
		.amdhsa_group_segment_fixed_size 0
		.amdhsa_private_segment_fixed_size 0
		.amdhsa_kernarg_size 296
		.amdhsa_user_sgpr_count 2
		.amdhsa_user_sgpr_dispatch_ptr 0
		.amdhsa_user_sgpr_queue_ptr 0
		.amdhsa_user_sgpr_kernarg_segment_ptr 1
		.amdhsa_user_sgpr_dispatch_id 0
		.amdhsa_user_sgpr_kernarg_preload_length 0
		.amdhsa_user_sgpr_kernarg_preload_offset 0
		.amdhsa_user_sgpr_private_segment_size 0
		.amdhsa_uses_dynamic_stack 0
		.amdhsa_enable_private_segment 0
		.amdhsa_system_sgpr_workgroup_id_x 1
		.amdhsa_system_sgpr_workgroup_id_y 1
		.amdhsa_system_sgpr_workgroup_id_z 0
		.amdhsa_system_sgpr_workgroup_info 0
		.amdhsa_system_vgpr_workitem_id 1
		.amdhsa_next_free_vgpr 24
		.amdhsa_next_free_sgpr 16
		.amdhsa_accum_offset 24
		.amdhsa_reserve_vcc 1
		.amdhsa_float_round_mode_32 0
		.amdhsa_float_round_mode_16_64 0
		.amdhsa_float_denorm_mode_32 3
		.amdhsa_float_denorm_mode_16_64 3
		.amdhsa_dx10_clamp 1
		.amdhsa_ieee_mode 1
		.amdhsa_fp16_overflow 0
		.amdhsa_tg_split 0
		.amdhsa_exception_fp_ieee_invalid_op 0
		.amdhsa_exception_fp_denorm_src 0
		.amdhsa_exception_fp_ieee_div_zero 0
		.amdhsa_exception_fp_ieee_overflow 0
		.amdhsa_exception_fp_ieee_underflow 0
		.amdhsa_exception_fp_ieee_inexact 0
		.amdhsa_exception_int_div_zero 0
	.end_amdhsa_kernel
	.section	.text._ZL13mul_mat_vec_qIfLi32ELi4E10block_q4_0Li2EXadL_ZL17vec_dot_q4_0_q8_1PKvPK10block_q8_1RKiEEEvS2_S2_PT_iii,"axG",@progbits,_ZL13mul_mat_vec_qIfLi32ELi4E10block_q4_0Li2EXadL_ZL17vec_dot_q4_0_q8_1PKvPK10block_q8_1RKiEEEvS2_S2_PT_iii,comdat
.Lfunc_end58:
	.size	_ZL13mul_mat_vec_qIfLi32ELi4E10block_q4_0Li2EXadL_ZL17vec_dot_q4_0_q8_1PKvPK10block_q8_1RKiEEEvS2_S2_PT_iii, .Lfunc_end58-_ZL13mul_mat_vec_qIfLi32ELi4E10block_q4_0Li2EXadL_ZL17vec_dot_q4_0_q8_1PKvPK10block_q8_1RKiEEEvS2_S2_PT_iii
                                        ; -- End function
	.section	.AMDGPU.csdata,"",@progbits
; Kernel info:
; codeLenInByte = 688
; NumSgprs: 22
; NumVgprs: 24
; NumAgprs: 0
; TotalNumVgprs: 24
; ScratchSize: 0
; MemoryBound: 0
; FloatMode: 240
; IeeeMode: 1
; LDSByteSize: 0 bytes/workgroup (compile time only)
; SGPRBlocks: 2
; VGPRBlocks: 2
; NumSGPRsForWavesPerEU: 22
; NumVGPRsForWavesPerEU: 24
; AccumOffset: 24
; Occupancy: 8
; WaveLimiterHint : 0
; COMPUTE_PGM_RSRC2:SCRATCH_EN: 0
; COMPUTE_PGM_RSRC2:USER_SGPR: 2
; COMPUTE_PGM_RSRC2:TRAP_HANDLER: 0
; COMPUTE_PGM_RSRC2:TGID_X_EN: 1
; COMPUTE_PGM_RSRC2:TGID_Y_EN: 1
; COMPUTE_PGM_RSRC2:TGID_Z_EN: 0
; COMPUTE_PGM_RSRC2:TIDIG_COMP_CNT: 1
; COMPUTE_PGM_RSRC3_GFX90A:ACCUM_OFFSET: 5
; COMPUTE_PGM_RSRC3_GFX90A:TG_SPLIT: 0
	.section	.text._ZL13mul_mat_vec_qIfLi32ELi4E10block_q4_1Li2EXadL_ZL17vec_dot_q4_1_q8_1PKvPK10block_q8_1RKiEEEvS2_S2_PT_iii,"axG",@progbits,_ZL13mul_mat_vec_qIfLi32ELi4E10block_q4_1Li2EXadL_ZL17vec_dot_q4_1_q8_1PKvPK10block_q8_1RKiEEEvS2_S2_PT_iii,comdat
	.globl	_ZL13mul_mat_vec_qIfLi32ELi4E10block_q4_1Li2EXadL_ZL17vec_dot_q4_1_q8_1PKvPK10block_q8_1RKiEEEvS2_S2_PT_iii ; -- Begin function _ZL13mul_mat_vec_qIfLi32ELi4E10block_q4_1Li2EXadL_ZL17vec_dot_q4_1_q8_1PKvPK10block_q8_1RKiEEEvS2_S2_PT_iii
	.p2align	8
	.type	_ZL13mul_mat_vec_qIfLi32ELi4E10block_q4_1Li2EXadL_ZL17vec_dot_q4_1_q8_1PKvPK10block_q8_1RKiEEEvS2_S2_PT_iii,@function
_ZL13mul_mat_vec_qIfLi32ELi4E10block_q4_1Li2EXadL_ZL17vec_dot_q4_1_q8_1PKvPK10block_q8_1RKiEEEvS2_S2_PT_iii: ; @_ZL13mul_mat_vec_qIfLi32ELi4E10block_q4_1Li2EXadL_ZL17vec_dot_q4_1_q8_1PKvPK10block_q8_1RKiEEEvS2_S2_PT_iii
; %bb.0:
	s_load_dword s8, s[0:1], 0x34
	s_load_dwordx4 s[4:7], s[0:1], 0x18
	v_bfe_u32 v1, v0, 10, 10
	s_waitcnt lgkmcnt(0)
	s_lshr_b32 s7, s8, 16
	s_mul_i32 s2, s2, s7
	v_add_u32_e32 v2, s2, v1
	s_cmp_lt_u32 s3, s6
	v_cmp_gt_u32_e32 vcc, s5, v2
	s_cselect_b64 s[6:7], -1, 0
	s_and_b64 s[6:7], s[6:7], vcc
	s_and_saveexec_b64 s[8:9], s[6:7]
	s_cbranch_execz .LBB59_7
; %bb.1:
	s_load_dwordx2 s[6:7], s[0:1], 0x10
	s_ashr_i32 s2, s4, 31
	s_lshr_b32 s2, s2, 27
	s_add_i32 s2, s4, s2
	v_and_b32_e32 v3, 0x3ff, v0
	s_ashr_i32 s2, s2, 5
	v_lshrrev_b32_e32 v5, 1, v3
	v_cmp_gt_u32_e32 vcc, s2, v5
	v_mov_b32_e32 v4, 0
	s_and_saveexec_b64 s[12:13], vcc
	s_cbranch_execz .LBB59_5
; %bb.2:
	s_load_dwordx4 s[8:11], s[0:1], 0x0
	s_add_i32 s0, s4, 0x1ff
	s_ashr_i32 s1, s0, 31
	s_lshr_b32 s1, s1, 23
	s_add_i32 s0, s0, s1
	s_ashr_i32 s0, s0, 9
	s_mul_i32 s0, s3, s0
	v_lshlrev_b32_e32 v0, 3, v3
	v_mov_b32_e32 v1, 0
	v_mul_lo_u32 v6, v2, s2
	s_lshl_b32 s4, s0, 4
	v_and_b32_e32 v0, 8, v0
	s_mov_b64 s[0:1], 0
	s_mov_b32 s14, 0.5
	v_mov_b32_e32 v4, v1
.LBB59_3:                               ; =>This Inner Loop Header: Depth=1
	v_add_u32_e32 v7, v6, v5
	v_add_u32_e32 v10, s4, v5
	s_waitcnt lgkmcnt(0)
	v_mad_i64_i32 v[8:9], s[16:17], v7, 20, s[8:9]
	v_mad_i64_i32 v[10:11], s[16:17], v10, 36, s[10:11]
	v_lshl_add_u64 v[12:13], v[8:9], 0, v[0:1]
	v_lshl_add_u64 v[14:15], v[10:11], 0, v[0:1]
	global_load_dword v7, v[8:9], off
	global_load_dwordx2 v[16:17], v[12:13], off offset:4
	global_load_dwordx2 v[18:19], v[14:15], off offset:4
	;; [unrolled: 1-line block ×3, first 2 shown]
	global_load_dword v22, v[10:11], off
	v_mov_b32_e32 v8, 0
	v_add_u32_e32 v5, 32, v5
	v_cmp_le_u32_e32 vcc, s2, v5
	s_or_b64 s[0:1], vcc, s[0:1]
	s_waitcnt vmcnt(3)
	v_and_b32_e32 v9, 0xf0f0f0f, v16
	v_lshrrev_b32_e32 v10, 4, v16
	v_and_b32_e32 v10, 0xf0f0f0f, v10
	s_waitcnt vmcnt(2)
	v_dot4c_i32_i8_e32 v8, v9, v18
	v_and_b32_e32 v11, 0xf0f0f0f, v17
	v_lshrrev_b32_e32 v12, 4, v17
	s_waitcnt vmcnt(1)
	v_dot4c_i32_i8_e32 v8, v10, v20
	v_and_b32_e32 v9, 0xf0f0f0f, v12
	v_dot4c_i32_i8_e32 v8, v11, v19
	s_waitcnt vmcnt(0)
	v_pk_mul_f16 v7, v7, v22
	v_dot4c_i32_i8_e32 v8, v9, v21
	v_cvt_f32_f16_e32 v13, v7
	s_nop 1
	v_cvt_f32_i32_e32 v8, v8
	v_mul_f32_e32 v8, v8, v13
	v_fma_mix_f32 v7, v7, s14, v8 op_sel:[1,0,0] op_sel_hi:[1,0,0]
	s_nop 0
	v_add_f32_e32 v4, v4, v7
	s_andn2_b64 exec, exec, s[0:1]
	s_cbranch_execnz .LBB59_3
; %bb.4:
	s_or_b64 exec, exec, s[0:1]
.LBB59_5:
	s_or_b64 exec, exec, s[12:13]
	v_mbcnt_lo_u32_b32 v0, -1, 0
	v_mbcnt_hi_u32_b32 v1, -1, v0
	v_and_b32_e32 v0, 64, v1
	v_add_u32_e32 v5, 64, v0
	v_xor_b32_e32 v0, 32, v1
	v_cmp_lt_i32_e32 vcc, v0, v5
	v_xor_b32_e32 v6, 16, v1
	s_nop 0
	v_cndmask_b32_e32 v0, v1, v0, vcc
	v_lshlrev_b32_e32 v0, 2, v0
	ds_bpermute_b32 v0, v0, v4
	v_cmp_lt_i32_e32 vcc, v6, v5
	s_waitcnt lgkmcnt(0)
	v_add_f32_e32 v0, v4, v0
	v_cndmask_b32_e32 v4, v1, v6, vcc
	v_lshlrev_b32_e32 v4, 2, v4
	ds_bpermute_b32 v4, v4, v0
	v_xor_b32_e32 v6, 8, v1
	v_cmp_lt_i32_e32 vcc, v6, v5
	s_waitcnt lgkmcnt(0)
	v_add_f32_e32 v0, v0, v4
	v_cndmask_b32_e32 v4, v1, v6, vcc
	v_lshlrev_b32_e32 v4, 2, v4
	ds_bpermute_b32 v4, v4, v0
	v_xor_b32_e32 v6, 4, v1
	;; [unrolled: 7-line block ×4, first 2 shown]
	v_cmp_lt_i32_e32 vcc, v6, v5
	s_waitcnt lgkmcnt(0)
	v_add_f32_e32 v0, v0, v4
	v_cndmask_b32_e32 v1, v1, v6, vcc
	v_lshlrev_b32_e32 v1, 2, v1
	ds_bpermute_b32 v1, v1, v0
	v_cmp_eq_u32_e32 vcc, 0, v3
	s_and_b64 exec, exec, vcc
	s_cbranch_execz .LBB59_7
; %bb.6:
	s_mul_i32 s3, s3, s5
	s_waitcnt lgkmcnt(0)
	v_add_f32_e32 v3, v0, v1
	v_add_u32_e32 v0, s3, v2
	v_mov_b32_e32 v1, 0
	v_lshl_add_u64 v[0:1], v[0:1], 2, s[6:7]
	global_store_dword v[0:1], v3, off
.LBB59_7:
	s_endpgm
	.section	.rodata,"a",@progbits
	.p2align	6, 0x0
	.amdhsa_kernel _ZL13mul_mat_vec_qIfLi32ELi4E10block_q4_1Li2EXadL_ZL17vec_dot_q4_1_q8_1PKvPK10block_q8_1RKiEEEvS2_S2_PT_iii
		.amdhsa_group_segment_fixed_size 0
		.amdhsa_private_segment_fixed_size 0
		.amdhsa_kernarg_size 296
		.amdhsa_user_sgpr_count 2
		.amdhsa_user_sgpr_dispatch_ptr 0
		.amdhsa_user_sgpr_queue_ptr 0
		.amdhsa_user_sgpr_kernarg_segment_ptr 1
		.amdhsa_user_sgpr_dispatch_id 0
		.amdhsa_user_sgpr_kernarg_preload_length 0
		.amdhsa_user_sgpr_kernarg_preload_offset 0
		.amdhsa_user_sgpr_private_segment_size 0
		.amdhsa_uses_dynamic_stack 0
		.amdhsa_enable_private_segment 0
		.amdhsa_system_sgpr_workgroup_id_x 1
		.amdhsa_system_sgpr_workgroup_id_y 1
		.amdhsa_system_sgpr_workgroup_id_z 0
		.amdhsa_system_sgpr_workgroup_info 0
		.amdhsa_system_vgpr_workitem_id 1
		.amdhsa_next_free_vgpr 23
		.amdhsa_next_free_sgpr 18
		.amdhsa_accum_offset 24
		.amdhsa_reserve_vcc 1
		.amdhsa_float_round_mode_32 0
		.amdhsa_float_round_mode_16_64 0
		.amdhsa_float_denorm_mode_32 3
		.amdhsa_float_denorm_mode_16_64 3
		.amdhsa_dx10_clamp 1
		.amdhsa_ieee_mode 1
		.amdhsa_fp16_overflow 0
		.amdhsa_tg_split 0
		.amdhsa_exception_fp_ieee_invalid_op 0
		.amdhsa_exception_fp_denorm_src 0
		.amdhsa_exception_fp_ieee_div_zero 0
		.amdhsa_exception_fp_ieee_overflow 0
		.amdhsa_exception_fp_ieee_underflow 0
		.amdhsa_exception_fp_ieee_inexact 0
		.amdhsa_exception_int_div_zero 0
	.end_amdhsa_kernel
	.section	.text._ZL13mul_mat_vec_qIfLi32ELi4E10block_q4_1Li2EXadL_ZL17vec_dot_q4_1_q8_1PKvPK10block_q8_1RKiEEEvS2_S2_PT_iii,"axG",@progbits,_ZL13mul_mat_vec_qIfLi32ELi4E10block_q4_1Li2EXadL_ZL17vec_dot_q4_1_q8_1PKvPK10block_q8_1RKiEEEvS2_S2_PT_iii,comdat
.Lfunc_end59:
	.size	_ZL13mul_mat_vec_qIfLi32ELi4E10block_q4_1Li2EXadL_ZL17vec_dot_q4_1_q8_1PKvPK10block_q8_1RKiEEEvS2_S2_PT_iii, .Lfunc_end59-_ZL13mul_mat_vec_qIfLi32ELi4E10block_q4_1Li2EXadL_ZL17vec_dot_q4_1_q8_1PKvPK10block_q8_1RKiEEEvS2_S2_PT_iii
                                        ; -- End function
	.section	.AMDGPU.csdata,"",@progbits
; Kernel info:
; codeLenInByte = 680
; NumSgprs: 24
; NumVgprs: 23
; NumAgprs: 0
; TotalNumVgprs: 23
; ScratchSize: 0
; MemoryBound: 0
; FloatMode: 240
; IeeeMode: 1
; LDSByteSize: 0 bytes/workgroup (compile time only)
; SGPRBlocks: 2
; VGPRBlocks: 2
; NumSGPRsForWavesPerEU: 24
; NumVGPRsForWavesPerEU: 23
; AccumOffset: 24
; Occupancy: 8
; WaveLimiterHint : 0
; COMPUTE_PGM_RSRC2:SCRATCH_EN: 0
; COMPUTE_PGM_RSRC2:USER_SGPR: 2
; COMPUTE_PGM_RSRC2:TRAP_HANDLER: 0
; COMPUTE_PGM_RSRC2:TGID_X_EN: 1
; COMPUTE_PGM_RSRC2:TGID_Y_EN: 1
; COMPUTE_PGM_RSRC2:TGID_Z_EN: 0
; COMPUTE_PGM_RSRC2:TIDIG_COMP_CNT: 1
; COMPUTE_PGM_RSRC3_GFX90A:ACCUM_OFFSET: 5
; COMPUTE_PGM_RSRC3_GFX90A:TG_SPLIT: 0
	.section	.text._ZL13mul_mat_vec_qIfLi32ELi4E10block_q5_0Li2EXadL_ZL17vec_dot_q5_0_q8_1PKvPK10block_q8_1RKiEEEvS2_S2_PT_iii,"axG",@progbits,_ZL13mul_mat_vec_qIfLi32ELi4E10block_q5_0Li2EXadL_ZL17vec_dot_q5_0_q8_1PKvPK10block_q8_1RKiEEEvS2_S2_PT_iii,comdat
	.globl	_ZL13mul_mat_vec_qIfLi32ELi4E10block_q5_0Li2EXadL_ZL17vec_dot_q5_0_q8_1PKvPK10block_q8_1RKiEEEvS2_S2_PT_iii ; -- Begin function _ZL13mul_mat_vec_qIfLi32ELi4E10block_q5_0Li2EXadL_ZL17vec_dot_q5_0_q8_1PKvPK10block_q8_1RKiEEEvS2_S2_PT_iii
	.p2align	8
	.type	_ZL13mul_mat_vec_qIfLi32ELi4E10block_q5_0Li2EXadL_ZL17vec_dot_q5_0_q8_1PKvPK10block_q8_1RKiEEEvS2_S2_PT_iii,@function
_ZL13mul_mat_vec_qIfLi32ELi4E10block_q5_0Li2EXadL_ZL17vec_dot_q5_0_q8_1PKvPK10block_q8_1RKiEEEvS2_S2_PT_iii: ; @_ZL13mul_mat_vec_qIfLi32ELi4E10block_q5_0Li2EXadL_ZL17vec_dot_q5_0_q8_1PKvPK10block_q8_1RKiEEEvS2_S2_PT_iii
; %bb.0:
	s_load_dword s8, s[0:1], 0x34
	s_load_dwordx4 s[4:7], s[0:1], 0x18
	v_bfe_u32 v1, v0, 10, 10
	s_waitcnt lgkmcnt(0)
	s_lshr_b32 s7, s8, 16
	s_mul_i32 s2, s2, s7
	v_add_u32_e32 v4, s2, v1
	s_cmp_lt_u32 s3, s6
	v_cmp_gt_u32_e32 vcc, s5, v4
	s_cselect_b64 s[6:7], -1, 0
	s_and_b64 s[6:7], s[6:7], vcc
	s_and_saveexec_b64 s[8:9], s[6:7]
	s_cbranch_execz .LBB60_7
; %bb.1:
	s_load_dwordx2 s[6:7], s[0:1], 0x10
	s_ashr_i32 s2, s4, 31
	s_lshr_b32 s2, s2, 27
	s_add_i32 s2, s4, s2
	v_and_b32_e32 v5, 0x3ff, v0
	s_ashr_i32 s2, s2, 5
	v_lshrrev_b32_e32 v6, 1, v5
	v_cmp_gt_u32_e32 vcc, s2, v6
	v_mov_b32_e32 v7, 0
	s_and_saveexec_b64 s[12:13], vcc
	s_cbranch_execz .LBB60_5
; %bb.2:
	s_load_dwordx4 s[8:11], s[0:1], 0x0
	s_add_i32 s0, s4, 0x1ff
	s_ashr_i32 s1, s0, 31
	s_lshr_b32 s1, s1, 23
	s_add_i32 s0, s0, s1
	s_ashr_i32 s0, s0, 9
	v_lshlrev_b32_e32 v0, 3, v5
	s_mul_i32 s0, s3, s0
	v_and_b32_e32 v0, 8, v0
	v_mov_b32_e32 v1, 0
	v_mul_lo_u32 v8, v4, s2
	s_lshl_b32 s4, s0, 4
	v_or_b32_e32 v9, 4, v0
	s_mov_b64 s[0:1], 0
	s_mov_b32 s14, 0x1000706
	v_mov_b32_e32 v3, 0x41000000
	v_mov_b32_e32 v7, v1
.LBB60_3:                               ; =>This Inner Loop Header: Depth=1
	v_add_u32_e32 v2, v8, v6
	v_add_u32_e32 v12, s4, v6
	s_waitcnt lgkmcnt(0)
	v_mad_i64_i32 v[10:11], s[16:17], v2, 22, s[8:9]
	v_mad_i64_i32 v[12:13], s[16:17], v12, 36, s[10:11]
	global_load_dword v20, v[10:11], off
	global_load_ushort v2, v[10:11], off offset:4
	v_lshl_add_u64 v[14:15], v[12:13], 0, v[0:1]
	v_lshl_add_u64 v[10:11], v[10:11], 0, v[0:1]
	global_load_dwordx2 v[16:17], v[14:15], off offset:4
	global_load_dwordx2 v[18:19], v[14:15], off offset:20
	global_load_dword v21, v[10:11], off offset:6
	global_load_dword v22, v[10:11], off offset:10
	global_load_dword v23, v[12:13], off
	v_mov_b32_e32 v12, 0
	v_add_u32_e32 v6, 32, v6
	v_cmp_le_u32_e32 vcc, s2, v6
	s_or_b64 s[0:1], vcc, s[0:1]
	s_waitcnt vmcnt(5)
	v_perm_b32 v2, v20, v2, s14
	v_ashrrev_i32_e32 v13, v0, v2
	v_lshlrev_b32_e32 v24, 11, v13
	s_waitcnt vmcnt(0)
	v_cvt_f32_f16_e32 v10, v23
	v_cvt_f32_f16_sdwa v11, v23 dst_sel:DWORD dst_unused:UNUSED_PAD src0_sel:WORD_1
	v_lshlrev_b32_e32 v23, 4, v13
	v_ashrrev_i32_e32 v2, v9, v2
	v_and_b32_e32 v14, 0xf0f0f0f, v21
	v_lshlrev_b32_e32 v25, 18, v13
	v_lshlrev_b32_e32 v26, 25, v13
	v_lshrrev_b32_e32 v27, 12, v13
	v_lshrrev_b32_e32 v28, 5, v13
	v_lshlrev_b32_e32 v29, 2, v13
	v_and_b32_e32 v23, 16, v23
	v_and_b32_e32 v24, 0x1000, v24
	v_lshrrev_b32_e32 v15, 4, v21
	v_lshlrev_b32_e32 v13, 9, v13
	v_lshlrev_b32_e32 v30, 4, v2
	;; [unrolled: 1-line block ×4, first 2 shown]
	v_and_b32_e32 v25, 0x100000, v25
	v_and_b32_e32 v26, 0x10000000, v26
	;; [unrolled: 1-line block ×5, first 2 shown]
	v_or3_b32 v14, v23, v14, v24
	v_and_b32_e32 v15, 0xf0f0f0f, v15
	v_lshlrev_b32_e32 v33, 25, v2
	v_lshrrev_b32_e32 v34, 12, v2
	v_lshrrev_b32_e32 v35, 5, v2
	v_lshlrev_b32_e32 v36, 2, v2
	v_and_b32_e32 v13, 0x10000000, v13
	v_and_b32_e32 v30, 16, v30
	;; [unrolled: 1-line block ×4, first 2 shown]
	v_or3_b32 v23, v28, v27, v29
	v_or3_b32 v14, v14, v25, v26
	v_and_b32_e32 v21, 0xf0f0f0f, v22
	v_lshrrev_b32_e32 v22, 4, v22
	v_lshlrev_b32_e32 v2, 9, v2
	v_and_b32_e32 v33, 0x10000000, v33
	v_and_b32_e32 v34, 16, v34
	v_and_b32_e32 v35, 0x1000, v35
	v_and_b32_e32 v36, 0x100000, v36
	v_or3_b32 v24, v31, v30, v32
	v_or3_b32 v13, v23, v13, v15
	v_dot4c_i32_i8_e32 v12, v14, v16
	v_and_b32_e32 v22, 0xf0f0f0f, v22
	v_and_b32_e32 v2, 0x10000000, v2
	v_or3_b32 v27, v35, v34, v36
	v_or3_b32 v15, v24, v33, v21
	v_dot4c_i32_i8_e32 v12, v13, v18
	v_or3_b32 v2, v27, v2, v22
	v_dot4c_i32_i8_e32 v12, v15, v17
	v_dot4c_i32_i8_e32 v12, v2, v19
	s_nop 2
	v_cvt_f32_i32_e32 v2, v12
	v_pk_mul_f32 v[10:11], v[2:3], v[10:11]
	s_nop 0
	v_sub_f32_e32 v2, v10, v11
	v_fma_mix_f32 v7, v2, v20, v7 op_sel_hi:[0,1,0]
	s_andn2_b64 exec, exec, s[0:1]
	s_cbranch_execnz .LBB60_3
; %bb.4:
	s_or_b64 exec, exec, s[0:1]
.LBB60_5:
	s_or_b64 exec, exec, s[12:13]
	v_mbcnt_lo_u32_b32 v0, -1, 0
	v_mbcnt_hi_u32_b32 v1, -1, v0
	v_and_b32_e32 v0, 64, v1
	v_add_u32_e32 v2, 64, v0
	v_xor_b32_e32 v0, 32, v1
	v_cmp_lt_i32_e32 vcc, v0, v2
	v_xor_b32_e32 v3, 16, v1
	v_xor_b32_e32 v6, 8, v1
	v_cndmask_b32_e32 v0, v1, v0, vcc
	v_lshlrev_b32_e32 v0, 2, v0
	ds_bpermute_b32 v0, v0, v7
	v_cmp_lt_i32_e32 vcc, v3, v2
	s_waitcnt lgkmcnt(0)
	v_add_f32_e32 v0, v7, v0
	v_cndmask_b32_e32 v3, v1, v3, vcc
	v_lshlrev_b32_e32 v3, 2, v3
	ds_bpermute_b32 v3, v3, v0
	v_cmp_lt_i32_e32 vcc, v6, v2
	s_waitcnt lgkmcnt(0)
	v_add_f32_e32 v0, v0, v3
	v_cndmask_b32_e32 v3, v1, v6, vcc
	v_lshlrev_b32_e32 v3, 2, v3
	ds_bpermute_b32 v3, v3, v0
	v_xor_b32_e32 v6, 4, v1
	v_cmp_lt_i32_e32 vcc, v6, v2
	s_waitcnt lgkmcnt(0)
	v_add_f32_e32 v0, v0, v3
	v_cndmask_b32_e32 v3, v1, v6, vcc
	v_lshlrev_b32_e32 v3, 2, v3
	ds_bpermute_b32 v3, v3, v0
	v_xor_b32_e32 v6, 2, v1
	;; [unrolled: 7-line block ×3, first 2 shown]
	v_cmp_lt_i32_e32 vcc, v6, v2
	s_waitcnt lgkmcnt(0)
	v_add_f32_e32 v0, v0, v3
	v_cndmask_b32_e32 v1, v1, v6, vcc
	v_lshlrev_b32_e32 v1, 2, v1
	ds_bpermute_b32 v1, v1, v0
	v_cmp_eq_u32_e32 vcc, 0, v5
	s_and_b64 exec, exec, vcc
	s_cbranch_execz .LBB60_7
; %bb.6:
	s_mul_i32 s3, s3, s5
	s_waitcnt lgkmcnt(0)
	v_add_f32_e32 v2, v0, v1
	v_add_u32_e32 v0, s3, v4
	v_mov_b32_e32 v1, 0
	v_lshl_add_u64 v[0:1], v[0:1], 2, s[6:7]
	global_store_dword v[0:1], v2, off
.LBB60_7:
	s_endpgm
	.section	.rodata,"a",@progbits
	.p2align	6, 0x0
	.amdhsa_kernel _ZL13mul_mat_vec_qIfLi32ELi4E10block_q5_0Li2EXadL_ZL17vec_dot_q5_0_q8_1PKvPK10block_q8_1RKiEEEvS2_S2_PT_iii
		.amdhsa_group_segment_fixed_size 0
		.amdhsa_private_segment_fixed_size 0
		.amdhsa_kernarg_size 296
		.amdhsa_user_sgpr_count 2
		.amdhsa_user_sgpr_dispatch_ptr 0
		.amdhsa_user_sgpr_queue_ptr 0
		.amdhsa_user_sgpr_kernarg_segment_ptr 1
		.amdhsa_user_sgpr_dispatch_id 0
		.amdhsa_user_sgpr_kernarg_preload_length 0
		.amdhsa_user_sgpr_kernarg_preload_offset 0
		.amdhsa_user_sgpr_private_segment_size 0
		.amdhsa_uses_dynamic_stack 0
		.amdhsa_enable_private_segment 0
		.amdhsa_system_sgpr_workgroup_id_x 1
		.amdhsa_system_sgpr_workgroup_id_y 1
		.amdhsa_system_sgpr_workgroup_id_z 0
		.amdhsa_system_sgpr_workgroup_info 0
		.amdhsa_system_vgpr_workitem_id 1
		.amdhsa_next_free_vgpr 37
		.amdhsa_next_free_sgpr 18
		.amdhsa_accum_offset 40
		.amdhsa_reserve_vcc 1
		.amdhsa_float_round_mode_32 0
		.amdhsa_float_round_mode_16_64 0
		.amdhsa_float_denorm_mode_32 3
		.amdhsa_float_denorm_mode_16_64 3
		.amdhsa_dx10_clamp 1
		.amdhsa_ieee_mode 1
		.amdhsa_fp16_overflow 0
		.amdhsa_tg_split 0
		.amdhsa_exception_fp_ieee_invalid_op 0
		.amdhsa_exception_fp_denorm_src 0
		.amdhsa_exception_fp_ieee_div_zero 0
		.amdhsa_exception_fp_ieee_overflow 0
		.amdhsa_exception_fp_ieee_underflow 0
		.amdhsa_exception_fp_ieee_inexact 0
		.amdhsa_exception_int_div_zero 0
	.end_amdhsa_kernel
	.section	.text._ZL13mul_mat_vec_qIfLi32ELi4E10block_q5_0Li2EXadL_ZL17vec_dot_q5_0_q8_1PKvPK10block_q8_1RKiEEEvS2_S2_PT_iii,"axG",@progbits,_ZL13mul_mat_vec_qIfLi32ELi4E10block_q5_0Li2EXadL_ZL17vec_dot_q5_0_q8_1PKvPK10block_q8_1RKiEEEvS2_S2_PT_iii,comdat
.Lfunc_end60:
	.size	_ZL13mul_mat_vec_qIfLi32ELi4E10block_q5_0Li2EXadL_ZL17vec_dot_q5_0_q8_1PKvPK10block_q8_1RKiEEEvS2_S2_PT_iii, .Lfunc_end60-_ZL13mul_mat_vec_qIfLi32ELi4E10block_q5_0Li2EXadL_ZL17vec_dot_q5_0_q8_1PKvPK10block_q8_1RKiEEEvS2_S2_PT_iii
                                        ; -- End function
	.section	.AMDGPU.csdata,"",@progbits
; Kernel info:
; codeLenInByte = 960
; NumSgprs: 24
; NumVgprs: 37
; NumAgprs: 0
; TotalNumVgprs: 37
; ScratchSize: 0
; MemoryBound: 0
; FloatMode: 240
; IeeeMode: 1
; LDSByteSize: 0 bytes/workgroup (compile time only)
; SGPRBlocks: 2
; VGPRBlocks: 4
; NumSGPRsForWavesPerEU: 24
; NumVGPRsForWavesPerEU: 37
; AccumOffset: 40
; Occupancy: 8
; WaveLimiterHint : 0
; COMPUTE_PGM_RSRC2:SCRATCH_EN: 0
; COMPUTE_PGM_RSRC2:USER_SGPR: 2
; COMPUTE_PGM_RSRC2:TRAP_HANDLER: 0
; COMPUTE_PGM_RSRC2:TGID_X_EN: 1
; COMPUTE_PGM_RSRC2:TGID_Y_EN: 1
; COMPUTE_PGM_RSRC2:TGID_Z_EN: 0
; COMPUTE_PGM_RSRC2:TIDIG_COMP_CNT: 1
; COMPUTE_PGM_RSRC3_GFX90A:ACCUM_OFFSET: 9
; COMPUTE_PGM_RSRC3_GFX90A:TG_SPLIT: 0
	.section	.text._ZL13mul_mat_vec_qIfLi32ELi4E10block_q5_1Li2EXadL_ZL17vec_dot_q5_1_q8_1PKvPK10block_q8_1RKiEEEvS2_S2_PT_iii,"axG",@progbits,_ZL13mul_mat_vec_qIfLi32ELi4E10block_q5_1Li2EXadL_ZL17vec_dot_q5_1_q8_1PKvPK10block_q8_1RKiEEEvS2_S2_PT_iii,comdat
	.globl	_ZL13mul_mat_vec_qIfLi32ELi4E10block_q5_1Li2EXadL_ZL17vec_dot_q5_1_q8_1PKvPK10block_q8_1RKiEEEvS2_S2_PT_iii ; -- Begin function _ZL13mul_mat_vec_qIfLi32ELi4E10block_q5_1Li2EXadL_ZL17vec_dot_q5_1_q8_1PKvPK10block_q8_1RKiEEEvS2_S2_PT_iii
	.p2align	8
	.type	_ZL13mul_mat_vec_qIfLi32ELi4E10block_q5_1Li2EXadL_ZL17vec_dot_q5_1_q8_1PKvPK10block_q8_1RKiEEEvS2_S2_PT_iii,@function
_ZL13mul_mat_vec_qIfLi32ELi4E10block_q5_1Li2EXadL_ZL17vec_dot_q5_1_q8_1PKvPK10block_q8_1RKiEEEvS2_S2_PT_iii: ; @_ZL13mul_mat_vec_qIfLi32ELi4E10block_q5_1Li2EXadL_ZL17vec_dot_q5_1_q8_1PKvPK10block_q8_1RKiEEEvS2_S2_PT_iii
; %bb.0:
	s_load_dword s8, s[0:1], 0x34
	s_load_dwordx4 s[4:7], s[0:1], 0x18
	v_bfe_u32 v1, v0, 10, 10
	s_waitcnt lgkmcnt(0)
	s_lshr_b32 s7, s8, 16
	s_mul_i32 s2, s2, s7
	v_add_u32_e32 v2, s2, v1
	s_cmp_lt_u32 s3, s6
	v_cmp_gt_u32_e32 vcc, s5, v2
	s_cselect_b64 s[6:7], -1, 0
	s_and_b64 s[6:7], s[6:7], vcc
	s_and_saveexec_b64 s[8:9], s[6:7]
	s_cbranch_execz .LBB61_7
; %bb.1:
	s_load_dwordx2 s[6:7], s[0:1], 0x10
	s_ashr_i32 s2, s4, 31
	s_lshr_b32 s2, s2, 27
	s_add_i32 s2, s4, s2
	v_and_b32_e32 v3, 0x3ff, v0
	s_ashr_i32 s2, s2, 5
	v_lshrrev_b32_e32 v4, 1, v3
	v_cmp_gt_u32_e32 vcc, s2, v4
	v_mov_b32_e32 v5, 0
	s_and_saveexec_b64 s[12:13], vcc
	s_cbranch_execz .LBB61_5
; %bb.2:
	s_load_dwordx4 s[8:11], s[0:1], 0x0
	s_add_i32 s0, s4, 0x1ff
	s_ashr_i32 s1, s0, 31
	s_lshr_b32 s1, s1, 23
	s_add_i32 s0, s0, s1
	s_ashr_i32 s0, s0, 9
	v_lshlrev_b32_e32 v0, 3, v3
	s_mul_i32 s0, s3, s0
	v_and_b32_e32 v0, 8, v0
	v_mov_b32_e32 v1, 0
	v_mul_lo_u32 v6, v2, s2
	s_lshl_b32 s4, s0, 4
	v_or_b32_e32 v7, 4, v0
	s_mov_b64 s[0:1], 0
	s_mov_b32 s14, 0.5
	v_mov_b32_e32 v5, v1
.LBB61_3:                               ; =>This Inner Loop Header: Depth=1
	v_add_u32_e32 v8, v6, v4
	s_waitcnt lgkmcnt(0)
	v_mad_i64_i32 v[8:9], s[16:17], v8, 24, s[8:9]
	v_add_u32_e32 v10, s4, v4
	global_load_dwordx2 v[12:13], v[8:9], off
	v_mad_i64_i32 v[10:11], s[16:17], v10, 36, s[10:11]
	v_lshl_add_u64 v[8:9], v[8:9], 0, v[0:1]
	v_lshl_add_u64 v[14:15], v[10:11], 0, v[0:1]
	global_load_dwordx2 v[16:17], v[8:9], off offset:8
	global_load_dwordx2 v[18:19], v[14:15], off offset:4
	;; [unrolled: 1-line block ×3, first 2 shown]
	global_load_dword v22, v[10:11], off
	v_mov_b32_e32 v8, 0
	v_add_u32_e32 v4, 32, v4
	v_cmp_le_u32_e32 vcc, s2, v4
	s_or_b64 s[0:1], vcc, s[0:1]
	s_waitcnt vmcnt(4)
	v_ashrrev_i32_e32 v9, v0, v13
	v_ashrrev_i32_e32 v10, v7, v13
	v_lshlrev_b32_e32 v13, 4, v9
	v_lshlrev_b32_e32 v14, 11, v9
	;; [unrolled: 1-line block ×3, first 2 shown]
	s_waitcnt vmcnt(0)
	v_pk_mul_f16 v11, v12, v22
	v_and_b32_e32 v12, 0xf0f0f0f, v16
	v_lshlrev_b32_e32 v22, 25, v9
	v_lshrrev_b32_e32 v23, 12, v9
	v_lshrrev_b32_e32 v24, 5, v9
	v_lshlrev_b32_e32 v25, 2, v9
	v_and_b32_e32 v13, 16, v13
	v_and_b32_e32 v14, 0x1000, v14
	v_lshrrev_b32_e32 v16, 4, v16
	v_lshlrev_b32_e32 v9, 9, v9
	v_lshlrev_b32_e32 v27, 4, v10
	;; [unrolled: 1-line block ×4, first 2 shown]
	v_and_b32_e32 v15, 0x100000, v15
	v_and_b32_e32 v22, 0x10000000, v22
	;; [unrolled: 1-line block ×5, first 2 shown]
	v_or3_b32 v12, v13, v12, v14
	v_lshlrev_b32_e32 v30, 25, v10
	v_lshrrev_b32_e32 v31, 12, v10
	v_lshrrev_b32_e32 v32, 5, v10
	v_lshlrev_b32_e32 v33, 2, v10
	v_and_b32_e32 v16, 0xf0f0f0f, v16
	v_and_b32_e32 v9, 0x10000000, v9
	;; [unrolled: 1-line block ×5, first 2 shown]
	v_or3_b32 v13, v24, v23, v25
	v_or3_b32 v12, v12, v15, v22
	v_and_b32_e32 v26, 0xf0f0f0f, v17
	v_lshrrev_b32_e32 v17, 4, v17
	v_lshlrev_b32_e32 v10, 9, v10
	v_and_b32_e32 v30, 0x10000000, v30
	v_and_b32_e32 v31, 16, v31
	;; [unrolled: 1-line block ×4, first 2 shown]
	v_or3_b32 v14, v28, v27, v29
	v_or3_b32 v9, v13, v9, v16
	v_dot4c_i32_i8_e32 v8, v12, v18
	v_and_b32_e32 v17, 0xf0f0f0f, v17
	v_and_b32_e32 v10, 0x10000000, v10
	v_or3_b32 v23, v32, v31, v33
	v_or3_b32 v13, v14, v30, v26
	v_dot4c_i32_i8_e32 v8, v9, v20
	v_or3_b32 v10, v23, v10, v17
	v_dot4c_i32_i8_e32 v8, v13, v19
	v_dot4c_i32_i8_e32 v8, v10, v21
	v_cvt_f32_f16_e32 v34, v11
	s_nop 1
	v_cvt_f32_i32_e32 v8, v8
	v_mul_f32_e32 v8, v34, v8
	v_fma_mix_f32 v8, v11, s14, v8 op_sel:[1,0,0] op_sel_hi:[1,0,0]
	s_nop 0
	v_add_f32_e32 v5, v5, v8
	s_andn2_b64 exec, exec, s[0:1]
	s_cbranch_execnz .LBB61_3
; %bb.4:
	s_or_b64 exec, exec, s[0:1]
.LBB61_5:
	s_or_b64 exec, exec, s[12:13]
	v_mbcnt_lo_u32_b32 v0, -1, 0
	v_mbcnt_hi_u32_b32 v1, -1, v0
	v_and_b32_e32 v0, 64, v1
	v_add_u32_e32 v4, 64, v0
	v_xor_b32_e32 v0, 32, v1
	v_cmp_lt_i32_e32 vcc, v0, v4
	v_xor_b32_e32 v6, 16, v1
	s_nop 0
	v_cndmask_b32_e32 v0, v1, v0, vcc
	v_lshlrev_b32_e32 v0, 2, v0
	ds_bpermute_b32 v0, v0, v5
	v_cmp_lt_i32_e32 vcc, v6, v4
	s_waitcnt lgkmcnt(0)
	v_add_f32_e32 v0, v5, v0
	v_cndmask_b32_e32 v5, v1, v6, vcc
	v_lshlrev_b32_e32 v5, 2, v5
	ds_bpermute_b32 v5, v5, v0
	v_xor_b32_e32 v6, 8, v1
	v_cmp_lt_i32_e32 vcc, v6, v4
	s_waitcnt lgkmcnt(0)
	v_add_f32_e32 v0, v0, v5
	v_cndmask_b32_e32 v5, v1, v6, vcc
	v_lshlrev_b32_e32 v5, 2, v5
	ds_bpermute_b32 v5, v5, v0
	v_xor_b32_e32 v6, 4, v1
	;; [unrolled: 7-line block ×4, first 2 shown]
	v_cmp_lt_i32_e32 vcc, v6, v4
	s_waitcnt lgkmcnt(0)
	v_add_f32_e32 v0, v0, v5
	v_cndmask_b32_e32 v1, v1, v6, vcc
	v_lshlrev_b32_e32 v1, 2, v1
	ds_bpermute_b32 v1, v1, v0
	v_cmp_eq_u32_e32 vcc, 0, v3
	s_and_b64 exec, exec, vcc
	s_cbranch_execz .LBB61_7
; %bb.6:
	s_mul_i32 s3, s3, s5
	s_waitcnt lgkmcnt(0)
	v_add_f32_e32 v3, v0, v1
	v_add_u32_e32 v0, s3, v2
	v_mov_b32_e32 v1, 0
	v_lshl_add_u64 v[0:1], v[0:1], 2, s[6:7]
	global_store_dword v[0:1], v3, off
.LBB61_7:
	s_endpgm
	.section	.rodata,"a",@progbits
	.p2align	6, 0x0
	.amdhsa_kernel _ZL13mul_mat_vec_qIfLi32ELi4E10block_q5_1Li2EXadL_ZL17vec_dot_q5_1_q8_1PKvPK10block_q8_1RKiEEEvS2_S2_PT_iii
		.amdhsa_group_segment_fixed_size 0
		.amdhsa_private_segment_fixed_size 0
		.amdhsa_kernarg_size 296
		.amdhsa_user_sgpr_count 2
		.amdhsa_user_sgpr_dispatch_ptr 0
		.amdhsa_user_sgpr_queue_ptr 0
		.amdhsa_user_sgpr_kernarg_segment_ptr 1
		.amdhsa_user_sgpr_dispatch_id 0
		.amdhsa_user_sgpr_kernarg_preload_length 0
		.amdhsa_user_sgpr_kernarg_preload_offset 0
		.amdhsa_user_sgpr_private_segment_size 0
		.amdhsa_uses_dynamic_stack 0
		.amdhsa_enable_private_segment 0
		.amdhsa_system_sgpr_workgroup_id_x 1
		.amdhsa_system_sgpr_workgroup_id_y 1
		.amdhsa_system_sgpr_workgroup_id_z 0
		.amdhsa_system_sgpr_workgroup_info 0
		.amdhsa_system_vgpr_workitem_id 1
		.amdhsa_next_free_vgpr 35
		.amdhsa_next_free_sgpr 18
		.amdhsa_accum_offset 36
		.amdhsa_reserve_vcc 1
		.amdhsa_float_round_mode_32 0
		.amdhsa_float_round_mode_16_64 0
		.amdhsa_float_denorm_mode_32 3
		.amdhsa_float_denorm_mode_16_64 3
		.amdhsa_dx10_clamp 1
		.amdhsa_ieee_mode 1
		.amdhsa_fp16_overflow 0
		.amdhsa_tg_split 0
		.amdhsa_exception_fp_ieee_invalid_op 0
		.amdhsa_exception_fp_denorm_src 0
		.amdhsa_exception_fp_ieee_div_zero 0
		.amdhsa_exception_fp_ieee_overflow 0
		.amdhsa_exception_fp_ieee_underflow 0
		.amdhsa_exception_fp_ieee_inexact 0
		.amdhsa_exception_int_div_zero 0
	.end_amdhsa_kernel
	.section	.text._ZL13mul_mat_vec_qIfLi32ELi4E10block_q5_1Li2EXadL_ZL17vec_dot_q5_1_q8_1PKvPK10block_q8_1RKiEEEvS2_S2_PT_iii,"axG",@progbits,_ZL13mul_mat_vec_qIfLi32ELi4E10block_q5_1Li2EXadL_ZL17vec_dot_q5_1_q8_1PKvPK10block_q8_1RKiEEEvS2_S2_PT_iii,comdat
.Lfunc_end61:
	.size	_ZL13mul_mat_vec_qIfLi32ELi4E10block_q5_1Li2EXadL_ZL17vec_dot_q5_1_q8_1PKvPK10block_q8_1RKiEEEvS2_S2_PT_iii, .Lfunc_end61-_ZL13mul_mat_vec_qIfLi32ELi4E10block_q5_1Li2EXadL_ZL17vec_dot_q5_1_q8_1PKvPK10block_q8_1RKiEEEvS2_S2_PT_iii
                                        ; -- End function
	.section	.AMDGPU.csdata,"",@progbits
; Kernel info:
; codeLenInByte = 924
; NumSgprs: 24
; NumVgprs: 35
; NumAgprs: 0
; TotalNumVgprs: 35
; ScratchSize: 0
; MemoryBound: 0
; FloatMode: 240
; IeeeMode: 1
; LDSByteSize: 0 bytes/workgroup (compile time only)
; SGPRBlocks: 2
; VGPRBlocks: 4
; NumSGPRsForWavesPerEU: 24
; NumVGPRsForWavesPerEU: 35
; AccumOffset: 36
; Occupancy: 8
; WaveLimiterHint : 0
; COMPUTE_PGM_RSRC2:SCRATCH_EN: 0
; COMPUTE_PGM_RSRC2:USER_SGPR: 2
; COMPUTE_PGM_RSRC2:TRAP_HANDLER: 0
; COMPUTE_PGM_RSRC2:TGID_X_EN: 1
; COMPUTE_PGM_RSRC2:TGID_Y_EN: 1
; COMPUTE_PGM_RSRC2:TGID_Z_EN: 0
; COMPUTE_PGM_RSRC2:TIDIG_COMP_CNT: 1
; COMPUTE_PGM_RSRC3_GFX90A:ACCUM_OFFSET: 8
; COMPUTE_PGM_RSRC3_GFX90A:TG_SPLIT: 0
	.section	.text._ZL13mul_mat_vec_qIfLi32ELi8E10block_q8_0Li2EXadL_ZL17vec_dot_q8_0_q8_1PKvPK10block_q8_1RKiEEEvS2_S2_PT_iii,"axG",@progbits,_ZL13mul_mat_vec_qIfLi32ELi8E10block_q8_0Li2EXadL_ZL17vec_dot_q8_0_q8_1PKvPK10block_q8_1RKiEEEvS2_S2_PT_iii,comdat
	.globl	_ZL13mul_mat_vec_qIfLi32ELi8E10block_q8_0Li2EXadL_ZL17vec_dot_q8_0_q8_1PKvPK10block_q8_1RKiEEEvS2_S2_PT_iii ; -- Begin function _ZL13mul_mat_vec_qIfLi32ELi8E10block_q8_0Li2EXadL_ZL17vec_dot_q8_0_q8_1PKvPK10block_q8_1RKiEEEvS2_S2_PT_iii
	.p2align	8
	.type	_ZL13mul_mat_vec_qIfLi32ELi8E10block_q8_0Li2EXadL_ZL17vec_dot_q8_0_q8_1PKvPK10block_q8_1RKiEEEvS2_S2_PT_iii,@function
_ZL13mul_mat_vec_qIfLi32ELi8E10block_q8_0Li2EXadL_ZL17vec_dot_q8_0_q8_1PKvPK10block_q8_1RKiEEEvS2_S2_PT_iii: ; @_ZL13mul_mat_vec_qIfLi32ELi8E10block_q8_0Li2EXadL_ZL17vec_dot_q8_0_q8_1PKvPK10block_q8_1RKiEEEvS2_S2_PT_iii
; %bb.0:
	s_load_dword s8, s[0:1], 0x34
	s_load_dwordx4 s[4:7], s[0:1], 0x18
	v_bfe_u32 v1, v0, 10, 10
	s_waitcnt lgkmcnt(0)
	s_lshr_b32 s7, s8, 16
	s_mul_i32 s2, s2, s7
	v_add_u32_e32 v2, s2, v1
	s_cmp_lt_u32 s3, s6
	v_cmp_gt_u32_e32 vcc, s5, v2
	s_cselect_b64 s[6:7], -1, 0
	s_and_b64 s[6:7], s[6:7], vcc
	s_and_saveexec_b64 s[8:9], s[6:7]
	s_cbranch_execz .LBB62_7
; %bb.1:
	s_load_dwordx2 s[6:7], s[0:1], 0x10
	s_ashr_i32 s2, s4, 31
	s_lshr_b32 s2, s2, 27
	s_add_i32 s2, s4, s2
	v_and_b32_e32 v3, 0x3ff, v0
	s_ashr_i32 s2, s2, 5
	v_lshrrev_b32_e32 v5, 2, v3
	v_cmp_gt_u32_e32 vcc, s2, v5
	v_mov_b32_e32 v4, 0
	s_and_saveexec_b64 s[12:13], vcc
	s_cbranch_execz .LBB62_5
; %bb.2:
	s_load_dwordx4 s[8:11], s[0:1], 0x0
	s_add_i32 s0, s4, 0x1ff
	s_ashr_i32 s1, s0, 31
	s_lshr_b32 s1, s1, 23
	s_add_i32 s0, s0, s1
	s_ashr_i32 s0, s0, 9
	s_mul_i32 s0, s3, s0
	v_lshlrev_b32_e32 v0, 3, v3
	v_mov_b32_e32 v1, 0
	v_mul_lo_u32 v6, v2, s2
	s_lshl_b32 s4, s0, 4
	v_and_b32_e32 v0, 24, v0
	s_mov_b64 s[0:1], 0
	v_mov_b32_e32 v4, v1
.LBB62_3:                               ; =>This Inner Loop Header: Depth=1
	v_add_u32_e32 v7, v6, v5
	v_add_u32_e32 v10, s4, v5
	s_waitcnt lgkmcnt(0)
	v_mad_i64_i32 v[8:9], s[14:15], v7, 34, s[8:9]
	v_mad_i64_i32 v[10:11], s[14:15], v10, 36, s[10:11]
	v_lshl_add_u64 v[12:13], v[8:9], 0, v[0:1]
	v_lshl_add_u64 v[14:15], v[10:11], 0, v[0:1]
	global_load_ushort v7, v[8:9], off
	global_load_dwordx2 v[16:17], v[12:13], off offset:2
	global_load_dwordx2 v[18:19], v[14:15], off offset:4
	global_load_dword v20, v[10:11], off
	v_mov_b32_e32 v8, 0
	v_add_u32_e32 v5, 16, v5
	v_cmp_le_u32_e32 vcc, s2, v5
	s_or_b64 s[0:1], vcc, s[0:1]
	s_waitcnt vmcnt(3)
	v_cvt_f32_f16_e32 v7, v7
	s_waitcnt vmcnt(1)
	v_dot4c_i32_i8_e32 v8, v16, v18
	s_waitcnt vmcnt(0)
	v_cvt_f32_f16_e32 v9, v20
	v_dot4c_i32_i8_e32 v8, v17, v19
	v_mul_f32_e32 v7, v7, v9
	s_nop 1
	v_cvt_f32_i32_e32 v8, v8
	v_fmac_f32_e32 v4, v7, v8
	s_andn2_b64 exec, exec, s[0:1]
	s_cbranch_execnz .LBB62_3
; %bb.4:
	s_or_b64 exec, exec, s[0:1]
.LBB62_5:
	s_or_b64 exec, exec, s[12:13]
	v_mbcnt_lo_u32_b32 v0, -1, 0
	v_mbcnt_hi_u32_b32 v1, -1, v0
	v_and_b32_e32 v0, 64, v1
	v_add_u32_e32 v5, 64, v0
	v_xor_b32_e32 v0, 32, v1
	v_cmp_lt_i32_e32 vcc, v0, v5
	v_xor_b32_e32 v6, 16, v1
	s_nop 0
	v_cndmask_b32_e32 v0, v1, v0, vcc
	v_lshlrev_b32_e32 v0, 2, v0
	ds_bpermute_b32 v0, v0, v4
	v_cmp_lt_i32_e32 vcc, v6, v5
	s_waitcnt lgkmcnt(0)
	v_add_f32_e32 v0, v4, v0
	v_cndmask_b32_e32 v4, v1, v6, vcc
	v_lshlrev_b32_e32 v4, 2, v4
	ds_bpermute_b32 v4, v4, v0
	v_xor_b32_e32 v6, 8, v1
	v_cmp_lt_i32_e32 vcc, v6, v5
	s_waitcnt lgkmcnt(0)
	v_add_f32_e32 v0, v0, v4
	v_cndmask_b32_e32 v4, v1, v6, vcc
	v_lshlrev_b32_e32 v4, 2, v4
	ds_bpermute_b32 v4, v4, v0
	v_xor_b32_e32 v6, 4, v1
	;; [unrolled: 7-line block ×4, first 2 shown]
	v_cmp_lt_i32_e32 vcc, v6, v5
	s_waitcnt lgkmcnt(0)
	v_add_f32_e32 v0, v0, v4
	v_cndmask_b32_e32 v1, v1, v6, vcc
	v_lshlrev_b32_e32 v1, 2, v1
	ds_bpermute_b32 v1, v1, v0
	v_cmp_eq_u32_e32 vcc, 0, v3
	s_and_b64 exec, exec, vcc
	s_cbranch_execz .LBB62_7
; %bb.6:
	s_mul_i32 s3, s3, s5
	s_waitcnt lgkmcnt(0)
	v_add_f32_e32 v3, v0, v1
	v_add_u32_e32 v0, s3, v2
	v_mov_b32_e32 v1, 0
	v_lshl_add_u64 v[0:1], v[0:1], 2, s[6:7]
	global_store_dword v[0:1], v3, off
.LBB62_7:
	s_endpgm
	.section	.rodata,"a",@progbits
	.p2align	6, 0x0
	.amdhsa_kernel _ZL13mul_mat_vec_qIfLi32ELi8E10block_q8_0Li2EXadL_ZL17vec_dot_q8_0_q8_1PKvPK10block_q8_1RKiEEEvS2_S2_PT_iii
		.amdhsa_group_segment_fixed_size 0
		.amdhsa_private_segment_fixed_size 0
		.amdhsa_kernarg_size 296
		.amdhsa_user_sgpr_count 2
		.amdhsa_user_sgpr_dispatch_ptr 0
		.amdhsa_user_sgpr_queue_ptr 0
		.amdhsa_user_sgpr_kernarg_segment_ptr 1
		.amdhsa_user_sgpr_dispatch_id 0
		.amdhsa_user_sgpr_kernarg_preload_length 0
		.amdhsa_user_sgpr_kernarg_preload_offset 0
		.amdhsa_user_sgpr_private_segment_size 0
		.amdhsa_uses_dynamic_stack 0
		.amdhsa_enable_private_segment 0
		.amdhsa_system_sgpr_workgroup_id_x 1
		.amdhsa_system_sgpr_workgroup_id_y 1
		.amdhsa_system_sgpr_workgroup_id_z 0
		.amdhsa_system_sgpr_workgroup_info 0
		.amdhsa_system_vgpr_workitem_id 1
		.amdhsa_next_free_vgpr 21
		.amdhsa_next_free_sgpr 16
		.amdhsa_accum_offset 24
		.amdhsa_reserve_vcc 1
		.amdhsa_float_round_mode_32 0
		.amdhsa_float_round_mode_16_64 0
		.amdhsa_float_denorm_mode_32 3
		.amdhsa_float_denorm_mode_16_64 3
		.amdhsa_dx10_clamp 1
		.amdhsa_ieee_mode 1
		.amdhsa_fp16_overflow 0
		.amdhsa_tg_split 0
		.amdhsa_exception_fp_ieee_invalid_op 0
		.amdhsa_exception_fp_denorm_src 0
		.amdhsa_exception_fp_ieee_div_zero 0
		.amdhsa_exception_fp_ieee_overflow 0
		.amdhsa_exception_fp_ieee_underflow 0
		.amdhsa_exception_fp_ieee_inexact 0
		.amdhsa_exception_int_div_zero 0
	.end_amdhsa_kernel
	.section	.text._ZL13mul_mat_vec_qIfLi32ELi8E10block_q8_0Li2EXadL_ZL17vec_dot_q8_0_q8_1PKvPK10block_q8_1RKiEEEvS2_S2_PT_iii,"axG",@progbits,_ZL13mul_mat_vec_qIfLi32ELi8E10block_q8_0Li2EXadL_ZL17vec_dot_q8_0_q8_1PKvPK10block_q8_1RKiEEEvS2_S2_PT_iii,comdat
.Lfunc_end62:
	.size	_ZL13mul_mat_vec_qIfLi32ELi8E10block_q8_0Li2EXadL_ZL17vec_dot_q8_0_q8_1PKvPK10block_q8_1RKiEEEvS2_S2_PT_iii, .Lfunc_end62-_ZL13mul_mat_vec_qIfLi32ELi8E10block_q8_0Li2EXadL_ZL17vec_dot_q8_0_q8_1PKvPK10block_q8_1RKiEEEvS2_S2_PT_iii
                                        ; -- End function
	.section	.AMDGPU.csdata,"",@progbits
; Kernel info:
; codeLenInByte = 600
; NumSgprs: 22
; NumVgprs: 21
; NumAgprs: 0
; TotalNumVgprs: 21
; ScratchSize: 0
; MemoryBound: 0
; FloatMode: 240
; IeeeMode: 1
; LDSByteSize: 0 bytes/workgroup (compile time only)
; SGPRBlocks: 2
; VGPRBlocks: 2
; NumSGPRsForWavesPerEU: 22
; NumVGPRsForWavesPerEU: 21
; AccumOffset: 24
; Occupancy: 8
; WaveLimiterHint : 0
; COMPUTE_PGM_RSRC2:SCRATCH_EN: 0
; COMPUTE_PGM_RSRC2:USER_SGPR: 2
; COMPUTE_PGM_RSRC2:TRAP_HANDLER: 0
; COMPUTE_PGM_RSRC2:TGID_X_EN: 1
; COMPUTE_PGM_RSRC2:TGID_Y_EN: 1
; COMPUTE_PGM_RSRC2:TGID_Z_EN: 0
; COMPUTE_PGM_RSRC2:TIDIG_COMP_CNT: 1
; COMPUTE_PGM_RSRC3_GFX90A:ACCUM_OFFSET: 5
; COMPUTE_PGM_RSRC3_GFX90A:TG_SPLIT: 0
	.section	.text._ZL13mul_mat_vec_qIfLi256ELi16E10block_q2_KLi1EXadL_ZL17vec_dot_q2_K_q8_1PKvPK10block_q8_1RKiEEEvS2_S2_PT_iii,"axG",@progbits,_ZL13mul_mat_vec_qIfLi256ELi16E10block_q2_KLi1EXadL_ZL17vec_dot_q2_K_q8_1PKvPK10block_q8_1RKiEEEvS2_S2_PT_iii,comdat
	.globl	_ZL13mul_mat_vec_qIfLi256ELi16E10block_q2_KLi1EXadL_ZL17vec_dot_q2_K_q8_1PKvPK10block_q8_1RKiEEEvS2_S2_PT_iii ; -- Begin function _ZL13mul_mat_vec_qIfLi256ELi16E10block_q2_KLi1EXadL_ZL17vec_dot_q2_K_q8_1PKvPK10block_q8_1RKiEEEvS2_S2_PT_iii
	.p2align	8
	.type	_ZL13mul_mat_vec_qIfLi256ELi16E10block_q2_KLi1EXadL_ZL17vec_dot_q2_K_q8_1PKvPK10block_q8_1RKiEEEvS2_S2_PT_iii,@function
_ZL13mul_mat_vec_qIfLi256ELi16E10block_q2_KLi1EXadL_ZL17vec_dot_q2_K_q8_1PKvPK10block_q8_1RKiEEEvS2_S2_PT_iii: ; @_ZL13mul_mat_vec_qIfLi256ELi16E10block_q2_KLi1EXadL_ZL17vec_dot_q2_K_q8_1PKvPK10block_q8_1RKiEEEvS2_S2_PT_iii
; %bb.0:
	s_load_dword s8, s[0:1], 0x34
	s_load_dwordx4 s[4:7], s[0:1], 0x18
	v_bfe_u32 v1, v0, 10, 10
	s_waitcnt lgkmcnt(0)
	s_lshr_b32 s7, s8, 16
	s_mul_i32 s2, s2, s7
	v_add_u32_e32 v10, s2, v1
	s_cmp_lt_u32 s3, s6
	v_cmp_gt_u32_e32 vcc, s5, v10
	s_cselect_b64 s[6:7], -1, 0
	s_and_b64 s[6:7], s[6:7], vcc
	s_and_saveexec_b64 s[8:9], s[6:7]
	s_cbranch_execz .LBB63_7
; %bb.1:
	s_load_dwordx2 s[6:7], s[0:1], 0x10
	s_ashr_i32 s2, s4, 31
	s_lshr_b32 s2, s2, 24
	s_add_i32 s2, s4, s2
	v_and_b32_e32 v11, 0x3ff, v0
	s_ashr_i32 s2, s2, 8
	v_lshrrev_b32_e32 v12, 4, v11
	v_cmp_gt_u32_e32 vcc, s2, v12
	v_mov_b32_e32 v14, 0
	s_and_saveexec_b64 s[8:9], vcc
	s_cbranch_execz .LBB63_5
; %bb.2:
	s_load_dwordx4 s[12:15], s[0:1], 0x0
	s_add_i32 s0, s4, 0x1ff
	v_and_b32_e32 v6, 15, v11
	s_ashr_i32 s1, s0, 31
	v_cmp_lt_u32_e32 vcc, 7, v6
	s_lshr_b32 s1, s1, 23
	v_mov_b32_e32 v1, 0
	v_cndmask_b32_e64 v0, 0, 1, vcc
	v_add_u32_e32 v2, -8, v6
	v_cmp_gt_u32_e32 vcc, 8, v6
	s_add_i32 s0, s0, s1
	v_mov_b32_e32 v5, v1
	v_cndmask_b32_e32 v4, v2, v6, vcc
	s_ashr_i32 s0, s0, 9
	v_lshlrev_b32_e32 v7, 2, v0
	v_lshlrev_b64 v[2:3], 2, v[4:5]
	v_sub_u32_e32 v5, v6, v4
	v_cmp_lt_u32_e32 vcc, 3, v4
	s_mul_i32 s4, s3, s0
	v_lshlrev_b32_e32 v0, 2, v6
	v_addc_co_u32_e32 v4, vcc, 0, v5, vcc
	s_waitcnt lgkmcnt(0)
	v_mad_u64_u32 v[6:7], s[0:1], v7, 36, s[14:15]
	v_lshlrev_b32_e32 v8, 3, v12
	v_mul_lo_u32 v13, v10, s2
	v_ashrrev_i32_e32 v5, 31, v4
	v_lshl_add_u32 v15, s4, 4, v8
	s_mov_b64 s[0:1], 0
	s_movk_i32 s4, 0x54
	v_mov_b64_e32 v[8:9], s[12:13]
	s_mov_b64 s[10:11], 0x48
	s_mov_b64 s[12:13], 0x6c
	s_mov_b32 s14, 0x1010101
	v_mov_b32_e32 v14, v1
.LBB63_3:                               ; =>This Inner Loop Header: Depth=1
	v_mad_i64_i32 v[16:17], s[16:17], v15, 36, v[6:7]
	v_add_u32_e32 v18, v13, v12
	global_load_dword v32, v[16:17], off
	global_load_dword v33, v[16:17], off offset:36
	global_load_dword v34, v[16:17], off offset:72
	v_mad_i64_i32 v[18:19], s[16:17], v18, s4, v[8:9]
	v_lshl_add_u64 v[20:21], v[16:17], 0, v[2:3]
	v_lshl_add_u64 v[22:23], v[16:17], 0, 36
	;; [unrolled: 1-line block ×9, first 2 shown]
	global_load_dword v35, v[20:21], off offset:4
	global_load_dword v36, v[22:23], off offset:4
	;; [unrolled: 1-line block ×6, first 2 shown]
	global_load_ubyte v41, v[30:31], off
	global_load_ubyte v42, v[30:31], off offset:2
	global_load_ubyte v43, v[30:31], off offset:4
	;; [unrolled: 1-line block ×3, first 2 shown]
	global_load_dword v45, v[18:19], off offset:80
	v_mov_b32_e32 v17, 0
	v_mov_b32_e32 v19, 0
	;; [unrolled: 1-line block ×8, first 2 shown]
	v_add_u32_e32 v12, 4, v12
	v_cmp_le_u32_e32 vcc, s2, v12
	v_add_u32_e32 v15, 32, v15
	s_or_b64 s[0:1], vcc, s[0:1]
	s_waitcnt vmcnt(13)
	v_cvt_f32_f16_e32 v16, v32
	s_waitcnt vmcnt(12)
	v_cvt_f32_f16_e32 v18, v33
	;; [unrolled: 2-line block ×4, first 2 shown]
	s_waitcnt vmcnt(5)
	v_and_b32_e32 v29, 0x3030303, v40
	s_waitcnt vmcnt(4)
	v_and_b32_e32 v31, 15, v41
	v_lshrrev_b32_e32 v32, 4, v41
	v_lshrrev_b32_e32 v33, 2, v40
	s_waitcnt vmcnt(3)
	v_lshrrev_b32_e32 v39, 4, v42
	v_lshrrev_b32_e32 v41, 4, v40
	v_lshrrev_b32_e32 v40, 6, v40
	v_and_b32_e32 v34, 15, v42
	s_waitcnt vmcnt(2)
	v_and_b32_e32 v42, 15, v43
	v_lshrrev_b32_e32 v43, 4, v43
	v_dot4c_i32_i8_e32 v17, v29, v35
	v_mul_lo_u32 v29, v32, s14
	v_and_b32_e32 v32, 0x3030303, v33
	v_mul_lo_u32 v33, v39, s14
	v_and_b32_e32 v39, 0x3030303, v41
	v_and_b32_e32 v40, 0x3030303, v40
	s_waitcnt vmcnt(1)
	v_and_b32_e32 v46, 15, v44
	v_lshrrev_b32_e32 v44, 4, v44
	v_mul_lo_u32 v41, v43, s14
	v_mul_lo_u32 v17, v31, v17
	v_dot4c_i32_i8_e32 v19, v29, v35
	v_dot4c_i32_i8_e32 v21, v32, v36
	;; [unrolled: 1-line block ×4, first 2 shown]
	v_mul_lo_u32 v43, v44, s14
	v_dot4c_i32_i8_e32 v23, v33, v36
	v_dot4c_i32_i8_e32 v28, v41, v37
	v_mul_lo_u32 v21, v34, v21
	v_mul_lo_u32 v32, v42, v26
	;; [unrolled: 1-line block ×3, first 2 shown]
	v_cvt_f32_i32_e32 v27, v19
	v_cvt_f32_i32_e32 v26, v17
	v_dot4c_i32_i8_e32 v30, v43, v38
	v_cvt_f32_i32_e32 v29, v23
	v_cvt_f32_i32_e32 v31, v28
	;; [unrolled: 1-line block ×6, first 2 shown]
	s_waitcnt vmcnt(0)
	v_cvt_f32_f16_e32 v24, v45
	v_cvt_f32_f16_sdwa v25, v45 dst_sel:DWORD dst_unused:UNUSED_PAD src0_sel:WORD_1
	v_pk_fma_f32 v[16:17], v[16:17], v[26:27], 0 op_sel_hi:[0,1,0]
	v_pk_fma_f32 v[16:17], v[18:19], v[28:29], v[16:17] op_sel_hi:[0,1,1]
	v_pk_fma_f32 v[16:17], v[20:21], v[30:31], v[16:17] op_sel_hi:[0,1,1]
	v_pk_fma_f32 v[16:17], v[22:23], v[32:33], v[16:17] op_sel_hi:[0,1,1]
	v_pk_mul_f32 v[16:17], v[16:17], v[24:25]
	s_nop 0
	v_sub_f32_e32 v16, v16, v17
	v_add_f32_e32 v14, v14, v16
	s_andn2_b64 exec, exec, s[0:1]
	s_cbranch_execnz .LBB63_3
; %bb.4:
	s_or_b64 exec, exec, s[0:1]
.LBB63_5:
	s_or_b64 exec, exec, s[8:9]
	v_mbcnt_lo_u32_b32 v0, -1, 0
	v_mbcnt_hi_u32_b32 v1, -1, v0
	v_and_b32_e32 v0, 64, v1
	v_add_u32_e32 v2, 64, v0
	v_xor_b32_e32 v0, 32, v1
	v_cmp_lt_i32_e32 vcc, v0, v2
	v_xor_b32_e32 v3, 16, v1
	v_xor_b32_e32 v4, 8, v1
	v_cndmask_b32_e32 v0, v1, v0, vcc
	v_lshlrev_b32_e32 v0, 2, v0
	ds_bpermute_b32 v0, v0, v14
	v_cmp_lt_i32_e32 vcc, v3, v2
	s_waitcnt lgkmcnt(0)
	v_add_f32_e32 v0, v14, v0
	v_cndmask_b32_e32 v3, v1, v3, vcc
	v_lshlrev_b32_e32 v3, 2, v3
	ds_bpermute_b32 v3, v3, v0
	v_cmp_lt_i32_e32 vcc, v4, v2
	s_waitcnt lgkmcnt(0)
	v_add_f32_e32 v0, v0, v3
	v_cndmask_b32_e32 v3, v1, v4, vcc
	v_lshlrev_b32_e32 v3, 2, v3
	ds_bpermute_b32 v3, v3, v0
	v_xor_b32_e32 v4, 4, v1
	v_cmp_lt_i32_e32 vcc, v4, v2
	s_waitcnt lgkmcnt(0)
	v_add_f32_e32 v0, v0, v3
	v_cndmask_b32_e32 v3, v1, v4, vcc
	v_lshlrev_b32_e32 v3, 2, v3
	ds_bpermute_b32 v3, v3, v0
	v_xor_b32_e32 v4, 2, v1
	;; [unrolled: 7-line block ×3, first 2 shown]
	v_cmp_lt_i32_e32 vcc, v4, v2
	s_waitcnt lgkmcnt(0)
	v_add_f32_e32 v0, v0, v3
	v_cndmask_b32_e32 v1, v1, v4, vcc
	v_lshlrev_b32_e32 v1, 2, v1
	ds_bpermute_b32 v1, v1, v0
	v_cmp_eq_u32_e32 vcc, 0, v11
	s_and_b64 exec, exec, vcc
	s_cbranch_execz .LBB63_7
; %bb.6:
	s_mul_i32 s3, s3, s5
	s_waitcnt lgkmcnt(0)
	v_add_f32_e32 v2, v0, v1
	v_add_u32_e32 v0, s3, v10
	v_mov_b32_e32 v1, 0
	v_lshl_add_u64 v[0:1], v[0:1], 2, s[6:7]
	global_store_dword v[0:1], v2, off
.LBB63_7:
	s_endpgm
	.section	.rodata,"a",@progbits
	.p2align	6, 0x0
	.amdhsa_kernel _ZL13mul_mat_vec_qIfLi256ELi16E10block_q2_KLi1EXadL_ZL17vec_dot_q2_K_q8_1PKvPK10block_q8_1RKiEEEvS2_S2_PT_iii
		.amdhsa_group_segment_fixed_size 0
		.amdhsa_private_segment_fixed_size 0
		.amdhsa_kernarg_size 296
		.amdhsa_user_sgpr_count 2
		.amdhsa_user_sgpr_dispatch_ptr 0
		.amdhsa_user_sgpr_queue_ptr 0
		.amdhsa_user_sgpr_kernarg_segment_ptr 1
		.amdhsa_user_sgpr_dispatch_id 0
		.amdhsa_user_sgpr_kernarg_preload_length 0
		.amdhsa_user_sgpr_kernarg_preload_offset 0
		.amdhsa_user_sgpr_private_segment_size 0
		.amdhsa_uses_dynamic_stack 0
		.amdhsa_enable_private_segment 0
		.amdhsa_system_sgpr_workgroup_id_x 1
		.amdhsa_system_sgpr_workgroup_id_y 1
		.amdhsa_system_sgpr_workgroup_id_z 0
		.amdhsa_system_sgpr_workgroup_info 0
		.amdhsa_system_vgpr_workitem_id 1
		.amdhsa_next_free_vgpr 47
		.amdhsa_next_free_sgpr 18
		.amdhsa_accum_offset 48
		.amdhsa_reserve_vcc 1
		.amdhsa_float_round_mode_32 0
		.amdhsa_float_round_mode_16_64 0
		.amdhsa_float_denorm_mode_32 3
		.amdhsa_float_denorm_mode_16_64 3
		.amdhsa_dx10_clamp 1
		.amdhsa_ieee_mode 1
		.amdhsa_fp16_overflow 0
		.amdhsa_tg_split 0
		.amdhsa_exception_fp_ieee_invalid_op 0
		.amdhsa_exception_fp_denorm_src 0
		.amdhsa_exception_fp_ieee_div_zero 0
		.amdhsa_exception_fp_ieee_overflow 0
		.amdhsa_exception_fp_ieee_underflow 0
		.amdhsa_exception_fp_ieee_inexact 0
		.amdhsa_exception_int_div_zero 0
	.end_amdhsa_kernel
	.section	.text._ZL13mul_mat_vec_qIfLi256ELi16E10block_q2_KLi1EXadL_ZL17vec_dot_q2_K_q8_1PKvPK10block_q8_1RKiEEEvS2_S2_PT_iii,"axG",@progbits,_ZL13mul_mat_vec_qIfLi256ELi16E10block_q2_KLi1EXadL_ZL17vec_dot_q2_K_q8_1PKvPK10block_q8_1RKiEEEvS2_S2_PT_iii,comdat
.Lfunc_end63:
	.size	_ZL13mul_mat_vec_qIfLi256ELi16E10block_q2_KLi1EXadL_ZL17vec_dot_q2_K_q8_1PKvPK10block_q8_1RKiEEEvS2_S2_PT_iii, .Lfunc_end63-_ZL13mul_mat_vec_qIfLi256ELi16E10block_q2_KLi1EXadL_ZL17vec_dot_q2_K_q8_1PKvPK10block_q8_1RKiEEEvS2_S2_PT_iii
                                        ; -- End function
	.section	.AMDGPU.csdata,"",@progbits
; Kernel info:
; codeLenInByte = 1144
; NumSgprs: 24
; NumVgprs: 47
; NumAgprs: 0
; TotalNumVgprs: 47
; ScratchSize: 0
; MemoryBound: 0
; FloatMode: 240
; IeeeMode: 1
; LDSByteSize: 0 bytes/workgroup (compile time only)
; SGPRBlocks: 2
; VGPRBlocks: 5
; NumSGPRsForWavesPerEU: 24
; NumVGPRsForWavesPerEU: 47
; AccumOffset: 48
; Occupancy: 8
; WaveLimiterHint : 0
; COMPUTE_PGM_RSRC2:SCRATCH_EN: 0
; COMPUTE_PGM_RSRC2:USER_SGPR: 2
; COMPUTE_PGM_RSRC2:TRAP_HANDLER: 0
; COMPUTE_PGM_RSRC2:TGID_X_EN: 1
; COMPUTE_PGM_RSRC2:TGID_Y_EN: 1
; COMPUTE_PGM_RSRC2:TGID_Z_EN: 0
; COMPUTE_PGM_RSRC2:TIDIG_COMP_CNT: 1
; COMPUTE_PGM_RSRC3_GFX90A:ACCUM_OFFSET: 11
; COMPUTE_PGM_RSRC3_GFX90A:TG_SPLIT: 0
	.section	.text._ZL13mul_mat_vec_qIfLi256ELi16E10block_q3_KLi1EXadL_ZL17vec_dot_q3_K_q8_1PKvPK10block_q8_1RKiEEEvS2_S2_PT_iii,"axG",@progbits,_ZL13mul_mat_vec_qIfLi256ELi16E10block_q3_KLi1EXadL_ZL17vec_dot_q3_K_q8_1PKvPK10block_q8_1RKiEEEvS2_S2_PT_iii,comdat
	.globl	_ZL13mul_mat_vec_qIfLi256ELi16E10block_q3_KLi1EXadL_ZL17vec_dot_q3_K_q8_1PKvPK10block_q8_1RKiEEEvS2_S2_PT_iii ; -- Begin function _ZL13mul_mat_vec_qIfLi256ELi16E10block_q3_KLi1EXadL_ZL17vec_dot_q3_K_q8_1PKvPK10block_q8_1RKiEEEvS2_S2_PT_iii
	.p2align	8
	.type	_ZL13mul_mat_vec_qIfLi256ELi16E10block_q3_KLi1EXadL_ZL17vec_dot_q3_K_q8_1PKvPK10block_q8_1RKiEEEvS2_S2_PT_iii,@function
_ZL13mul_mat_vec_qIfLi256ELi16E10block_q3_KLi1EXadL_ZL17vec_dot_q3_K_q8_1PKvPK10block_q8_1RKiEEEvS2_S2_PT_iii: ; @_ZL13mul_mat_vec_qIfLi256ELi16E10block_q3_KLi1EXadL_ZL17vec_dot_q3_K_q8_1PKvPK10block_q8_1RKiEEEvS2_S2_PT_iii
; %bb.0:
	s_load_dword s8, s[0:1], 0x34
	s_load_dwordx4 s[4:7], s[0:1], 0x18
	v_bfe_u32 v1, v0, 10, 10
	s_waitcnt lgkmcnt(0)
	s_lshr_b32 s7, s8, 16
	s_mul_i32 s2, s2, s7
	v_add_u32_e32 v24, s2, v1
	s_cmp_lt_u32 s3, s6
	v_cmp_gt_u32_e32 vcc, s5, v24
	s_cselect_b64 s[6:7], -1, 0
	s_and_b64 s[6:7], s[6:7], vcc
	s_and_saveexec_b64 s[8:9], s[6:7]
	s_cbranch_execz .LBB64_7
; %bb.1:
	s_load_dwordx2 s[6:7], s[0:1], 0x10
	s_ashr_i32 s2, s4, 31
	s_lshr_b32 s2, s2, 24
	s_add_i32 s2, s4, s2
	v_and_b32_e32 v25, 0x3ff, v0
	s_ashr_i32 s2, s2, 8
	v_lshrrev_b32_e32 v26, 4, v25
	v_cmp_gt_u32_e32 vcc, s2, v26
	v_mov_b32_e32 v35, 0
	s_and_saveexec_b64 s[12:13], vcc
	s_cbranch_execz .LBB64_5
; %bb.2:
	v_and_b32_e32 v6, 15, v25
	v_cmp_lt_u32_e32 vcc, 7, v6
	v_mov_b32_e32 v1, 0
	v_mov_b32_e32 v5, v1
	v_cndmask_b32_e64 v0, 0, 1, vcc
	v_lshlrev_b32_e32 v28, 2, v0
	v_add_u32_e32 v0, -8, v6
	v_cmp_gt_u32_e32 vcc, 8, v6
	v_mov_b32_e32 v17, 7
	v_mov_b32_e32 v18, 5
	v_cndmask_b32_e32 v4, v0, v6, vcc
	v_lshlrev_b64 v[2:3], 2, v[4:5]
	v_sub_u32_e32 v5, v6, v4
	v_cmp_lt_u32_e32 vcc, 3, v4
	v_mov_b32_e32 v21, 6
	v_mov_b32_e32 v20, 2
	v_addc_co_u32_e32 v16, vcc, 0, v5, vcc
	v_add_u16_e32 v10, 2, v16
	v_lshrrev_b16_sdwa v11, v17, sext(v10) dst_sel:DWORD dst_unused:UNUSED_PAD src0_sel:DWORD src1_sel:BYTE_0
	v_lshrrev_b16_sdwa v8, v18, v11 dst_sel:DWORD dst_unused:UNUSED_PAD src0_sel:DWORD src1_sel:BYTE_0
	v_lshrrev_b16_sdwa v11, v21, v11 dst_sel:DWORD dst_unused:UNUSED_PAD src0_sel:DWORD src1_sel:BYTE_0
	v_add_u16_e32 v11, v10, v11
	v_add_u16_e32 v14, 4, v16
	v_mov_b32_e32 v22, 1
	v_ashrrev_i16_sdwa v12, v20, sext(v11) dst_sel:DWORD dst_unused:UNUSED_PAD src0_sel:DWORD src1_sel:BYTE_0
	v_lshrrev_b16_sdwa v15, v17, sext(v14) dst_sel:DWORD dst_unused:UNUSED_PAD src0_sel:DWORD src1_sel:BYTE_0
	v_lshlrev_b32_sdwa v32, v22, sext(v12) dst_sel:DWORD dst_unused:UNUSED_PAD src0_sel:DWORD src1_sel:WORD_0
	v_lshrrev_b16_sdwa v12, v18, v15 dst_sel:DWORD dst_unused:UNUSED_PAD src0_sel:DWORD src1_sel:BYTE_0
	v_lshrrev_b16_sdwa v15, v21, v15 dst_sel:DWORD dst_unused:UNUSED_PAD src0_sel:DWORD src1_sel:BYTE_0
	v_lshlrev_b32_e32 v0, 2, v6
	v_lshrrev_b16_sdwa v6, v17, sext(v16) dst_sel:DWORD dst_unused:UNUSED_PAD src0_sel:DWORD src1_sel:BYTE_0
	v_add_u16_e32 v15, v14, v15
	v_lshrrev_b16_sdwa v4, v18, v6 dst_sel:DWORD dst_unused:UNUSED_PAD src0_sel:DWORD src1_sel:BYTE_0
	v_lshrrev_b16_sdwa v6, v21, v6 dst_sel:DWORD dst_unused:UNUSED_PAD src0_sel:DWORD src1_sel:BYTE_0
	v_lshrrev_b16_sdwa v23, v20, sext(v15) dst_sel:DWORD dst_unused:UNUSED_PAD src0_sel:DWORD src1_sel:BYTE_0
	v_add_u16_e32 v4, v16, v4
	v_mov_b32_e32 v19, 3
	v_add_u16_e32 v6, v16, v6
	v_lshlrev_b32_sdwa v34, v22, v23 dst_sel:DWORD dst_unused:UNUSED_PAD src0_sel:DWORD src1_sel:BYTE_0
	v_add_u16_e32 v23, 6, v16
	s_load_dwordx4 s[8:11], s[0:1], 0x0
	s_add_i32 s0, s4, 0x1ff
	v_lshrrev_b16_sdwa v5, v19, sext(v4) dst_sel:DWORD dst_unused:UNUSED_PAD src0_sel:DWORD src1_sel:BYTE_0
	v_and_b32_e32 v4, 0xf8, v4
	v_ashrrev_i16_sdwa v7, v20, sext(v6) dst_sel:DWORD dst_unused:UNUSED_PAD src0_sel:DWORD src1_sel:BYTE_0
	v_and_b32_e32 v6, 0xfc, v6
	v_lshrrev_b16_sdwa v35, v17, sext(v23) dst_sel:DWORD dst_unused:UNUSED_PAD src0_sel:DWORD src1_sel:BYTE_0
	s_ashr_i32 s1, s0, 31
	v_sub_u16_e32 v4, v16, v4
	v_sub_u16_e32 v6, v16, v6
	v_lshrrev_b16_sdwa v16, v18, v35 dst_sel:DWORD dst_unused:UNUSED_PAD src0_sel:DWORD src1_sel:BYTE_0
	v_lshrrev_b16_sdwa v18, v21, v35 dst_sel:DWORD dst_unused:UNUSED_PAD src0_sel:DWORD src1_sel:BYTE_0
	s_lshr_b32 s1, s1, 23
	v_add_u16_e32 v8, v10, v8
	v_add_u16_e32 v12, v14, v12
	;; [unrolled: 1-line block ×4, first 2 shown]
	s_add_i32 s0, s0, s1
	v_lshrrev_b16_sdwa v9, v19, sext(v8) dst_sel:DWORD dst_unused:UNUSED_PAD src0_sel:DWORD src1_sel:BYTE_0
	v_and_b32_e32 v8, 0xf8, v8
	v_and_b32_e32 v11, 0xfc, v11
	v_lshrrev_b16_sdwa v13, v19, sext(v12) dst_sel:DWORD dst_unused:UNUSED_PAD src0_sel:DWORD src1_sel:BYTE_0
	v_and_b32_e32 v12, 0xf8, v12
	v_and_b32_e32 v15, 0xfc, v15
	v_lshrrev_b16_sdwa v17, v19, sext(v16) dst_sel:DWORD dst_unused:UNUSED_PAD src0_sel:DWORD src1_sel:BYTE_0
	v_and_b32_e32 v16, 0xf8, v16
	v_lshrrev_b16_sdwa v19, v20, sext(v18) dst_sel:DWORD dst_unused:UNUSED_PAD src0_sel:DWORD src1_sel:BYTE_0
	v_and_b32_e32 v18, 0xfc, v18
	s_ashr_i32 s0, s0, 9
	v_sub_u16_e32 v8, v10, v8
	v_sub_u16_e32 v10, v10, v11
	;; [unrolled: 1-line block ×6, first 2 shown]
	s_mul_i32 s4, s3, s0
	v_lshlrev_b32_sdwa v29, v20, v5 dst_sel:DWORD dst_unused:UNUSED_PAD src0_sel:DWORD src1_sel:BYTE_0
	v_bfe_i32 v4, v4, 0, 8
	v_lshlrev_b32_sdwa v30, v22, sext(v7) dst_sel:DWORD dst_unused:UNUSED_PAD src0_sel:DWORD src1_sel:WORD_0
	v_bfe_i32 v6, v6, 0, 8
	v_lshlrev_b32_sdwa v31, v20, v9 dst_sel:DWORD dst_unused:UNUSED_PAD src0_sel:DWORD src1_sel:BYTE_0
	v_bfe_i32 v8, v8, 0, 8
	v_bfe_i32 v10, v10, 0, 8
	v_lshlrev_b32_sdwa v33, v20, v13 dst_sel:DWORD dst_unused:UNUSED_PAD src0_sel:DWORD src1_sel:BYTE_0
	v_bfe_i32 v12, v12, 0, 8
	;; [unrolled: 3-line block ×3, first 2 shown]
	v_lshlrev_b32_sdwa v37, v22, v19 dst_sel:DWORD dst_unused:UNUSED_PAD src0_sel:DWORD src1_sel:BYTE_0
	v_bfe_i32 v18, v18, 0, 8
	s_waitcnt lgkmcnt(0)
	v_mad_u64_u32 v[20:21], s[0:1], v28, 36, s[10:11]
	v_lshlrev_b32_e32 v22, 3, v26
	v_mul_lo_u32 v27, v24, s2
	v_ashrrev_i32_e32 v5, 31, v4
	v_ashrrev_i32_e32 v7, 31, v6
	v_ashrrev_i32_e32 v9, 31, v8
	v_ashrrev_i32_e32 v11, 31, v10
	v_ashrrev_i32_e32 v13, 31, v12
	v_ashrrev_i32_e32 v15, 31, v14
	v_ashrrev_i32_e32 v17, 31, v16
	v_ashrrev_i32_e32 v19, 31, v18
	v_lshl_add_u32 v38, s4, 4, v22
	s_mov_b64 s[0:1], 0
	s_movk_i32 s4, 0x6e
	s_mov_b64 s[10:11], 0x48
	s_mov_b64 s[14:15], 0x6c
	v_mov_b32_e32 v35, v1
.LBB64_3:                               ; =>This Inner Loop Header: Depth=1
	v_add_u32_e32 v39, v27, v26
	v_mov_b64_e32 v[22:23], s[8:9]
	v_mad_i64_i32 v[22:23], s[16:17], v39, s4, v[22:23]
	v_lshl_add_u64 v[42:43], v[22:23], 0, v[2:3]
	global_load_ushort v39, v[22:23], off offset:108
	global_load_dword v46, v[42:43], off
	v_mad_i64_i32 v[42:43], s[16:17], v38, 36, v[20:21]
	v_lshl_add_u64 v[44:45], v[42:43], 0, v[2:3]
	global_load_dword v47, v[44:45], off offset:4
	global_load_dword v48, v[42:43], off
	v_lshl_add_u64 v[44:45], v[42:43], 0, 36
	v_lshl_add_u64 v[44:45], v[44:45], 0, v[2:3]
	global_load_dword v49, v[44:45], off offset:4
	global_load_dword v50, v[42:43], off offset:36
	v_lshl_add_u64 v[44:45], v[42:43], 0, s[10:11]
	v_lshl_add_u64 v[44:45], v[44:45], 0, v[2:3]
	global_load_dword v51, v[44:45], off offset:4
	global_load_dword v52, v[42:43], off offset:72
	v_lshl_add_u64 v[44:45], v[42:43], 0, s[14:15]
	v_lshl_add_u64 v[40:41], v[22:23], 0, v[0:1]
	;; [unrolled: 1-line block ×3, first 2 shown]
	global_load_dword v53, v[44:45], off offset:4
	global_load_dword v54, v[42:43], off offset:108
	v_add_u32_e32 v26, 4, v26
	global_load_dword v43, v[40:41], off offset:32
	v_lshl_add_u64 v[40:41], v[22:23], 0, v[4:5]
	global_load_ubyte v40, v[40:41], off offset:96
	v_cmp_le_u32_e32 vcc, s2, v26
	v_add_u32_e32 v38, 32, v38
	s_or_b64 s[0:1], vcc, s[0:1]
	s_waitcnt vmcnt(10)
	v_ashrrev_i32_e32 v42, v28, v46
	v_not_b32_e32 v42, v42
	v_lshlrev_b32_e32 v45, 2, v42
	v_and_b32_e32 v45, 0x4040404, v45
	s_waitcnt vmcnt(0)
	v_bfe_u32 v44, v40, v29, 4
	v_lshl_add_u64 v[40:41], v[22:23], 0, v[6:7]
	global_load_ubyte v40, v[40:41], off offset:104
	v_and_b32_e32 v41, 0x3030303, v43
	v_sub_u16_e32 v46, v41, v45
	v_sub_u16_sdwa v55, v41, v45 dst_sel:BYTE_1 dst_unused:UNUSED_PAD src0_sel:BYTE_1 src1_sel:BYTE_1
	v_sub_u16_sdwa v41, v41, v45 dst_sel:DWORD dst_unused:UNUSED_PAD src0_sel:WORD_1 src1_sel:WORD_1
	v_or_b32_sdwa v46, v46, v55 dst_sel:DWORD dst_unused:UNUSED_PAD src0_sel:BYTE_0 src1_sel:DWORD
	s_waitcnt vmcnt(0)
	v_lshrrev_b32_e32 v40, v30, v40
	v_lshlrev_b32_e32 v40, 4, v40
	v_and_or_b32 v40, v40, 48, v44
	v_bfe_u32 v44, v43, 24, 2
	v_sub_u16_sdwa v44, v44, v45 dst_sel:BYTE_1 dst_unused:UNUSED_PAD src0_sel:DWORD src1_sel:BYTE_3
	v_subrev_u32_e32 v40, 32, v40
	v_or_b32_sdwa v41, v41, v44 dst_sel:WORD_1 dst_unused:UNUSED_PAD src0_sel:BYTE_0 src1_sel:DWORD
	v_mov_b32_e32 v44, 0
	v_or_b32_sdwa v41, v46, v41 dst_sel:DWORD dst_unused:UNUSED_PAD src0_sel:WORD_0 src1_sel:DWORD
	v_dot4c_i32_i8_e32 v44, v41, v47
	v_lshlrev_b32_e32 v46, 1, v42
	v_and_b32_e32 v46, 0x4040404, v46
	s_nop 0
	v_mul_lo_u32 v40, v40, v44
	v_cvt_f32_i32_e32 v40, v40
	v_fma_mix_f32 v44, v48, v40, 0 op_sel_hi:[1,0,0]
	v_lshl_add_u64 v[40:41], v[22:23], 0, v[8:9]
	global_load_ubyte v40, v[40:41], off offset:96
	s_waitcnt vmcnt(0)
	v_bfe_u32 v45, v40, v31, 4
	v_lshl_add_u64 v[40:41], v[22:23], 0, v[10:11]
	global_load_ubyte v40, v[40:41], off offset:104
	v_lshrrev_b32_e32 v41, 2, v43
	s_waitcnt vmcnt(0)
	v_lshrrev_b32_e32 v40, v32, v40
	v_lshlrev_b32_e32 v40, 4, v40
	v_and_or_b32 v40, v40, 48, v45
	v_and_b32_e32 v45, 0x3030303, v41
	v_bfe_u32 v41, v41, 24, 2
	v_sub_u16_e32 v47, v45, v46
	v_sub_u16_sdwa v48, v45, v46 dst_sel:BYTE_1 dst_unused:UNUSED_PAD src0_sel:BYTE_1 src1_sel:BYTE_1
	v_sub_u16_sdwa v41, v41, v46 dst_sel:BYTE_1 dst_unused:UNUSED_PAD src0_sel:DWORD src1_sel:BYTE_3
	v_sub_u16_sdwa v45, v45, v46 dst_sel:DWORD dst_unused:UNUSED_PAD src0_sel:WORD_1 src1_sel:WORD_1
	v_or_b32_sdwa v47, v47, v48 dst_sel:DWORD dst_unused:UNUSED_PAD src0_sel:BYTE_0 src1_sel:DWORD
	v_or_b32_sdwa v41, v45, v41 dst_sel:WORD_1 dst_unused:UNUSED_PAD src0_sel:BYTE_0 src1_sel:DWORD
	v_mov_b32_e32 v45, 0
	v_or_b32_sdwa v41, v47, v41 dst_sel:DWORD dst_unused:UNUSED_PAD src0_sel:WORD_0 src1_sel:DWORD
	v_subrev_u32_e32 v40, 32, v40
	v_dot4c_i32_i8_e32 v45, v41, v49
	v_and_b32_e32 v46, 0x4040404, v42
	s_nop 1
	v_mul_lo_u32 v40, v40, v45
	v_cvt_f32_i32_e32 v40, v40
	v_fma_mix_f32 v44, v50, v40, v44 op_sel_hi:[1,0,0]
	v_lshl_add_u64 v[40:41], v[22:23], 0, v[12:13]
	global_load_ubyte v40, v[40:41], off offset:96
	s_waitcnt vmcnt(0)
	v_bfe_u32 v45, v40, v33, 4
	v_lshl_add_u64 v[40:41], v[22:23], 0, v[14:15]
	global_load_ubyte v40, v[40:41], off offset:104
	v_lshrrev_b32_e32 v41, 4, v43
	s_waitcnt vmcnt(0)
	v_lshrrev_b32_e32 v40, v34, v40
	v_lshlrev_b32_e32 v40, 4, v40
	v_and_or_b32 v40, v40, 48, v45
	v_and_b32_e32 v45, 0x3030303, v41
	v_bfe_u32 v41, v41, 24, 2
	v_sub_u16_e32 v47, v45, v46
	v_sub_u16_sdwa v48, v45, v46 dst_sel:BYTE_1 dst_unused:UNUSED_PAD src0_sel:BYTE_1 src1_sel:BYTE_1
	v_sub_u16_sdwa v41, v41, v46 dst_sel:BYTE_1 dst_unused:UNUSED_PAD src0_sel:DWORD src1_sel:BYTE_3
	v_sub_u16_sdwa v45, v45, v46 dst_sel:DWORD dst_unused:UNUSED_PAD src0_sel:WORD_1 src1_sel:WORD_1
	v_or_b32_sdwa v47, v47, v48 dst_sel:DWORD dst_unused:UNUSED_PAD src0_sel:BYTE_0 src1_sel:DWORD
	v_or_b32_sdwa v41, v45, v41 dst_sel:WORD_1 dst_unused:UNUSED_PAD src0_sel:BYTE_0 src1_sel:DWORD
	v_mov_b32_e32 v45, 0
	v_or_b32_sdwa v41, v47, v41 dst_sel:DWORD dst_unused:UNUSED_PAD src0_sel:WORD_0 src1_sel:DWORD
	v_subrev_u32_e32 v40, 32, v40
	v_dot4c_i32_i8_e32 v45, v41, v51
	s_nop 2
	v_mul_lo_u32 v40, v40, v45
	v_cvt_f32_i32_e32 v40, v40
	v_fma_mix_f32 v44, v52, v40, v44 op_sel_hi:[1,0,0]
	v_lshl_add_u64 v[40:41], v[22:23], 0, v[16:17]
	v_lshl_add_u64 v[22:23], v[22:23], 0, v[18:19]
	global_load_ubyte v40, v[40:41], off offset:96
	s_nop 0
	global_load_ubyte v22, v[22:23], off offset:104
	v_lshrrev_b32_e32 v23, 6, v43
	v_lshrrev_b32_e32 v41, 1, v42
	v_and_b32_e32 v23, 0x3030303, v23
	v_and_b32_e32 v41, 0x4040404, v41
	v_sub_u16_e32 v42, v23, v41
	s_waitcnt vmcnt(1)
	v_bfe_u32 v40, v40, v36, 4
	s_waitcnt vmcnt(0)
	v_lshrrev_b32_e32 v22, v37, v22
	v_lshlrev_b32_e32 v22, 4, v22
	v_and_or_b32 v22, v22, 48, v40
	v_lshrrev_b32_e32 v40, 30, v43
	v_sub_u16_sdwa v43, v23, v41 dst_sel:BYTE_1 dst_unused:UNUSED_PAD src0_sel:BYTE_1 src1_sel:BYTE_1
	v_sub_u16_sdwa v40, v40, v41 dst_sel:BYTE_1 dst_unused:UNUSED_PAD src0_sel:DWORD src1_sel:BYTE_3
	v_sub_u16_sdwa v23, v23, v41 dst_sel:DWORD dst_unused:UNUSED_PAD src0_sel:WORD_1 src1_sel:WORD_1
	v_or_b32_sdwa v42, v42, v43 dst_sel:DWORD dst_unused:UNUSED_PAD src0_sel:BYTE_0 src1_sel:DWORD
	v_or_b32_sdwa v23, v23, v40 dst_sel:WORD_1 dst_unused:UNUSED_PAD src0_sel:BYTE_0 src1_sel:DWORD
	v_mov_b32_e32 v40, 0
	v_or_b32_sdwa v23, v42, v23 dst_sel:DWORD dst_unused:UNUSED_PAD src0_sel:WORD_0 src1_sel:DWORD
	v_subrev_u32_e32 v22, 32, v22
	v_dot4c_i32_i8_e32 v40, v23, v53
	s_nop 2
	v_mul_lo_u32 v22, v22, v40
	v_cvt_f32_i32_e32 v22, v22
	v_fma_mix_f32 v22, v54, v22, v44 op_sel_hi:[1,0,0]
	s_nop 0
	v_fma_mix_f32 v35, v22, v39, v35 op_sel_hi:[0,1,0]
	s_andn2_b64 exec, exec, s[0:1]
	s_cbranch_execnz .LBB64_3
; %bb.4:
	s_or_b64 exec, exec, s[0:1]
.LBB64_5:
	s_or_b64 exec, exec, s[12:13]
	v_mbcnt_lo_u32_b32 v0, -1, 0
	v_mbcnt_hi_u32_b32 v1, -1, v0
	v_and_b32_e32 v0, 64, v1
	v_add_u32_e32 v2, 64, v0
	v_xor_b32_e32 v0, 32, v1
	v_cmp_lt_i32_e32 vcc, v0, v2
	v_xor_b32_e32 v3, 16, v1
	v_xor_b32_e32 v4, 8, v1
	v_cndmask_b32_e32 v0, v1, v0, vcc
	v_lshlrev_b32_e32 v0, 2, v0
	ds_bpermute_b32 v0, v0, v35
	v_cmp_lt_i32_e32 vcc, v3, v2
	s_waitcnt lgkmcnt(0)
	v_add_f32_e32 v0, v35, v0
	v_cndmask_b32_e32 v3, v1, v3, vcc
	v_lshlrev_b32_e32 v3, 2, v3
	ds_bpermute_b32 v3, v3, v0
	v_cmp_lt_i32_e32 vcc, v4, v2
	s_waitcnt lgkmcnt(0)
	v_add_f32_e32 v0, v0, v3
	v_cndmask_b32_e32 v3, v1, v4, vcc
	v_lshlrev_b32_e32 v3, 2, v3
	ds_bpermute_b32 v3, v3, v0
	v_xor_b32_e32 v4, 4, v1
	v_cmp_lt_i32_e32 vcc, v4, v2
	s_waitcnt lgkmcnt(0)
	v_add_f32_e32 v0, v0, v3
	v_cndmask_b32_e32 v3, v1, v4, vcc
	v_lshlrev_b32_e32 v3, 2, v3
	ds_bpermute_b32 v3, v3, v0
	v_xor_b32_e32 v4, 2, v1
	;; [unrolled: 7-line block ×3, first 2 shown]
	v_cmp_lt_i32_e32 vcc, v4, v2
	s_waitcnt lgkmcnt(0)
	v_add_f32_e32 v0, v0, v3
	v_cndmask_b32_e32 v1, v1, v4, vcc
	v_lshlrev_b32_e32 v1, 2, v1
	ds_bpermute_b32 v1, v1, v0
	v_cmp_eq_u32_e32 vcc, 0, v25
	s_and_b64 exec, exec, vcc
	s_cbranch_execz .LBB64_7
; %bb.6:
	s_mul_i32 s3, s3, s5
	s_waitcnt lgkmcnt(0)
	v_add_f32_e32 v2, v0, v1
	v_add_u32_e32 v0, s3, v24
	v_mov_b32_e32 v1, 0
	v_lshl_add_u64 v[0:1], v[0:1], 2, s[6:7]
	global_store_dword v[0:1], v2, off
.LBB64_7:
	s_endpgm
	.section	.rodata,"a",@progbits
	.p2align	6, 0x0
	.amdhsa_kernel _ZL13mul_mat_vec_qIfLi256ELi16E10block_q3_KLi1EXadL_ZL17vec_dot_q3_K_q8_1PKvPK10block_q8_1RKiEEEvS2_S2_PT_iii
		.amdhsa_group_segment_fixed_size 0
		.amdhsa_private_segment_fixed_size 0
		.amdhsa_kernarg_size 296
		.amdhsa_user_sgpr_count 2
		.amdhsa_user_sgpr_dispatch_ptr 0
		.amdhsa_user_sgpr_queue_ptr 0
		.amdhsa_user_sgpr_kernarg_segment_ptr 1
		.amdhsa_user_sgpr_dispatch_id 0
		.amdhsa_user_sgpr_kernarg_preload_length 0
		.amdhsa_user_sgpr_kernarg_preload_offset 0
		.amdhsa_user_sgpr_private_segment_size 0
		.amdhsa_uses_dynamic_stack 0
		.amdhsa_enable_private_segment 0
		.amdhsa_system_sgpr_workgroup_id_x 1
		.amdhsa_system_sgpr_workgroup_id_y 1
		.amdhsa_system_sgpr_workgroup_id_z 0
		.amdhsa_system_sgpr_workgroup_info 0
		.amdhsa_system_vgpr_workitem_id 1
		.amdhsa_next_free_vgpr 56
		.amdhsa_next_free_sgpr 18
		.amdhsa_accum_offset 56
		.amdhsa_reserve_vcc 1
		.amdhsa_float_round_mode_32 0
		.amdhsa_float_round_mode_16_64 0
		.amdhsa_float_denorm_mode_32 3
		.amdhsa_float_denorm_mode_16_64 3
		.amdhsa_dx10_clamp 1
		.amdhsa_ieee_mode 1
		.amdhsa_fp16_overflow 0
		.amdhsa_tg_split 0
		.amdhsa_exception_fp_ieee_invalid_op 0
		.amdhsa_exception_fp_denorm_src 0
		.amdhsa_exception_fp_ieee_div_zero 0
		.amdhsa_exception_fp_ieee_overflow 0
		.amdhsa_exception_fp_ieee_underflow 0
		.amdhsa_exception_fp_ieee_inexact 0
		.amdhsa_exception_int_div_zero 0
	.end_amdhsa_kernel
	.section	.text._ZL13mul_mat_vec_qIfLi256ELi16E10block_q3_KLi1EXadL_ZL17vec_dot_q3_K_q8_1PKvPK10block_q8_1RKiEEEvS2_S2_PT_iii,"axG",@progbits,_ZL13mul_mat_vec_qIfLi256ELi16E10block_q3_KLi1EXadL_ZL17vec_dot_q3_K_q8_1PKvPK10block_q8_1RKiEEEvS2_S2_PT_iii,comdat
.Lfunc_end64:
	.size	_ZL13mul_mat_vec_qIfLi256ELi16E10block_q3_KLi1EXadL_ZL17vec_dot_q3_K_q8_1PKvPK10block_q8_1RKiEEEvS2_S2_PT_iii, .Lfunc_end64-_ZL13mul_mat_vec_qIfLi256ELi16E10block_q3_KLi1EXadL_ZL17vec_dot_q3_K_q8_1PKvPK10block_q8_1RKiEEEvS2_S2_PT_iii
                                        ; -- End function
	.section	.AMDGPU.csdata,"",@progbits
; Kernel info:
; codeLenInByte = 1988
; NumSgprs: 24
; NumVgprs: 56
; NumAgprs: 0
; TotalNumVgprs: 56
; ScratchSize: 0
; MemoryBound: 0
; FloatMode: 240
; IeeeMode: 1
; LDSByteSize: 0 bytes/workgroup (compile time only)
; SGPRBlocks: 2
; VGPRBlocks: 6
; NumSGPRsForWavesPerEU: 24
; NumVGPRsForWavesPerEU: 56
; AccumOffset: 56
; Occupancy: 8
; WaveLimiterHint : 0
; COMPUTE_PGM_RSRC2:SCRATCH_EN: 0
; COMPUTE_PGM_RSRC2:USER_SGPR: 2
; COMPUTE_PGM_RSRC2:TRAP_HANDLER: 0
; COMPUTE_PGM_RSRC2:TGID_X_EN: 1
; COMPUTE_PGM_RSRC2:TGID_Y_EN: 1
; COMPUTE_PGM_RSRC2:TGID_Z_EN: 0
; COMPUTE_PGM_RSRC2:TIDIG_COMP_CNT: 1
; COMPUTE_PGM_RSRC3_GFX90A:ACCUM_OFFSET: 13
; COMPUTE_PGM_RSRC3_GFX90A:TG_SPLIT: 0
	.section	.text._ZL13mul_mat_vec_qIfLi256ELi32E10block_q4_KLi2EXadL_ZL17vec_dot_q4_K_q8_1PKvPK10block_q8_1RKiEEEvS2_S2_PT_iii,"axG",@progbits,_ZL13mul_mat_vec_qIfLi256ELi32E10block_q4_KLi2EXadL_ZL17vec_dot_q4_K_q8_1PKvPK10block_q8_1RKiEEEvS2_S2_PT_iii,comdat
	.globl	_ZL13mul_mat_vec_qIfLi256ELi32E10block_q4_KLi2EXadL_ZL17vec_dot_q4_K_q8_1PKvPK10block_q8_1RKiEEEvS2_S2_PT_iii ; -- Begin function _ZL13mul_mat_vec_qIfLi256ELi32E10block_q4_KLi2EXadL_ZL17vec_dot_q4_K_q8_1PKvPK10block_q8_1RKiEEEvS2_S2_PT_iii
	.p2align	8
	.type	_ZL13mul_mat_vec_qIfLi256ELi32E10block_q4_KLi2EXadL_ZL17vec_dot_q4_K_q8_1PKvPK10block_q8_1RKiEEEvS2_S2_PT_iii,@function
_ZL13mul_mat_vec_qIfLi256ELi32E10block_q4_KLi2EXadL_ZL17vec_dot_q4_K_q8_1PKvPK10block_q8_1RKiEEEvS2_S2_PT_iii: ; @_ZL13mul_mat_vec_qIfLi256ELi32E10block_q4_KLi2EXadL_ZL17vec_dot_q4_K_q8_1PKvPK10block_q8_1RKiEEEvS2_S2_PT_iii
; %bb.0:
	s_load_dword s8, s[0:1], 0x34
	s_load_dwordx4 s[4:7], s[0:1], 0x18
	v_bfe_u32 v1, v0, 10, 10
	s_waitcnt lgkmcnt(0)
	s_lshr_b32 s7, s8, 16
	s_mul_i32 s2, s2, s7
	v_add_u32_e32 v16, s2, v1
	s_cmp_lt_u32 s3, s6
	v_cmp_gt_u32_e32 vcc, s5, v16
	s_cselect_b64 s[6:7], -1, 0
	s_and_b64 s[6:7], s[6:7], vcc
	s_and_saveexec_b64 s[8:9], s[6:7]
	s_cbranch_execz .LBB65_11
; %bb.1:
	s_load_dwordx2 s[6:7], s[0:1], 0x10
	s_ashr_i32 s2, s4, 31
	s_lshr_b32 s2, s2, 24
	s_add_i32 s2, s4, s2
	v_and_b32_e32 v17, 0x3ff, v0
	s_ashr_i32 s2, s2, 8
	v_lshrrev_b32_e32 v18, 4, v17
	v_cmp_gt_u32_e32 vcc, s2, v18
	v_mov_b32_e32 v20, 0
	s_and_saveexec_b64 s[8:9], vcc
	s_cbranch_execz .LBB65_9
; %bb.2:
	s_load_dwordx4 s[12:15], s[0:1], 0x0
	s_add_i32 s0, s4, 0x1ff
	s_ashr_i32 s1, s0, 31
	s_lshr_b32 s1, s1, 23
	s_add_i32 s0, s0, s1
	v_lshlrev_b32_e32 v0, 1, v17
	s_ashr_i32 s0, s0, 9
	v_and_b32_e32 v4, 30, v0
	v_bfe_u32 v8, v0, 3, 2
	s_mul_i32 s4, s3, s0
	v_mov_b32_e32 v1, 0
	v_and_b32_e32 v10, 3, v17
	v_cmp_lt_u32_e32 vcc, 15, v4
	v_lshlrev_b32_e32 v4, 1, v8
	v_lshlrev_b32_e32 v6, 3, v18
	v_mul_lo_u32 v19, v16, s2
	v_lshlrev_b32_e32 v0, 5, v8
	v_lshlrev_b32_e32 v2, 2, v10
	v_mov_b32_e32 v3, v1
	s_waitcnt lgkmcnt(0)
	v_mad_u64_u32 v[4:5], s[0:1], v4, 36, s[14:15]
	v_lshl_add_u32 v21, s4, 4, v6
	s_mov_b64 s[10:11], 0
	s_movk_i32 s4, 0x90
	v_mov_b64_e32 v[6:7], s[12:13]
	v_lshlrev_b32_e32 v8, 1, v8
	v_mov_b32_e32 v9, v1
	s_mov_b32 s12, 0x5040100
	s_mov_b32 s13, 0x30303030
	v_lshlrev_b32_e32 v10, 2, v10
	v_mov_b32_e32 v11, v1
	v_mov_b32_e32 v20, v1
	s_branch .LBB65_4
.LBB65_3:                               ;   in Loop: Header=BB65_4 Depth=1
	s_or_b64 exec, exec, s[0:1]
	v_mad_i64_i32 v[14:15], s[0:1], v21, 36, v[4:5]
	global_load_dword v25, v[14:15], off
	v_lshl_add_u64 v[26:27], v[14:15], 0, v[10:11]
	global_load_dword v28, v[12:13], off
	global_load_dword v29, v[26:27], off offset:20
	global_load_dword v30, v[26:27], off offset:40
	;; [unrolled: 1-line block ×5, first 2 shown]
	s_waitcnt vmcnt(8)
	v_and_b32_e32 v15, 0xf0f0f0f, v23
	v_mov_b32_e32 v27, 0
	v_mov_b32_e32 v34, 0
	v_lshrrev_b32_e32 v14, 4, v23
	v_pk_lshrrev_b16 v12, 8, v24 op_sel_hi:[0,1]
	s_waitcnt vmcnt(7)
	v_and_b32_e32 v26, 0xf0f0f0f, v22
	v_and_b32_e32 v13, 0xff00ff, v24
	v_lshrrev_b32_e32 v22, 4, v22
	v_mov_b32_e32 v23, 0
	v_mov_b32_e32 v24, 0
	v_and_b32_e32 v35, 0xf0f0f0f, v14
	v_and_b32_e32 v36, 0xf0f0f0f, v22
	v_lshrrev_b32_e32 v38, 16, v13
	v_and_b32_e32 v39, 0xff, v13
	v_lshrrev_b32_e32 v37, 16, v12
	v_and_b32_e32 v12, 0xff, v12
	v_add_u32_e32 v18, 4, v18
	v_cmp_le_u32_e64 s[0:1], s2, v18
	s_or_b64 s[10:11], s[0:1], s[10:11]
	v_add_u32_e32 v21, 32, v21
	s_waitcnt vmcnt(5)
	v_cvt_f32_f16_sdwa v13, v28 dst_sel:DWORD dst_unused:UNUSED_PAD src0_sel:WORD_1
	s_waitcnt vmcnt(3)
	v_dot4c_i32_i8_e32 v23, v35, v30
	v_dot4c_i32_i8_e32 v24, 0x1010101, v30
	v_cvt_f32_f16_e32 v14, v25
	s_waitcnt vmcnt(0)
	v_dot4c_i32_i8_e32 v27, v15, v33
	v_dot4c_i32_i8_e32 v34, 0x1010101, v33
	;; [unrolled: 1-line block ×6, first 2 shown]
	v_mul_lo_u32 v15, v27, v39
	v_mul_lo_u32 v25, v34, v38
	v_mul_lo_u32 v12, v23, v12
	v_mul_lo_u32 v23, v24, v37
	v_cvt_f32_i32_e32 v25, v25
	v_cvt_f32_i32_e32 v24, v15
	v_cvt_f32_f16_e32 v22, v32
	v_cvt_f32_i32_e32 v27, v23
	v_cvt_f32_i32_e32 v26, v12
	v_cvt_f32_f16_e32 v12, v28
	v_pk_fma_f32 v[14:15], v[14:15], v[24:25], 0 op_sel_hi:[0,1,0]
	v_pk_fma_f32 v[14:15], v[22:23], v[26:27], v[14:15] op_sel_hi:[0,1,1]
	v_pk_mul_f32 v[12:13], v[14:15], v[12:13]
	s_nop 0
	v_sub_f32_e32 v12, v12, v13
	v_add_f32_e32 v20, v20, v12
	s_andn2_b64 exec, exec, s[10:11]
	s_cbranch_execz .LBB65_8
.LBB65_4:                               ; =>This Inner Loop Header: Depth=1
	v_add_u32_e32 v12, v19, v18
	v_mad_i64_i32 v[12:13], s[0:1], v12, s4, v[6:7]
	v_lshl_add_u64 v[14:15], v[12:13], 0, v[0:1]
	v_lshl_add_u64 v[14:15], v[14:15], 0, v[2:3]
	global_load_dword v23, v[14:15], off offset:16
	global_load_dword v22, v[14:15], off offset:32
	v_lshl_add_u64 v[14:15], v[12:13], 0, v[8:9]
                                        ; implicit-def: $vgpr24
	s_and_saveexec_b64 s[0:1], vcc
	s_xor_b64 s[0:1], exec, s[0:1]
	s_cbranch_execz .LBB65_6
; %bb.5:                                ;   in Loop: Header=BB65_4 Depth=1
	global_load_ushort v24, v[14:15], off
	global_load_ushort v25, v[14:15], off offset:8
	global_load_ushort v26, v[14:15], off offset:4
	s_waitcnt vmcnt(1)
	v_lshrrev_b16_e32 v14, 4, v25
	s_waitcnt vmcnt(0)
	v_perm_b32 v15, v26, v24, s12
	v_perm_b32 v14, v14, v25, s12
	v_and_b32_e32 v14, 0xf0f0f0f, v14
	v_pk_lshrrev_b16 v15, 2, v15 op_sel_hi:[0,1]
	v_and_or_b32 v24, v15, s13, v14
                                        ; implicit-def: $vgpr14_vgpr15
.LBB65_6:                               ;   in Loop: Header=BB65_4 Depth=1
	s_andn2_saveexec_b64 s[0:1], s[0:1]
	s_cbranch_execz .LBB65_3
; %bb.7:                                ;   in Loop: Header=BB65_4 Depth=1
	global_load_ushort v24, v[14:15], off offset:4
	global_load_ushort v25, v[14:15], off offset:8
	s_waitcnt vmcnt(0)
	v_perm_b32 v14, v25, v24, s12
	v_and_b32_e32 v24, 0x3f3f3f3f, v14
	s_branch .LBB65_3
.LBB65_8:
	s_or_b64 exec, exec, s[10:11]
.LBB65_9:
	s_or_b64 exec, exec, s[8:9]
	v_mbcnt_lo_u32_b32 v0, -1, 0
	v_mbcnt_hi_u32_b32 v1, -1, v0
	v_and_b32_e32 v0, 64, v1
	v_add_u32_e32 v2, 64, v0
	v_xor_b32_e32 v0, 32, v1
	v_cmp_lt_i32_e32 vcc, v0, v2
	v_xor_b32_e32 v3, 16, v1
	v_xor_b32_e32 v4, 8, v1
	v_cndmask_b32_e32 v0, v1, v0, vcc
	v_lshlrev_b32_e32 v0, 2, v0
	ds_bpermute_b32 v0, v0, v20
	v_cmp_lt_i32_e32 vcc, v3, v2
	s_waitcnt lgkmcnt(0)
	v_add_f32_e32 v0, v20, v0
	v_cndmask_b32_e32 v3, v1, v3, vcc
	v_lshlrev_b32_e32 v3, 2, v3
	ds_bpermute_b32 v3, v3, v0
	v_cmp_lt_i32_e32 vcc, v4, v2
	s_waitcnt lgkmcnt(0)
	v_add_f32_e32 v0, v0, v3
	v_cndmask_b32_e32 v3, v1, v4, vcc
	v_lshlrev_b32_e32 v3, 2, v3
	ds_bpermute_b32 v3, v3, v0
	v_xor_b32_e32 v4, 4, v1
	v_cmp_lt_i32_e32 vcc, v4, v2
	s_waitcnt lgkmcnt(0)
	v_add_f32_e32 v0, v0, v3
	v_cndmask_b32_e32 v3, v1, v4, vcc
	v_lshlrev_b32_e32 v3, 2, v3
	ds_bpermute_b32 v3, v3, v0
	v_xor_b32_e32 v4, 2, v1
	;; [unrolled: 7-line block ×3, first 2 shown]
	v_cmp_lt_i32_e32 vcc, v4, v2
	s_waitcnt lgkmcnt(0)
	v_add_f32_e32 v0, v0, v3
	v_cndmask_b32_e32 v1, v1, v4, vcc
	v_lshlrev_b32_e32 v1, 2, v1
	ds_bpermute_b32 v1, v1, v0
	v_cmp_eq_u32_e32 vcc, 0, v17
	s_and_b64 exec, exec, vcc
	s_cbranch_execz .LBB65_11
; %bb.10:
	s_mul_i32 s3, s3, s5
	s_waitcnt lgkmcnt(0)
	v_add_f32_e32 v2, v0, v1
	v_add_u32_e32 v0, s3, v16
	v_mov_b32_e32 v1, 0
	v_lshl_add_u64 v[0:1], v[0:1], 2, s[6:7]
	global_store_dword v[0:1], v2, off
.LBB65_11:
	s_endpgm
	.section	.rodata,"a",@progbits
	.p2align	6, 0x0
	.amdhsa_kernel _ZL13mul_mat_vec_qIfLi256ELi32E10block_q4_KLi2EXadL_ZL17vec_dot_q4_K_q8_1PKvPK10block_q8_1RKiEEEvS2_S2_PT_iii
		.amdhsa_group_segment_fixed_size 0
		.amdhsa_private_segment_fixed_size 0
		.amdhsa_kernarg_size 296
		.amdhsa_user_sgpr_count 2
		.amdhsa_user_sgpr_dispatch_ptr 0
		.amdhsa_user_sgpr_queue_ptr 0
		.amdhsa_user_sgpr_kernarg_segment_ptr 1
		.amdhsa_user_sgpr_dispatch_id 0
		.amdhsa_user_sgpr_kernarg_preload_length 0
		.amdhsa_user_sgpr_kernarg_preload_offset 0
		.amdhsa_user_sgpr_private_segment_size 0
		.amdhsa_uses_dynamic_stack 0
		.amdhsa_enable_private_segment 0
		.amdhsa_system_sgpr_workgroup_id_x 1
		.amdhsa_system_sgpr_workgroup_id_y 1
		.amdhsa_system_sgpr_workgroup_id_z 0
		.amdhsa_system_sgpr_workgroup_info 0
		.amdhsa_system_vgpr_workitem_id 1
		.amdhsa_next_free_vgpr 40
		.amdhsa_next_free_sgpr 16
		.amdhsa_accum_offset 40
		.amdhsa_reserve_vcc 1
		.amdhsa_float_round_mode_32 0
		.amdhsa_float_round_mode_16_64 0
		.amdhsa_float_denorm_mode_32 3
		.amdhsa_float_denorm_mode_16_64 3
		.amdhsa_dx10_clamp 1
		.amdhsa_ieee_mode 1
		.amdhsa_fp16_overflow 0
		.amdhsa_tg_split 0
		.amdhsa_exception_fp_ieee_invalid_op 0
		.amdhsa_exception_fp_denorm_src 0
		.amdhsa_exception_fp_ieee_div_zero 0
		.amdhsa_exception_fp_ieee_overflow 0
		.amdhsa_exception_fp_ieee_underflow 0
		.amdhsa_exception_fp_ieee_inexact 0
		.amdhsa_exception_int_div_zero 0
	.end_amdhsa_kernel
	.section	.text._ZL13mul_mat_vec_qIfLi256ELi32E10block_q4_KLi2EXadL_ZL17vec_dot_q4_K_q8_1PKvPK10block_q8_1RKiEEEvS2_S2_PT_iii,"axG",@progbits,_ZL13mul_mat_vec_qIfLi256ELi32E10block_q4_KLi2EXadL_ZL17vec_dot_q4_K_q8_1PKvPK10block_q8_1RKiEEEvS2_S2_PT_iii,comdat
.Lfunc_end65:
	.size	_ZL13mul_mat_vec_qIfLi256ELi32E10block_q4_KLi2EXadL_ZL17vec_dot_q4_K_q8_1PKvPK10block_q8_1RKiEEEvS2_S2_PT_iii, .Lfunc_end65-_ZL13mul_mat_vec_qIfLi256ELi32E10block_q4_KLi2EXadL_ZL17vec_dot_q4_K_q8_1PKvPK10block_q8_1RKiEEEvS2_S2_PT_iii
                                        ; -- End function
	.section	.AMDGPU.csdata,"",@progbits
; Kernel info:
; codeLenInByte = 1108
; NumSgprs: 22
; NumVgprs: 40
; NumAgprs: 0
; TotalNumVgprs: 40
; ScratchSize: 0
; MemoryBound: 0
; FloatMode: 240
; IeeeMode: 1
; LDSByteSize: 0 bytes/workgroup (compile time only)
; SGPRBlocks: 2
; VGPRBlocks: 4
; NumSGPRsForWavesPerEU: 22
; NumVGPRsForWavesPerEU: 40
; AccumOffset: 40
; Occupancy: 8
; WaveLimiterHint : 0
; COMPUTE_PGM_RSRC2:SCRATCH_EN: 0
; COMPUTE_PGM_RSRC2:USER_SGPR: 2
; COMPUTE_PGM_RSRC2:TRAP_HANDLER: 0
; COMPUTE_PGM_RSRC2:TGID_X_EN: 1
; COMPUTE_PGM_RSRC2:TGID_Y_EN: 1
; COMPUTE_PGM_RSRC2:TGID_Z_EN: 0
; COMPUTE_PGM_RSRC2:TIDIG_COMP_CNT: 1
; COMPUTE_PGM_RSRC3_GFX90A:ACCUM_OFFSET: 9
; COMPUTE_PGM_RSRC3_GFX90A:TG_SPLIT: 0
	.section	.text._ZL13mul_mat_vec_qIfLi256ELi32E10block_q5_KLi2EXadL_ZL17vec_dot_q5_K_q8_1PKvPK10block_q8_1RKiEEEvS2_S2_PT_iii,"axG",@progbits,_ZL13mul_mat_vec_qIfLi256ELi32E10block_q5_KLi2EXadL_ZL17vec_dot_q5_K_q8_1PKvPK10block_q8_1RKiEEEvS2_S2_PT_iii,comdat
	.globl	_ZL13mul_mat_vec_qIfLi256ELi32E10block_q5_KLi2EXadL_ZL17vec_dot_q5_K_q8_1PKvPK10block_q8_1RKiEEEvS2_S2_PT_iii ; -- Begin function _ZL13mul_mat_vec_qIfLi256ELi32E10block_q5_KLi2EXadL_ZL17vec_dot_q5_K_q8_1PKvPK10block_q8_1RKiEEEvS2_S2_PT_iii
	.p2align	8
	.type	_ZL13mul_mat_vec_qIfLi256ELi32E10block_q5_KLi2EXadL_ZL17vec_dot_q5_K_q8_1PKvPK10block_q8_1RKiEEEvS2_S2_PT_iii,@function
_ZL13mul_mat_vec_qIfLi256ELi32E10block_q5_KLi2EXadL_ZL17vec_dot_q5_K_q8_1PKvPK10block_q8_1RKiEEEvS2_S2_PT_iii: ; @_ZL13mul_mat_vec_qIfLi256ELi32E10block_q5_KLi2EXadL_ZL17vec_dot_q5_K_q8_1PKvPK10block_q8_1RKiEEEvS2_S2_PT_iii
; %bb.0:
	s_load_dword s8, s[0:1], 0x34
	s_load_dwordx4 s[4:7], s[0:1], 0x18
	v_bfe_u32 v1, v0, 10, 10
	s_waitcnt lgkmcnt(0)
	s_lshr_b32 s7, s8, 16
	s_mul_i32 s2, s2, s7
	v_add_u32_e32 v16, s2, v1
	s_cmp_lt_u32 s3, s6
	v_cmp_gt_u32_e32 vcc, s5, v16
	s_cselect_b64 s[6:7], -1, 0
	s_and_b64 s[6:7], s[6:7], vcc
	s_and_saveexec_b64 s[8:9], s[6:7]
	s_cbranch_execz .LBB66_11
; %bb.1:
	s_load_dwordx2 s[6:7], s[0:1], 0x10
	s_ashr_i32 s2, s4, 31
	s_lshr_b32 s2, s2, 24
	s_add_i32 s2, s4, s2
	v_and_b32_e32 v17, 0x3ff, v0
	s_ashr_i32 s2, s2, 8
	v_lshrrev_b32_e32 v18, 4, v17
	v_cmp_gt_u32_e32 vcc, s2, v18
	v_mov_b32_e32 v20, 0
	s_and_saveexec_b64 s[8:9], vcc
	s_cbranch_execz .LBB66_9
; %bb.2:
	s_load_dwordx4 s[12:15], s[0:1], 0x0
	s_add_i32 s0, s4, 0x1ff
	s_ashr_i32 s1, s0, 31
	s_lshr_b32 s1, s1, 23
	s_add_i32 s0, s0, s1
	v_lshlrev_b32_e32 v0, 1, v17
	s_ashr_i32 s0, s0, 9
	v_bfe_u32 v8, v0, 3, 2
	s_mul_i32 s4, s3, s0
	v_and_b32_e32 v4, 30, v0
	v_mov_b32_e32 v1, 0
	v_and_b32_e32 v10, 3, v17
	v_lshlrev_b32_e32 v21, 1, v8
	v_lshlrev_b32_e32 v6, 3, v18
	v_mul_lo_u32 v19, v16, s2
	v_lshlrev_b32_e32 v0, 5, v8
	v_lshlrev_b32_e32 v2, 2, v10
	v_mov_b32_e32 v3, v1
	v_cmp_lt_u32_e32 vcc, 15, v4
	s_waitcnt lgkmcnt(0)
	v_mad_u64_u32 v[4:5], s[0:1], v21, 36, s[14:15]
	v_lshl_add_u32 v22, s4, 4, v6
	s_mov_b64 s[10:11], 0
	s_movk_i32 s4, 0xb0
	v_mov_b64_e32 v[6:7], s[12:13]
	v_lshlrev_b32_e32 v8, 1, v8
	v_mov_b32_e32 v9, v1
	s_mov_b32 s12, 0x5040100
	s_mov_b32 s13, 0x30303030
	v_lshlrev_b32_e32 v10, 2, v10
	v_mov_b32_e32 v11, v1
	s_mov_b32 s14, 0x10101010
	v_mov_b32_e32 v20, v1
	s_branch .LBB66_4
.LBB66_3:                               ;   in Loop: Header=BB66_4 Depth=1
	s_or_b64 exec, exec, s[0:1]
	v_mad_i64_i32 v[14:15], s[0:1], v22, 36, v[4:5]
	global_load_dword v30, v[14:15], off
	v_lshl_add_u64 v[28:29], v[14:15], 0, v[10:11]
	global_load_dword v31, v[12:13], off
	global_load_dword v32, v[28:29], off offset:20
	global_load_dword v33, v[28:29], off offset:40
	;; [unrolled: 1-line block ×5, first 2 shown]
	s_waitcnt vmcnt(7)
	v_ashrrev_i32_e32 v13, v21, v26
	v_ashrrev_i32_e32 v14, v21, v25
	v_and_b32_e32 v25, 0xf0f0f0f, v23
	v_lshrrev_b32_e32 v23, 4, v23
	v_lshlrev_b32_e32 v39, 4, v13
	v_and_b32_e32 v15, 0xf0f0f0f, v24
	v_mov_b32_e32 v26, 0
	v_mov_b32_e32 v28, 0
	v_lshrrev_b32_e32 v24, 4, v24
	v_lshlrev_b32_e32 v38, 4, v14
	v_and_b32_e32 v23, 0xf0f0f0f, v23
	v_lshlrev_b32_e32 v13, 3, v13
	v_and_or_b32 v25, v39, s14, v25
	v_pk_lshrrev_b16 v12, 8, v27 op_sel_hi:[0,1]
	v_and_b32_e32 v27, 0xff00ff, v27
	v_mov_b32_e32 v29, 0
	v_mov_b32_e32 v37, 0
	v_and_b32_e32 v24, 0xf0f0f0f, v24
	v_lshlrev_b32_e32 v14, 3, v14
	v_and_or_b32 v15, v38, s14, v15
	v_and_or_b32 v23, v13, s14, v23
	v_lshrrev_b32_e32 v41, 16, v27
	v_and_b32_e32 v27, 0xff, v27
	v_and_or_b32 v38, v14, s14, v24
	v_lshrrev_b32_e32 v40, 16, v12
	v_and_b32_e32 v12, 0xff, v12
	v_add_u32_e32 v18, 4, v18
	v_cmp_le_u32_e64 s[0:1], s2, v18
	s_or_b64 s[10:11], s[0:1], s[10:11]
	v_add_u32_e32 v22, 32, v22
	s_waitcnt vmcnt(5)
	v_cvt_f32_f16_sdwa v13, v31 dst_sel:DWORD dst_unused:UNUSED_PAD src0_sel:WORD_1
	s_waitcnt vmcnt(4)
	v_dot4c_i32_i8_e32 v26, v25, v32
	v_dot4c_i32_i8_e32 v28, 0x1010101, v32
	s_waitcnt vmcnt(2)
	v_dot4c_i32_i8_e32 v29, v23, v34
	v_dot4c_i32_i8_e32 v37, 0x1010101, v34
	;; [unrolled: 3-line block ×3, first 2 shown]
	v_dot4c_i32_i8_e32 v29, v38, v33
	v_dot4c_i32_i8_e32 v37, 0x1010101, v33
	v_mul_lo_u32 v15, v26, v27
	v_mul_lo_u32 v23, v28, v41
	v_cvt_f32_f16_e32 v14, v30
	v_mul_lo_u32 v12, v29, v12
	v_mul_lo_u32 v25, v37, v40
	v_cvt_f32_i32_e32 v27, v23
	v_cvt_f32_i32_e32 v26, v15
	v_cvt_f32_f16_e32 v24, v35
	v_cvt_f32_i32_e32 v29, v25
	v_cvt_f32_i32_e32 v28, v12
	v_cvt_f32_f16_e32 v12, v31
	v_pk_fma_f32 v[14:15], v[14:15], v[26:27], 0 op_sel_hi:[0,1,0]
	v_pk_fma_f32 v[14:15], v[24:25], v[28:29], v[14:15] op_sel_hi:[0,1,1]
	v_pk_mul_f32 v[12:13], v[14:15], v[12:13]
	s_nop 0
	v_sub_f32_e32 v12, v12, v13
	v_add_f32_e32 v20, v20, v12
	s_andn2_b64 exec, exec, s[10:11]
	s_cbranch_execz .LBB66_8
.LBB66_4:                               ; =>This Inner Loop Header: Depth=1
	v_add_u32_e32 v12, v19, v18
	v_mad_i64_i32 v[12:13], s[0:1], v12, s4, v[6:7]
	v_lshl_add_u64 v[14:15], v[12:13], 0, v[2:3]
	v_lshl_add_u64 v[28:29], v[14:15], 0, v[0:1]
	global_load_dword v23, v[28:29], off offset:64
	global_load_dword v25, v[14:15], off offset:16
	;; [unrolled: 1-line block ×4, first 2 shown]
	v_lshl_add_u64 v[14:15], v[12:13], 0, v[8:9]
                                        ; implicit-def: $vgpr27
	s_and_saveexec_b64 s[0:1], vcc
	s_xor_b64 s[0:1], exec, s[0:1]
	s_cbranch_execz .LBB66_6
; %bb.5:                                ;   in Loop: Header=BB66_4 Depth=1
	global_load_ushort v27, v[14:15], off
	global_load_ushort v28, v[14:15], off offset:8
	global_load_ushort v29, v[14:15], off offset:4
	s_waitcnt vmcnt(1)
	v_lshrrev_b16_e32 v14, 4, v28
	s_waitcnt vmcnt(0)
	v_perm_b32 v15, v29, v27, s12
	v_perm_b32 v14, v14, v28, s12
	v_and_b32_e32 v14, 0xf0f0f0f, v14
	v_pk_lshrrev_b16 v15, 2, v15 op_sel_hi:[0,1]
	v_and_or_b32 v27, v15, s13, v14
                                        ; implicit-def: $vgpr14_vgpr15
.LBB66_6:                               ;   in Loop: Header=BB66_4 Depth=1
	s_andn2_saveexec_b64 s[0:1], s[0:1]
	s_cbranch_execz .LBB66_3
; %bb.7:                                ;   in Loop: Header=BB66_4 Depth=1
	global_load_ushort v27, v[14:15], off offset:4
	global_load_ushort v28, v[14:15], off offset:8
	s_waitcnt vmcnt(0)
	v_perm_b32 v14, v28, v27, s12
	v_and_b32_e32 v27, 0x3f3f3f3f, v14
	s_branch .LBB66_3
.LBB66_8:
	s_or_b64 exec, exec, s[10:11]
.LBB66_9:
	s_or_b64 exec, exec, s[8:9]
	v_mbcnt_lo_u32_b32 v0, -1, 0
	v_mbcnt_hi_u32_b32 v1, -1, v0
	v_and_b32_e32 v0, 64, v1
	v_add_u32_e32 v2, 64, v0
	v_xor_b32_e32 v0, 32, v1
	v_cmp_lt_i32_e32 vcc, v0, v2
	v_xor_b32_e32 v3, 16, v1
	v_xor_b32_e32 v4, 8, v1
	v_cndmask_b32_e32 v0, v1, v0, vcc
	v_lshlrev_b32_e32 v0, 2, v0
	ds_bpermute_b32 v0, v0, v20
	v_cmp_lt_i32_e32 vcc, v3, v2
	s_waitcnt lgkmcnt(0)
	v_add_f32_e32 v0, v20, v0
	v_cndmask_b32_e32 v3, v1, v3, vcc
	v_lshlrev_b32_e32 v3, 2, v3
	ds_bpermute_b32 v3, v3, v0
	v_cmp_lt_i32_e32 vcc, v4, v2
	s_waitcnt lgkmcnt(0)
	v_add_f32_e32 v0, v0, v3
	v_cndmask_b32_e32 v3, v1, v4, vcc
	v_lshlrev_b32_e32 v3, 2, v3
	ds_bpermute_b32 v3, v3, v0
	v_xor_b32_e32 v4, 4, v1
	v_cmp_lt_i32_e32 vcc, v4, v2
	s_waitcnt lgkmcnt(0)
	v_add_f32_e32 v0, v0, v3
	v_cndmask_b32_e32 v3, v1, v4, vcc
	v_lshlrev_b32_e32 v3, 2, v3
	ds_bpermute_b32 v3, v3, v0
	v_xor_b32_e32 v4, 2, v1
	;; [unrolled: 7-line block ×3, first 2 shown]
	v_cmp_lt_i32_e32 vcc, v4, v2
	s_waitcnt lgkmcnt(0)
	v_add_f32_e32 v0, v0, v3
	v_cndmask_b32_e32 v1, v1, v4, vcc
	v_lshlrev_b32_e32 v1, 2, v1
	ds_bpermute_b32 v1, v1, v0
	v_cmp_eq_u32_e32 vcc, 0, v17
	s_and_b64 exec, exec, vcc
	s_cbranch_execz .LBB66_11
; %bb.10:
	s_mul_i32 s3, s3, s5
	s_waitcnt lgkmcnt(0)
	v_add_f32_e32 v2, v0, v1
	v_add_u32_e32 v0, s3, v16
	v_mov_b32_e32 v1, 0
	v_lshl_add_u64 v[0:1], v[0:1], 2, s[6:7]
	global_store_dword v[0:1], v2, off
.LBB66_11:
	s_endpgm
	.section	.rodata,"a",@progbits
	.p2align	6, 0x0
	.amdhsa_kernel _ZL13mul_mat_vec_qIfLi256ELi32E10block_q5_KLi2EXadL_ZL17vec_dot_q5_K_q8_1PKvPK10block_q8_1RKiEEEvS2_S2_PT_iii
		.amdhsa_group_segment_fixed_size 0
		.amdhsa_private_segment_fixed_size 0
		.amdhsa_kernarg_size 296
		.amdhsa_user_sgpr_count 2
		.amdhsa_user_sgpr_dispatch_ptr 0
		.amdhsa_user_sgpr_queue_ptr 0
		.amdhsa_user_sgpr_kernarg_segment_ptr 1
		.amdhsa_user_sgpr_dispatch_id 0
		.amdhsa_user_sgpr_kernarg_preload_length 0
		.amdhsa_user_sgpr_kernarg_preload_offset 0
		.amdhsa_user_sgpr_private_segment_size 0
		.amdhsa_uses_dynamic_stack 0
		.amdhsa_enable_private_segment 0
		.amdhsa_system_sgpr_workgroup_id_x 1
		.amdhsa_system_sgpr_workgroup_id_y 1
		.amdhsa_system_sgpr_workgroup_id_z 0
		.amdhsa_system_sgpr_workgroup_info 0
		.amdhsa_system_vgpr_workitem_id 1
		.amdhsa_next_free_vgpr 42
		.amdhsa_next_free_sgpr 16
		.amdhsa_accum_offset 44
		.amdhsa_reserve_vcc 1
		.amdhsa_float_round_mode_32 0
		.amdhsa_float_round_mode_16_64 0
		.amdhsa_float_denorm_mode_32 3
		.amdhsa_float_denorm_mode_16_64 3
		.amdhsa_dx10_clamp 1
		.amdhsa_ieee_mode 1
		.amdhsa_fp16_overflow 0
		.amdhsa_tg_split 0
		.amdhsa_exception_fp_ieee_invalid_op 0
		.amdhsa_exception_fp_denorm_src 0
		.amdhsa_exception_fp_ieee_div_zero 0
		.amdhsa_exception_fp_ieee_overflow 0
		.amdhsa_exception_fp_ieee_underflow 0
		.amdhsa_exception_fp_ieee_inexact 0
		.amdhsa_exception_int_div_zero 0
	.end_amdhsa_kernel
	.section	.text._ZL13mul_mat_vec_qIfLi256ELi32E10block_q5_KLi2EXadL_ZL17vec_dot_q5_K_q8_1PKvPK10block_q8_1RKiEEEvS2_S2_PT_iii,"axG",@progbits,_ZL13mul_mat_vec_qIfLi256ELi32E10block_q5_KLi2EXadL_ZL17vec_dot_q5_K_q8_1PKvPK10block_q8_1RKiEEEvS2_S2_PT_iii,comdat
.Lfunc_end66:
	.size	_ZL13mul_mat_vec_qIfLi256ELi32E10block_q5_KLi2EXadL_ZL17vec_dot_q5_K_q8_1PKvPK10block_q8_1RKiEEEvS2_S2_PT_iii, .Lfunc_end66-_ZL13mul_mat_vec_qIfLi256ELi32E10block_q5_KLi2EXadL_ZL17vec_dot_q5_K_q8_1PKvPK10block_q8_1RKiEEEvS2_S2_PT_iii
                                        ; -- End function
	.section	.AMDGPU.csdata,"",@progbits
; Kernel info:
; codeLenInByte = 1188
; NumSgprs: 22
; NumVgprs: 42
; NumAgprs: 0
; TotalNumVgprs: 42
; ScratchSize: 0
; MemoryBound: 0
; FloatMode: 240
; IeeeMode: 1
; LDSByteSize: 0 bytes/workgroup (compile time only)
; SGPRBlocks: 2
; VGPRBlocks: 5
; NumSGPRsForWavesPerEU: 22
; NumVGPRsForWavesPerEU: 42
; AccumOffset: 44
; Occupancy: 8
; WaveLimiterHint : 0
; COMPUTE_PGM_RSRC2:SCRATCH_EN: 0
; COMPUTE_PGM_RSRC2:USER_SGPR: 2
; COMPUTE_PGM_RSRC2:TRAP_HANDLER: 0
; COMPUTE_PGM_RSRC2:TGID_X_EN: 1
; COMPUTE_PGM_RSRC2:TGID_Y_EN: 1
; COMPUTE_PGM_RSRC2:TGID_Z_EN: 0
; COMPUTE_PGM_RSRC2:TIDIG_COMP_CNT: 1
; COMPUTE_PGM_RSRC3_GFX90A:ACCUM_OFFSET: 10
; COMPUTE_PGM_RSRC3_GFX90A:TG_SPLIT: 0
	.section	.text._ZL13mul_mat_vec_qIfLi256ELi32E10block_q6_KLi1EXadL_ZL17vec_dot_q6_K_q8_1PKvPK10block_q8_1RKiEEEvS2_S2_PT_iii,"axG",@progbits,_ZL13mul_mat_vec_qIfLi256ELi32E10block_q6_KLi1EXadL_ZL17vec_dot_q6_K_q8_1PKvPK10block_q8_1RKiEEEvS2_S2_PT_iii,comdat
	.globl	_ZL13mul_mat_vec_qIfLi256ELi32E10block_q6_KLi1EXadL_ZL17vec_dot_q6_K_q8_1PKvPK10block_q8_1RKiEEEvS2_S2_PT_iii ; -- Begin function _ZL13mul_mat_vec_qIfLi256ELi32E10block_q6_KLi1EXadL_ZL17vec_dot_q6_K_q8_1PKvPK10block_q8_1RKiEEEvS2_S2_PT_iii
	.p2align	8
	.type	_ZL13mul_mat_vec_qIfLi256ELi32E10block_q6_KLi1EXadL_ZL17vec_dot_q6_K_q8_1PKvPK10block_q8_1RKiEEEvS2_S2_PT_iii,@function
_ZL13mul_mat_vec_qIfLi256ELi32E10block_q6_KLi1EXadL_ZL17vec_dot_q6_K_q8_1PKvPK10block_q8_1RKiEEEvS2_S2_PT_iii: ; @_ZL13mul_mat_vec_qIfLi256ELi32E10block_q6_KLi1EXadL_ZL17vec_dot_q6_K_q8_1PKvPK10block_q8_1RKiEEEvS2_S2_PT_iii
; %bb.0:
	s_load_dword s8, s[0:1], 0x34
	s_load_dwordx4 s[4:7], s[0:1], 0x18
	v_bfe_u32 v1, v0, 10, 10
	s_waitcnt lgkmcnt(0)
	s_lshr_b32 s7, s8, 16
	s_mul_i32 s2, s2, s7
	v_add_u32_e32 v12, s2, v1
	s_cmp_lt_u32 s3, s6
	v_cmp_gt_u32_e32 vcc, s5, v12
	s_cselect_b64 s[6:7], -1, 0
	s_and_b64 s[6:7], s[6:7], vcc
	s_and_saveexec_b64 s[8:9], s[6:7]
	s_cbranch_execz .LBB67_7
; %bb.1:
	s_load_dwordx2 s[6:7], s[0:1], 0x10
	s_ashr_i32 s2, s4, 31
	s_lshr_b32 s2, s2, 24
	s_add_i32 s2, s4, s2
	v_and_b32_e32 v13, 0x3ff, v0
	s_ashr_i32 s2, s2, 8
	v_lshrrev_b32_e32 v14, 5, v13
	v_cmp_gt_u32_e32 vcc, s2, v14
	v_mov_b32_e32 v16, 0
	s_and_saveexec_b64 s[8:9], vcc
	s_cbranch_execz .LBB67_5
; %bb.2:
	v_and_b32_e32 v0, 31, v13
	v_add_u32_e32 v1, 0xf0, v0
	v_cmp_gt_u32_e32 vcc, 16, v0
	s_load_dwordx4 s[12:15], s[0:1], 0x0
	s_add_i32 s0, s4, 0x1ff
	v_cndmask_b32_e32 v8, v1, v0, vcc
	v_and_b32_e32 v1, 0xf8, v8
	s_ashr_i32 s1, s0, 31
	v_cmp_ne_u32_e32 vcc, 0, v1
	s_lshr_b32 s1, s1, 23
	s_add_i32 s0, s0, s1
	v_cndmask_b32_e64 v9, 0, 1, vcc
	v_cmp_lt_u32_e32 vcc, 15, v0
	s_ashr_i32 s0, s0, 9
	v_and_b32_e32 v4, 7, v13
	v_cndmask_b32_e64 v2, 0, 1, vcc
	v_lshl_or_b32 v6, v2, 2, v9
	v_lshlrev_b32_e32 v10, 3, v2
	v_bfe_u32 v8, v8, 2, 6
	s_mul_i32 s4, s3, s0
	v_mov_b32_e32 v1, 0
	v_or_b32_e32 v2, v10, v4
	s_waitcnt lgkmcnt(0)
	v_mad_u64_u32 v[6:7], s[0:1], v6, 36, s[14:15]
	v_add_u32_e32 v8, v8, v10
	v_lshlrev_b32_e32 v10, 3, v14
	v_mul_lo_u32 v15, v12, s2
	v_lshlrev_b32_e32 v0, 2, v0
	v_lshlrev_b32_e32 v2, 2, v2
	v_mov_b32_e32 v3, v1
	v_lshlrev_b32_e32 v4, 2, v4
	v_mov_b32_e32 v5, v1
	;; [unrolled: 2-line block ×3, first 2 shown]
	v_lshl_add_u32 v18, s4, 4, v10
	s_mov_b64 s[0:1], 0
	s_movk_i32 s4, 0xd2
	v_mov_b64_e32 v[10:11], s[12:13]
	s_mov_b32 s10, 0xf0f0f0f
	s_mov_b32 s11, 0x30303030
	s_movk_i32 s12, 0x3f00
	s_movk_i32 s13, 0xe000
	v_mov_b32_e32 v19, 8
	v_mov_b32_e32 v16, v1
.LBB67_3:                               ; =>This Inner Loop Header: Depth=1
	v_add_u32_e32 v20, v15, v14
	v_mad_i64_i32 v[20:21], s[14:15], v20, s4, v[10:11]
	v_lshl_add_u64 v[24:25], v[20:21], 0, v[2:3]
	v_lshl_add_u64 v[22:23], v[20:21], 0, v[0:1]
	global_load_dword v26, v[24:25], off offset:128
	global_load_dword v27, v[22:23], off
	v_mad_i64_i32 v[22:23], s[14:15], v18, 36, v[6:7]
	v_lshl_add_u64 v[24:25], v[22:23], 0, v[4:5]
	global_load_dword v28, v[24:25], off offset:4
	global_load_dword v29, v[24:25], off offset:76
	v_lshl_add_u64 v[24:25], v[20:21], 0, v[8:9]
	global_load_sbyte v30, v[24:25], off offset:192
	global_load_sbyte v31, v[24:25], off offset:196
	global_load_dword v32, v[22:23], off
	global_load_dword v33, v[22:23], off offset:72
	global_load_ushort v34, v[20:21], off offset:208
	v_mov_b32_e32 v20, 0
	v_mov_b32_e32 v21, 0
	v_add_u32_e32 v14, 2, v14
	v_cmp_le_u32_e32 vcc, s2, v14
	v_add_u32_e32 v18, 16, v18
	s_or_b64 s[0:1], vcc, s[0:1]
	s_waitcnt vmcnt(8)
	v_ashrrev_i32_e32 v22, v17, v26
	s_waitcnt vmcnt(7)
	v_and_b32_e32 v23, 0xf0f0f0f, v27
	v_lshlrev_b32_e32 v25, 4, v22
	v_lshrrev_b32_e32 v24, 4, v27
	v_and_b32_e32 v22, 0x30303030, v22
	v_and_or_b32 v23, v25, s11, v23
	v_and_or_b32 v22, v24, s10, v22
	v_and_b32_e32 v24, 0x3f00, v23
	v_lshlrev_b16_e32 v25, 8, v23
	v_and_b32_sdwa v26, v23, s12 dst_sel:DWORD dst_unused:UNUSED_PAD src0_sel:WORD_1 src1_sel:DWORD
	v_lshlrev_b16_sdwa v23, v19, v23 dst_sel:DWORD dst_unused:UNUSED_PAD src0_sel:DWORD src1_sel:WORD_1
	v_and_b32_e32 v27, 0x3f00, v22
	v_lshlrev_b16_e32 v35, 8, v22
	v_and_b32_sdwa v36, v22, s12 dst_sel:DWORD dst_unused:UNUSED_PAD src0_sel:WORD_1 src1_sel:DWORD
	v_lshlrev_b16_sdwa v22, v19, v22 dst_sel:DWORD dst_unused:UNUSED_PAD src0_sel:DWORD src1_sel:WORD_1
	v_add_u16_e32 v25, 0xe000, v25
	v_add_u16_e32 v23, 0xe000, v23
	;; [unrolled: 1-line block ×4, first 2 shown]
	v_or_b32_sdwa v24, v24, v25 dst_sel:DWORD dst_unused:UNUSED_PAD src0_sel:DWORD src1_sel:BYTE_1
	v_or_b32_sdwa v23, v26, v23 dst_sel:DWORD dst_unused:UNUSED_PAD src0_sel:DWORD src1_sel:BYTE_1
	;; [unrolled: 1-line block ×4, first 2 shown]
	v_add_u16_e32 v24, 0xe000, v24
	v_add_u16_sdwa v23, v23, s13 dst_sel:WORD_1 dst_unused:UNUSED_PAD src0_sel:DWORD src1_sel:DWORD
	v_add_u16_e32 v25, 0xe000, v25
	v_add_u16_sdwa v22, v22, s13 dst_sel:WORD_1 dst_unused:UNUSED_PAD src0_sel:DWORD src1_sel:DWORD
	v_or_b32_e32 v23, v24, v23
	v_or_b32_e32 v22, v25, v22
	s_waitcnt vmcnt(6)
	v_dot4c_i32_i8_e32 v20, v23, v28
	s_waitcnt vmcnt(5)
	v_dot4c_i32_i8_e32 v21, v22, v29
	s_waitcnt vmcnt(4)
	v_mul_lo_u32 v20, v20, v30
	s_waitcnt vmcnt(3)
	v_mul_lo_u32 v21, v21, v31
	v_cvt_f32_i32_e32 v20, v20
	v_cvt_f32_i32_e32 v21, v21
	s_waitcnt vmcnt(2)
	v_fma_mix_f32 v20, v32, v20, 0 op_sel_hi:[1,0,0]
	s_waitcnt vmcnt(1)
	v_fma_mix_f32 v20, v33, v21, v20 op_sel_hi:[1,0,0]
	;; [unrolled: 2-line block ×3, first 2 shown]
	s_andn2_b64 exec, exec, s[0:1]
	s_cbranch_execnz .LBB67_3
; %bb.4:
	s_or_b64 exec, exec, s[0:1]
.LBB67_5:
	s_or_b64 exec, exec, s[8:9]
	v_mbcnt_lo_u32_b32 v0, -1, 0
	v_mbcnt_hi_u32_b32 v1, -1, v0
	v_and_b32_e32 v0, 64, v1
	v_add_u32_e32 v2, 64, v0
	v_xor_b32_e32 v0, 32, v1
	v_cmp_lt_i32_e32 vcc, v0, v2
	v_xor_b32_e32 v3, 16, v1
	v_xor_b32_e32 v4, 8, v1
	v_cndmask_b32_e32 v0, v1, v0, vcc
	v_lshlrev_b32_e32 v0, 2, v0
	ds_bpermute_b32 v0, v0, v16
	v_cmp_lt_i32_e32 vcc, v3, v2
	s_waitcnt lgkmcnt(0)
	v_add_f32_e32 v0, v16, v0
	v_cndmask_b32_e32 v3, v1, v3, vcc
	v_lshlrev_b32_e32 v3, 2, v3
	ds_bpermute_b32 v3, v3, v0
	v_cmp_lt_i32_e32 vcc, v4, v2
	s_waitcnt lgkmcnt(0)
	v_add_f32_e32 v0, v0, v3
	v_cndmask_b32_e32 v3, v1, v4, vcc
	v_lshlrev_b32_e32 v3, 2, v3
	ds_bpermute_b32 v3, v3, v0
	v_xor_b32_e32 v4, 4, v1
	v_cmp_lt_i32_e32 vcc, v4, v2
	s_waitcnt lgkmcnt(0)
	v_add_f32_e32 v0, v0, v3
	v_cndmask_b32_e32 v3, v1, v4, vcc
	v_lshlrev_b32_e32 v3, 2, v3
	ds_bpermute_b32 v3, v3, v0
	v_xor_b32_e32 v4, 2, v1
	;; [unrolled: 7-line block ×3, first 2 shown]
	v_cmp_lt_i32_e32 vcc, v4, v2
	s_waitcnt lgkmcnt(0)
	v_add_f32_e32 v0, v0, v3
	v_cndmask_b32_e32 v1, v1, v4, vcc
	v_lshlrev_b32_e32 v1, 2, v1
	ds_bpermute_b32 v1, v1, v0
	v_cmp_eq_u32_e32 vcc, 0, v13
	s_and_b64 exec, exec, vcc
	s_cbranch_execz .LBB67_7
; %bb.6:
	s_mul_i32 s3, s3, s5
	s_waitcnt lgkmcnt(0)
	v_add_f32_e32 v2, v0, v1
	v_add_u32_e32 v0, s3, v12
	v_mov_b32_e32 v1, 0
	v_lshl_add_u64 v[0:1], v[0:1], 2, s[6:7]
	global_store_dword v[0:1], v2, off
.LBB67_7:
	s_endpgm
	.section	.rodata,"a",@progbits
	.p2align	6, 0x0
	.amdhsa_kernel _ZL13mul_mat_vec_qIfLi256ELi32E10block_q6_KLi1EXadL_ZL17vec_dot_q6_K_q8_1PKvPK10block_q8_1RKiEEEvS2_S2_PT_iii
		.amdhsa_group_segment_fixed_size 0
		.amdhsa_private_segment_fixed_size 0
		.amdhsa_kernarg_size 296
		.amdhsa_user_sgpr_count 2
		.amdhsa_user_sgpr_dispatch_ptr 0
		.amdhsa_user_sgpr_queue_ptr 0
		.amdhsa_user_sgpr_kernarg_segment_ptr 1
		.amdhsa_user_sgpr_dispatch_id 0
		.amdhsa_user_sgpr_kernarg_preload_length 0
		.amdhsa_user_sgpr_kernarg_preload_offset 0
		.amdhsa_user_sgpr_private_segment_size 0
		.amdhsa_uses_dynamic_stack 0
		.amdhsa_enable_private_segment 0
		.amdhsa_system_sgpr_workgroup_id_x 1
		.amdhsa_system_sgpr_workgroup_id_y 1
		.amdhsa_system_sgpr_workgroup_id_z 0
		.amdhsa_system_sgpr_workgroup_info 0
		.amdhsa_system_vgpr_workitem_id 1
		.amdhsa_next_free_vgpr 37
		.amdhsa_next_free_sgpr 16
		.amdhsa_accum_offset 40
		.amdhsa_reserve_vcc 1
		.amdhsa_float_round_mode_32 0
		.amdhsa_float_round_mode_16_64 0
		.amdhsa_float_denorm_mode_32 3
		.amdhsa_float_denorm_mode_16_64 3
		.amdhsa_dx10_clamp 1
		.amdhsa_ieee_mode 1
		.amdhsa_fp16_overflow 0
		.amdhsa_tg_split 0
		.amdhsa_exception_fp_ieee_invalid_op 0
		.amdhsa_exception_fp_denorm_src 0
		.amdhsa_exception_fp_ieee_div_zero 0
		.amdhsa_exception_fp_ieee_overflow 0
		.amdhsa_exception_fp_ieee_underflow 0
		.amdhsa_exception_fp_ieee_inexact 0
		.amdhsa_exception_int_div_zero 0
	.end_amdhsa_kernel
	.section	.text._ZL13mul_mat_vec_qIfLi256ELi32E10block_q6_KLi1EXadL_ZL17vec_dot_q6_K_q8_1PKvPK10block_q8_1RKiEEEvS2_S2_PT_iii,"axG",@progbits,_ZL13mul_mat_vec_qIfLi256ELi32E10block_q6_KLi1EXadL_ZL17vec_dot_q6_K_q8_1PKvPK10block_q8_1RKiEEEvS2_S2_PT_iii,comdat
.Lfunc_end67:
	.size	_ZL13mul_mat_vec_qIfLi256ELi32E10block_q6_KLi1EXadL_ZL17vec_dot_q6_K_q8_1PKvPK10block_q8_1RKiEEEvS2_S2_PT_iii, .Lfunc_end67-_ZL13mul_mat_vec_qIfLi256ELi32E10block_q6_KLi1EXadL_ZL17vec_dot_q6_K_q8_1PKvPK10block_q8_1RKiEEEvS2_S2_PT_iii
                                        ; -- End function
	.section	.AMDGPU.csdata,"",@progbits
; Kernel info:
; codeLenInByte = 1064
; NumSgprs: 22
; NumVgprs: 37
; NumAgprs: 0
; TotalNumVgprs: 37
; ScratchSize: 0
; MemoryBound: 0
; FloatMode: 240
; IeeeMode: 1
; LDSByteSize: 0 bytes/workgroup (compile time only)
; SGPRBlocks: 2
; VGPRBlocks: 4
; NumSGPRsForWavesPerEU: 22
; NumVGPRsForWavesPerEU: 37
; AccumOffset: 40
; Occupancy: 8
; WaveLimiterHint : 0
; COMPUTE_PGM_RSRC2:SCRATCH_EN: 0
; COMPUTE_PGM_RSRC2:USER_SGPR: 2
; COMPUTE_PGM_RSRC2:TRAP_HANDLER: 0
; COMPUTE_PGM_RSRC2:TGID_X_EN: 1
; COMPUTE_PGM_RSRC2:TGID_Y_EN: 1
; COMPUTE_PGM_RSRC2:TGID_Z_EN: 0
; COMPUTE_PGM_RSRC2:TIDIG_COMP_CNT: 1
; COMPUTE_PGM_RSRC3_GFX90A:ACCUM_OFFSET: 9
; COMPUTE_PGM_RSRC3_GFX90A:TG_SPLIT: 0
	.section	.text._ZL13mul_mat_vec_qIfLi256ELi8E13block_iq2_xxsLi1EXadL_ZL20vec_dot_iq2_xxs_q8_1PKvPK10block_q8_1RKiEEEvS2_S2_PT_iii,"axG",@progbits,_ZL13mul_mat_vec_qIfLi256ELi8E13block_iq2_xxsLi1EXadL_ZL20vec_dot_iq2_xxs_q8_1PKvPK10block_q8_1RKiEEEvS2_S2_PT_iii,comdat
	.globl	_ZL13mul_mat_vec_qIfLi256ELi8E13block_iq2_xxsLi1EXadL_ZL20vec_dot_iq2_xxs_q8_1PKvPK10block_q8_1RKiEEEvS2_S2_PT_iii ; -- Begin function _ZL13mul_mat_vec_qIfLi256ELi8E13block_iq2_xxsLi1EXadL_ZL20vec_dot_iq2_xxs_q8_1PKvPK10block_q8_1RKiEEEvS2_S2_PT_iii
	.p2align	8
	.type	_ZL13mul_mat_vec_qIfLi256ELi8E13block_iq2_xxsLi1EXadL_ZL20vec_dot_iq2_xxs_q8_1PKvPK10block_q8_1RKiEEEvS2_S2_PT_iii,@function
_ZL13mul_mat_vec_qIfLi256ELi8E13block_iq2_xxsLi1EXadL_ZL20vec_dot_iq2_xxs_q8_1PKvPK10block_q8_1RKiEEEvS2_S2_PT_iii: ; @_ZL13mul_mat_vec_qIfLi256ELi8E13block_iq2_xxsLi1EXadL_ZL20vec_dot_iq2_xxs_q8_1PKvPK10block_q8_1RKiEEEvS2_S2_PT_iii
; %bb.0:
	s_load_dword s8, s[0:1], 0x34
	s_load_dwordx4 s[4:7], s[0:1], 0x18
	v_bfe_u32 v1, v0, 10, 10
	s_waitcnt lgkmcnt(0)
	s_lshr_b32 s7, s8, 16
	s_mul_i32 s2, s2, s7
	v_add_u32_e32 v10, s2, v1
	s_cmp_lt_u32 s3, s6
	v_cmp_gt_u32_e32 vcc, s5, v10
	s_cselect_b64 s[6:7], -1, 0
	s_and_b64 s[6:7], s[6:7], vcc
	s_and_saveexec_b64 s[8:9], s[6:7]
	s_cbranch_execz .LBB68_7
; %bb.1:
	s_load_dwordx2 s[6:7], s[0:1], 0x10
	s_ashr_i32 s2, s4, 31
	s_lshr_b32 s2, s2, 24
	s_add_i32 s2, s4, s2
	v_and_b32_e32 v11, 0x3ff, v0
	s_ashr_i32 s2, s2, 8
	v_lshrrev_b32_e32 v12, 3, v11
	v_cmp_gt_u32_e32 vcc, s2, v12
	v_mov_b32_e32 v13, 0
	s_and_saveexec_b64 s[8:9], vcc
	s_cbranch_execz .LBB68_5
; %bb.2:
	s_load_dwordx4 s[12:15], s[0:1], 0x0
	s_add_i32 s0, s4, 0x1ff
	s_ashr_i32 s1, s0, 31
	s_lshr_b32 s1, s1, 23
	s_add_i32 s0, s0, s1
	s_ashr_i32 s0, s0, 9
	v_and_b32_e32 v2, 7, v11
	s_mul_i32 s4, s3, s0
	v_lshlrev_b32_e32 v0, 2, v2
	v_mov_b32_e32 v1, 0
	s_waitcnt lgkmcnt(0)
	v_mad_u64_u32 v[2:3], s[0:1], v2, 36, s[14:15]
	v_lshlrev_b32_e32 v4, 3, v12
	v_mul_lo_u32 v14, v10, s2
	v_lshl_add_u32 v15, s4, 4, v4
	s_mov_b64 s[0:1], 0
	s_movk_i32 s4, 0x42
	v_mov_b64_e32 v[4:5], s[12:13]
	v_lshlrev_b32_e32 v0, 1, v0
	s_mov_b32 s14, 0xffff
	v_mov_b32_e32 v16, 3
	v_mov_b32_e32 v13, v1
	s_getpc_b64 s[12:13]
	s_add_u32 s12, s12, _ZL12ksigns_iq2xs@rel32@lo+4
	s_addc_u32 s13, s13, _ZL12ksigns_iq2xs@rel32@hi+12
.LBB68_3:                               ; =>This Inner Loop Header: Depth=1
	v_add_u32_e32 v6, v14, v12
	v_mad_i64_i32 v[8:9], s[10:11], v6, s4, v[4:5]
	v_lshl_add_u64 v[18:19], v[8:9], 0, v[0:1]
	global_load_dword v17, v[18:19], off offset:6
	global_load_dword v25, v[18:19], off offset:2
	v_mad_i64_i32 v[6:7], s[10:11], v15, 36, v[2:3]
	s_getpc_b64 s[10:11]
	s_add_u32 s10, s10, _ZL11iq2xxs_grid@rel32@lo+4
	s_addc_u32 s11, s11, _ZL11iq2xxs_grid@rel32@hi+12
	v_add_u32_e32 v12, 8, v12
	v_add_u32_e32 v15, 64, v15
	s_waitcnt vmcnt(1)
	v_and_b32_e32 v20, 0xffff0000, v17
	v_and_b32_e32 v27, 0x7f, v17
	v_and_or_b32 v24, v17, s14, v20
	s_waitcnt vmcnt(0)
	v_lshlrev_b32_sdwa v26, v16, v25 dst_sel:DWORD dst_unused:UNUSED_PAD src0_sel:DWORD src1_sel:BYTE_0
	global_load_sbyte v28, v27, s[12:13]
	global_load_dwordx4 v[18:21], v[6:7], off offset:4
	global_load_dwordx2 v[22:23], v26, s[10:11]
	v_bfe_u32 v24, v24, 14, 7
	s_waitcnt vmcnt(2)
	v_and_b32_e32 v29, 1, v28
	v_cmp_eq_u16_e32 vcc, 0, v29
	s_waitcnt vmcnt(0)
	v_mul_i32_i24_sdwa v26, v22, sext(v18) dst_sel:DWORD dst_unused:UNUSED_PAD src0_sel:BYTE_0 src1_sel:BYTE_0
	v_sub_u32_e32 v29, 0, v26
	v_cndmask_b32_e32 v26, v29, v26, vcc
	v_mul_i32_i24_sdwa v29, v22, sext(v18) dst_sel:DWORD dst_unused:UNUSED_PAD src0_sel:BYTE_1 src1_sel:BYTE_1
	v_and_b32_e32 v30, 2, v28
	v_cmp_eq_u16_e32 vcc, 0, v30
	v_sub_u32_e32 v30, 0, v29
	s_nop 0
	v_cndmask_b32_e32 v29, v30, v29, vcc
	v_add_u32_e32 v26, v29, v26
	v_mul_i32_i24_sdwa v29, v22, sext(v18) dst_sel:DWORD dst_unused:UNUSED_PAD src0_sel:BYTE_2 src1_sel:BYTE_2
	v_and_b32_e32 v30, 4, v28
	v_cmp_eq_u16_e32 vcc, 0, v30
	v_sub_u32_e32 v30, 0, v29
	v_mul_i32_i24_sdwa v18, v22, sext(v18) dst_sel:DWORD dst_unused:UNUSED_PAD src0_sel:BYTE_3 src1_sel:BYTE_3
	v_and_b32_e32 v22, 8, v28
	v_cndmask_b32_e32 v29, v30, v29, vcc
	v_cmp_eq_u16_e32 vcc, 0, v22
	v_sub_u32_e32 v22, 0, v18
	s_nop 0
	v_cndmask_b32_e32 v18, v22, v18, vcc
	v_add3_u32 v18, v26, v29, v18
	v_mul_i32_i24_sdwa v22, v23, sext(v19) dst_sel:DWORD dst_unused:UNUSED_PAD src0_sel:BYTE_0 src1_sel:BYTE_0
	v_and_b32_e32 v26, 16, v28
	v_cmp_eq_u16_e32 vcc, 0, v26
	v_sub_u32_e32 v26, 0, v22
	v_and_b32_e32 v29, 32, v28
	v_cndmask_b32_e32 v22, v26, v22, vcc
	v_mul_i32_i24_sdwa v26, v23, sext(v19) dst_sel:DWORD dst_unused:UNUSED_PAD src0_sel:BYTE_1 src1_sel:BYTE_1
	v_cmp_eq_u16_e32 vcc, 0, v29
	v_sub_u32_e32 v29, 0, v26
	s_nop 0
	v_cndmask_b32_e32 v26, v29, v26, vcc
	v_add3_u32 v18, v18, v22, v26
	v_mul_i32_i24_sdwa v22, v23, sext(v19) dst_sel:DWORD dst_unused:UNUSED_PAD src0_sel:BYTE_2 src1_sel:BYTE_2
	v_cmp_gt_u32_e32 vcc, 64, v27
	v_sub_u32_e32 v26, 0, v22
	v_mul_i32_i24_sdwa v19, v23, sext(v19) dst_sel:DWORD dst_unused:UNUSED_PAD src0_sel:BYTE_3 src1_sel:BYTE_3
	v_cndmask_b32_e32 v22, v26, v22, vcc
	v_sub_u32_e32 v23, 0, v19
	v_cmp_gt_i16_e32 vcc, 0, v28
	v_bfe_u32 v26, v17, 7, 7
	s_nop 0
	v_cndmask_b32_e32 v19, v19, v23, vcc
	v_add3_u32 v22, v18, v22, v19
	v_lshlrev_b32_sdwa v23, v16, v25 dst_sel:DWORD dst_unused:UNUSED_PAD src0_sel:DWORD src1_sel:BYTE_1
	global_load_sbyte v27, v26, s[12:13]
	global_load_dwordx2 v[18:19], v23, s[10:11]
	s_waitcnt vmcnt(1)
	v_and_b32_e32 v28, 1, v27
	s_waitcnt vmcnt(0)
	v_mul_i32_i24_sdwa v23, v18, sext(v20) dst_sel:DWORD dst_unused:UNUSED_PAD src0_sel:BYTE_0 src1_sel:BYTE_0
	v_cmp_eq_u16_e32 vcc, 0, v28
	v_sub_u32_e32 v28, 0, v23
	v_and_b32_e32 v29, 2, v27
	v_cndmask_b32_e32 v23, v28, v23, vcc
	v_mul_i32_i24_sdwa v28, v18, sext(v20) dst_sel:DWORD dst_unused:UNUSED_PAD src0_sel:BYTE_1 src1_sel:BYTE_1
	v_cmp_eq_u16_e32 vcc, 0, v29
	v_sub_u32_e32 v29, 0, v28
	s_nop 0
	v_cndmask_b32_e32 v28, v29, v28, vcc
	v_add3_u32 v22, v22, v23, v28
	v_mul_i32_i24_sdwa v23, v18, sext(v20) dst_sel:DWORD dst_unused:UNUSED_PAD src0_sel:BYTE_2 src1_sel:BYTE_2
	v_and_b32_e32 v28, 4, v27
	v_cmp_eq_u16_e32 vcc, 0, v28
	v_sub_u32_e32 v28, 0, v23
	v_mul_i32_i24_sdwa v18, v18, sext(v20) dst_sel:DWORD dst_unused:UNUSED_PAD src0_sel:BYTE_3 src1_sel:BYTE_3
	v_and_b32_e32 v20, 8, v27
	v_cndmask_b32_e32 v23, v28, v23, vcc
	v_cmp_eq_u16_e32 vcc, 0, v20
	v_sub_u32_e32 v20, 0, v18
	s_nop 0
	v_cndmask_b32_e32 v18, v20, v18, vcc
	v_add3_u32 v18, v22, v23, v18
	v_mul_i32_i24_sdwa v20, v19, sext(v21) dst_sel:DWORD dst_unused:UNUSED_PAD src0_sel:BYTE_0 src1_sel:BYTE_0
	v_and_b32_e32 v22, 16, v27
	v_cmp_eq_u16_e32 vcc, 0, v22
	v_sub_u32_e32 v22, 0, v20
	v_and_b32_e32 v23, 32, v27
	v_cndmask_b32_e32 v20, v22, v20, vcc
	v_mul_i32_i24_sdwa v22, v19, sext(v21) dst_sel:DWORD dst_unused:UNUSED_PAD src0_sel:BYTE_1 src1_sel:BYTE_1
	v_cmp_eq_u16_e32 vcc, 0, v23
	v_sub_u32_e32 v23, 0, v22
	s_nop 0
	v_cndmask_b32_e32 v22, v23, v22, vcc
	v_add3_u32 v18, v18, v20, v22
	v_mul_i32_i24_sdwa v20, v19, sext(v21) dst_sel:DWORD dst_unused:UNUSED_PAD src0_sel:BYTE_2 src1_sel:BYTE_2
	v_cmp_gt_u32_e32 vcc, 64, v26
	v_sub_u32_e32 v22, 0, v20
	v_mul_i32_i24_sdwa v19, v19, sext(v21) dst_sel:DWORD dst_unused:UNUSED_PAD src0_sel:BYTE_3 src1_sel:BYTE_3
	v_cndmask_b32_e32 v20, v22, v20, vcc
	v_sub_u32_e32 v21, 0, v19
	v_cmp_gt_i16_e32 vcc, 0, v27
	v_lshlrev_b32_sdwa v27, v16, v25 dst_sel:DWORD dst_unused:UNUSED_PAD src0_sel:DWORD src1_sel:BYTE_2
	s_nop 0
	v_cndmask_b32_e32 v19, v19, v21, vcc
	v_add3_u32 v26, v18, v20, v19
	global_load_sbyte v28, v24, s[12:13]
	global_load_dwordx4 v[18:21], v[6:7], off offset:20
	global_load_dwordx2 v[22:23], v27, s[10:11]
	s_waitcnt vmcnt(2)
	v_and_b32_e32 v29, 1, v28
	v_cmp_eq_u16_e32 vcc, 0, v29
	s_waitcnt vmcnt(0)
	v_mul_i32_i24_sdwa v27, v22, sext(v18) dst_sel:DWORD dst_unused:UNUSED_PAD src0_sel:BYTE_0 src1_sel:BYTE_0
	v_sub_u32_e32 v29, 0, v27
	v_cndmask_b32_e32 v27, v29, v27, vcc
	v_mul_i32_i24_sdwa v29, v22, sext(v18) dst_sel:DWORD dst_unused:UNUSED_PAD src0_sel:BYTE_1 src1_sel:BYTE_1
	v_and_b32_e32 v30, 2, v28
	v_cmp_eq_u16_e32 vcc, 0, v30
	v_sub_u32_e32 v30, 0, v29
	s_nop 0
	v_cndmask_b32_e32 v29, v30, v29, vcc
	v_add3_u32 v26, v26, v27, v29
	v_mul_i32_i24_sdwa v27, v22, sext(v18) dst_sel:DWORD dst_unused:UNUSED_PAD src0_sel:BYTE_2 src1_sel:BYTE_2
	v_and_b32_e32 v29, 4, v28
	v_cmp_eq_u16_e32 vcc, 0, v29
	v_sub_u32_e32 v29, 0, v27
	v_mul_i32_i24_sdwa v18, v22, sext(v18) dst_sel:DWORD dst_unused:UNUSED_PAD src0_sel:BYTE_3 src1_sel:BYTE_3
	v_and_b32_e32 v22, 8, v28
	v_cndmask_b32_e32 v27, v29, v27, vcc
	v_cmp_eq_u16_e32 vcc, 0, v22
	v_sub_u32_e32 v22, 0, v18
	s_nop 0
	v_cndmask_b32_e32 v18, v22, v18, vcc
	v_add3_u32 v18, v26, v27, v18
	v_mul_i32_i24_sdwa v22, v23, sext(v19) dst_sel:DWORD dst_unused:UNUSED_PAD src0_sel:BYTE_0 src1_sel:BYTE_0
	v_and_b32_e32 v26, 16, v28
	v_cmp_eq_u16_e32 vcc, 0, v26
	v_sub_u32_e32 v26, 0, v22
	v_and_b32_e32 v27, 32, v28
	v_cndmask_b32_e32 v22, v26, v22, vcc
	v_mul_i32_i24_sdwa v26, v23, sext(v19) dst_sel:DWORD dst_unused:UNUSED_PAD src0_sel:BYTE_1 src1_sel:BYTE_1
	v_cmp_eq_u16_e32 vcc, 0, v27
	v_sub_u32_e32 v27, 0, v26
	s_nop 0
	v_cndmask_b32_e32 v26, v27, v26, vcc
	v_add3_u32 v18, v18, v22, v26
	v_mul_i32_i24_sdwa v22, v23, sext(v19) dst_sel:DWORD dst_unused:UNUSED_PAD src0_sel:BYTE_2 src1_sel:BYTE_2
	v_cmp_gt_u32_e32 vcc, 64, v24
	v_sub_u32_e32 v24, 0, v22
	v_mul_i32_i24_sdwa v19, v23, sext(v19) dst_sel:DWORD dst_unused:UNUSED_PAD src0_sel:BYTE_3 src1_sel:BYTE_3
	v_cndmask_b32_e32 v22, v24, v22, vcc
	v_sub_u32_e32 v23, 0, v19
	v_cmp_gt_i16_e32 vcc, 0, v28
	v_bfe_u32 v24, v17, 21, 7
	v_lshrrev_b32_e32 v17, 28, v17
	v_cndmask_b32_e32 v19, v19, v23, vcc
	v_add3_u32 v22, v18, v22, v19
	v_lshlrev_b32_sdwa v23, v16, v25 dst_sel:DWORD dst_unused:UNUSED_PAD src0_sel:DWORD src1_sel:BYTE_3
	global_load_sbyte v25, v24, s[12:13]
	global_load_dwordx2 v[18:19], v23, s[10:11]
	s_waitcnt vmcnt(1)
	v_and_b32_e32 v26, 1, v25
	global_load_ushort v8, v[8:9], off
	s_waitcnt vmcnt(1)
	v_mul_i32_i24_sdwa v23, v18, sext(v20) dst_sel:DWORD dst_unused:UNUSED_PAD src0_sel:BYTE_0 src1_sel:BYTE_0
	global_load_ushort v6, v[6:7], off
	v_cmp_eq_u16_e32 vcc, 0, v26
	v_sub_u32_e32 v26, 0, v23
	v_and_b32_e32 v27, 2, v25
	v_cndmask_b32_e32 v23, v26, v23, vcc
	v_mul_i32_i24_sdwa v26, v18, sext(v20) dst_sel:DWORD dst_unused:UNUSED_PAD src0_sel:BYTE_1 src1_sel:BYTE_1
	v_cmp_eq_u16_e32 vcc, 0, v27
	v_sub_u32_e32 v27, 0, v26
	v_cvt_f32_ubyte0_e32 v9, v17
	v_cndmask_b32_e32 v26, v27, v26, vcc
	v_add3_u32 v22, v22, v23, v26
	v_mul_i32_i24_sdwa v23, v18, sext(v20) dst_sel:DWORD dst_unused:UNUSED_PAD src0_sel:BYTE_2 src1_sel:BYTE_2
	v_and_b32_e32 v26, 4, v25
	v_cmp_eq_u16_e32 vcc, 0, v26
	v_sub_u32_e32 v26, 0, v23
	v_mul_i32_i24_sdwa v18, v18, sext(v20) dst_sel:DWORD dst_unused:UNUSED_PAD src0_sel:BYTE_3 src1_sel:BYTE_3
	v_and_b32_e32 v20, 8, v25
	v_cndmask_b32_e32 v23, v26, v23, vcc
	v_cmp_eq_u16_e32 vcc, 0, v20
	v_sub_u32_e32 v20, 0, v18
	v_add_f32_e32 v9, 0.5, v9
	v_cndmask_b32_e32 v18, v20, v18, vcc
	v_add3_u32 v18, v22, v23, v18
	v_mul_i32_i24_sdwa v20, v19, sext(v21) dst_sel:DWORD dst_unused:UNUSED_PAD src0_sel:BYTE_0 src1_sel:BYTE_0
	v_and_b32_e32 v22, 16, v25
	v_cmp_eq_u16_e32 vcc, 0, v22
	v_sub_u32_e32 v22, 0, v20
	v_and_b32_e32 v23, 32, v25
	v_cndmask_b32_e32 v20, v22, v20, vcc
	v_mul_i32_i24_sdwa v22, v19, sext(v21) dst_sel:DWORD dst_unused:UNUSED_PAD src0_sel:BYTE_1 src1_sel:BYTE_1
	v_cmp_eq_u16_e32 vcc, 0, v23
	v_sub_u32_e32 v23, 0, v22
	s_waitcnt vmcnt(1)
	v_cvt_f32_f16_e32 v8, v8
	v_cndmask_b32_e32 v22, v23, v22, vcc
	v_add3_u32 v18, v18, v20, v22
	v_mul_i32_i24_sdwa v20, v19, sext(v21) dst_sel:DWORD dst_unused:UNUSED_PAD src0_sel:BYTE_2 src1_sel:BYTE_2
	v_cmp_gt_u32_e32 vcc, 64, v24
	v_sub_u32_e32 v22, 0, v20
	v_mul_i32_i24_sdwa v19, v19, sext(v21) dst_sel:DWORD dst_unused:UNUSED_PAD src0_sel:BYTE_3 src1_sel:BYTE_3
	v_cndmask_b32_e32 v20, v22, v20, vcc
	v_sub_u32_e32 v21, 0, v19
	v_cmp_gt_i16_e32 vcc, 0, v25
	s_waitcnt vmcnt(0)
	v_cvt_f32_f16_e32 v6, v6
	v_mul_f32_e32 v8, v9, v8
	v_cndmask_b32_e32 v19, v19, v21, vcc
	v_add3_u32 v18, v18, v20, v19
	v_cvt_f32_i32_e32 v7, v18
	v_mul_f32_e32 v6, v8, v6
	v_mul_f32_e32 v6, 0x3e800000, v6
	v_cmp_le_u32_e32 vcc, s2, v12
	v_fmac_f32_e32 v13, v6, v7
	s_or_b64 s[0:1], vcc, s[0:1]
	s_andn2_b64 exec, exec, s[0:1]
	s_cbranch_execnz .LBB68_3
; %bb.4:
	s_or_b64 exec, exec, s[0:1]
.LBB68_5:
	s_or_b64 exec, exec, s[8:9]
	v_mbcnt_lo_u32_b32 v0, -1, 0
	v_mbcnt_hi_u32_b32 v1, -1, v0
	v_and_b32_e32 v0, 64, v1
	v_add_u32_e32 v2, 64, v0
	v_xor_b32_e32 v0, 32, v1
	v_cmp_lt_i32_e32 vcc, v0, v2
	v_xor_b32_e32 v3, 16, v1
	v_xor_b32_e32 v4, 8, v1
	v_cndmask_b32_e32 v0, v1, v0, vcc
	v_lshlrev_b32_e32 v0, 2, v0
	ds_bpermute_b32 v0, v0, v13
	v_cmp_lt_i32_e32 vcc, v3, v2
	s_waitcnt lgkmcnt(0)
	v_add_f32_e32 v0, v13, v0
	v_cndmask_b32_e32 v3, v1, v3, vcc
	v_lshlrev_b32_e32 v3, 2, v3
	ds_bpermute_b32 v3, v3, v0
	v_cmp_lt_i32_e32 vcc, v4, v2
	s_waitcnt lgkmcnt(0)
	v_add_f32_e32 v0, v0, v3
	v_cndmask_b32_e32 v3, v1, v4, vcc
	v_lshlrev_b32_e32 v3, 2, v3
	ds_bpermute_b32 v3, v3, v0
	v_xor_b32_e32 v4, 4, v1
	v_cmp_lt_i32_e32 vcc, v4, v2
	s_waitcnt lgkmcnt(0)
	v_add_f32_e32 v0, v0, v3
	v_cndmask_b32_e32 v3, v1, v4, vcc
	v_lshlrev_b32_e32 v3, 2, v3
	ds_bpermute_b32 v3, v3, v0
	v_xor_b32_e32 v4, 2, v1
	;; [unrolled: 7-line block ×3, first 2 shown]
	v_cmp_lt_i32_e32 vcc, v4, v2
	s_waitcnt lgkmcnt(0)
	v_add_f32_e32 v0, v0, v3
	v_cndmask_b32_e32 v1, v1, v4, vcc
	v_lshlrev_b32_e32 v1, 2, v1
	ds_bpermute_b32 v1, v1, v0
	v_cmp_eq_u32_e32 vcc, 0, v11
	s_and_b64 exec, exec, vcc
	s_cbranch_execz .LBB68_7
; %bb.6:
	s_mul_i32 s3, s3, s5
	s_waitcnt lgkmcnt(0)
	v_add_f32_e32 v2, v0, v1
	v_add_u32_e32 v0, s3, v10
	v_mov_b32_e32 v1, 0
	v_lshl_add_u64 v[0:1], v[0:1], 2, s[6:7]
	global_store_dword v[0:1], v2, off
.LBB68_7:
	s_endpgm
	.section	.rodata,"a",@progbits
	.p2align	6, 0x0
	.amdhsa_kernel _ZL13mul_mat_vec_qIfLi256ELi8E13block_iq2_xxsLi1EXadL_ZL20vec_dot_iq2_xxs_q8_1PKvPK10block_q8_1RKiEEEvS2_S2_PT_iii
		.amdhsa_group_segment_fixed_size 0
		.amdhsa_private_segment_fixed_size 0
		.amdhsa_kernarg_size 296
		.amdhsa_user_sgpr_count 2
		.amdhsa_user_sgpr_dispatch_ptr 0
		.amdhsa_user_sgpr_queue_ptr 0
		.amdhsa_user_sgpr_kernarg_segment_ptr 1
		.amdhsa_user_sgpr_dispatch_id 0
		.amdhsa_user_sgpr_kernarg_preload_length 0
		.amdhsa_user_sgpr_kernarg_preload_offset 0
		.amdhsa_user_sgpr_private_segment_size 0
		.amdhsa_uses_dynamic_stack 0
		.amdhsa_enable_private_segment 0
		.amdhsa_system_sgpr_workgroup_id_x 1
		.amdhsa_system_sgpr_workgroup_id_y 1
		.amdhsa_system_sgpr_workgroup_id_z 0
		.amdhsa_system_sgpr_workgroup_info 0
		.amdhsa_system_vgpr_workitem_id 1
		.amdhsa_next_free_vgpr 31
		.amdhsa_next_free_sgpr 16
		.amdhsa_accum_offset 32
		.amdhsa_reserve_vcc 1
		.amdhsa_float_round_mode_32 0
		.amdhsa_float_round_mode_16_64 0
		.amdhsa_float_denorm_mode_32 3
		.amdhsa_float_denorm_mode_16_64 3
		.amdhsa_dx10_clamp 1
		.amdhsa_ieee_mode 1
		.amdhsa_fp16_overflow 0
		.amdhsa_tg_split 0
		.amdhsa_exception_fp_ieee_invalid_op 0
		.amdhsa_exception_fp_denorm_src 0
		.amdhsa_exception_fp_ieee_div_zero 0
		.amdhsa_exception_fp_ieee_overflow 0
		.amdhsa_exception_fp_ieee_underflow 0
		.amdhsa_exception_fp_ieee_inexact 0
		.amdhsa_exception_int_div_zero 0
	.end_amdhsa_kernel
	.section	.text._ZL13mul_mat_vec_qIfLi256ELi8E13block_iq2_xxsLi1EXadL_ZL20vec_dot_iq2_xxs_q8_1PKvPK10block_q8_1RKiEEEvS2_S2_PT_iii,"axG",@progbits,_ZL13mul_mat_vec_qIfLi256ELi8E13block_iq2_xxsLi1EXadL_ZL20vec_dot_iq2_xxs_q8_1PKvPK10block_q8_1RKiEEEvS2_S2_PT_iii,comdat
.Lfunc_end68:
	.size	_ZL13mul_mat_vec_qIfLi256ELi8E13block_iq2_xxsLi1EXadL_ZL20vec_dot_iq2_xxs_q8_1PKvPK10block_q8_1RKiEEEvS2_S2_PT_iii, .Lfunc_end68-_ZL13mul_mat_vec_qIfLi256ELi8E13block_iq2_xxsLi1EXadL_ZL20vec_dot_iq2_xxs_q8_1PKvPK10block_q8_1RKiEEEvS2_S2_PT_iii
                                        ; -- End function
	.section	.AMDGPU.csdata,"",@progbits
; Kernel info:
; codeLenInByte = 1776
; NumSgprs: 22
; NumVgprs: 31
; NumAgprs: 0
; TotalNumVgprs: 31
; ScratchSize: 0
; MemoryBound: 0
; FloatMode: 240
; IeeeMode: 1
; LDSByteSize: 0 bytes/workgroup (compile time only)
; SGPRBlocks: 2
; VGPRBlocks: 3
; NumSGPRsForWavesPerEU: 22
; NumVGPRsForWavesPerEU: 31
; AccumOffset: 32
; Occupancy: 8
; WaveLimiterHint : 0
; COMPUTE_PGM_RSRC2:SCRATCH_EN: 0
; COMPUTE_PGM_RSRC2:USER_SGPR: 2
; COMPUTE_PGM_RSRC2:TRAP_HANDLER: 0
; COMPUTE_PGM_RSRC2:TGID_X_EN: 1
; COMPUTE_PGM_RSRC2:TGID_Y_EN: 1
; COMPUTE_PGM_RSRC2:TGID_Z_EN: 0
; COMPUTE_PGM_RSRC2:TIDIG_COMP_CNT: 1
; COMPUTE_PGM_RSRC3_GFX90A:ACCUM_OFFSET: 7
; COMPUTE_PGM_RSRC3_GFX90A:TG_SPLIT: 0
	.section	.text._ZL13mul_mat_vec_qIfLi256ELi8E12block_iq2_xsLi1EXadL_ZL19vec_dot_iq2_xs_q8_1PKvPK10block_q8_1RKiEEEvS2_S2_PT_iii,"axG",@progbits,_ZL13mul_mat_vec_qIfLi256ELi8E12block_iq2_xsLi1EXadL_ZL19vec_dot_iq2_xs_q8_1PKvPK10block_q8_1RKiEEEvS2_S2_PT_iii,comdat
	.globl	_ZL13mul_mat_vec_qIfLi256ELi8E12block_iq2_xsLi1EXadL_ZL19vec_dot_iq2_xs_q8_1PKvPK10block_q8_1RKiEEEvS2_S2_PT_iii ; -- Begin function _ZL13mul_mat_vec_qIfLi256ELi8E12block_iq2_xsLi1EXadL_ZL19vec_dot_iq2_xs_q8_1PKvPK10block_q8_1RKiEEEvS2_S2_PT_iii
	.p2align	8
	.type	_ZL13mul_mat_vec_qIfLi256ELi8E12block_iq2_xsLi1EXadL_ZL19vec_dot_iq2_xs_q8_1PKvPK10block_q8_1RKiEEEvS2_S2_PT_iii,@function
_ZL13mul_mat_vec_qIfLi256ELi8E12block_iq2_xsLi1EXadL_ZL19vec_dot_iq2_xs_q8_1PKvPK10block_q8_1RKiEEEvS2_S2_PT_iii: ; @_ZL13mul_mat_vec_qIfLi256ELi8E12block_iq2_xsLi1EXadL_ZL19vec_dot_iq2_xs_q8_1PKvPK10block_q8_1RKiEEEvS2_S2_PT_iii
; %bb.0:
	s_load_dword s8, s[0:1], 0x34
	s_load_dwordx4 s[4:7], s[0:1], 0x18
	v_bfe_u32 v1, v0, 10, 10
	s_waitcnt lgkmcnt(0)
	s_lshr_b32 s7, s8, 16
	s_mul_i32 s2, s2, s7
	v_add_u32_e32 v14, s2, v1
	s_cmp_lt_u32 s3, s6
	v_cmp_gt_u32_e32 vcc, s5, v14
	s_cselect_b64 s[6:7], -1, 0
	s_and_b64 s[6:7], s[6:7], vcc
	s_and_saveexec_b64 s[8:9], s[6:7]
	s_cbranch_execz .LBB69_7
; %bb.1:
	s_load_dwordx2 s[6:7], s[0:1], 0x10
	s_ashr_i32 s2, s4, 31
	s_lshr_b32 s2, s2, 24
	s_add_i32 s2, s4, s2
	v_and_b32_e32 v15, 0x3ff, v0
	s_ashr_i32 s2, s2, 8
	v_lshrrev_b32_e32 v16, 3, v15
	v_cmp_gt_u32_e32 vcc, s2, v16
	v_mov_b32_e32 v17, 0
	s_and_saveexec_b64 s[8:9], vcc
	s_cbranch_execz .LBB69_5
; %bb.2:
	s_load_dwordx4 s[12:15], s[0:1], 0x0
	s_add_i32 s0, s4, 0x1ff
	s_ashr_i32 s1, s0, 31
	s_lshr_b32 s1, s1, 23
	s_add_i32 s0, s0, s1
	s_ashr_i32 s0, s0, 9
	v_and_b32_e32 v0, 7, v15
	s_mul_i32 s4, s3, s0
	v_lshlrev_b32_e32 v6, 2, v0
	v_mov_b32_e32 v1, 0
	s_waitcnt lgkmcnt(0)
	v_mad_u64_u32 v[2:3], s[0:1], v0, 36, s[14:15]
	v_lshlrev_b32_e32 v4, 3, v16
	v_mul_lo_u32 v18, v14, s2
	v_lshl_add_u32 v19, s4, 4, v4
	s_mov_b64 s[0:1], 0
	s_movk_i32 s4, 0x4a
	v_mov_b64_e32 v[4:5], s[12:13]
	v_lshlrev_b32_e32 v6, 1, v6
	v_mov_b32_e32 v7, v1
	v_mov_b32_e32 v17, v1
	s_getpc_b64 s[12:13]
	s_add_u32 s12, s12, _ZL12ksigns_iq2xs@rel32@lo+4
	s_addc_u32 s13, s13, _ZL12ksigns_iq2xs@rel32@hi+12
.LBB69_3:                               ; =>This Inner Loop Header: Depth=1
	v_add_u32_e32 v8, v18, v16
	v_mad_i64_i32 v[10:11], s[10:11], v8, s4, v[4:5]
	v_lshl_add_u64 v[24:25], v[10:11], 0, v[0:1]
	v_lshl_add_u64 v[22:23], v[10:11], 0, v[6:7]
	global_load_ubyte v20, v[24:25], off offset:66
	global_load_dwordx2 v[12:13], v[22:23], off offset:2
	v_mad_i64_i32 v[8:9], s[10:11], v19, 36, v[2:3]
	s_getpc_b64 s[10:11]
	s_add_u32 s10, s10, _ZL10iq2xs_grid@rel32@lo+4
	s_addc_u32 s11, s11, _ZL10iq2xs_grid@rel32@hi+12
	v_add_u32_e32 v16, 8, v16
	v_add_u32_e32 v19, 64, v19
	s_waitcnt vmcnt(0)
	v_and_b32_e32 v21, 0x1ff, v12
	v_bfe_u32 v28, v12, 9, 7
	v_lshlrev_b32_e32 v21, 3, v21
	global_load_sbyte v29, v28, s[12:13]
	global_load_dwordx4 v[22:25], v[8:9], off offset:4
	global_load_dwordx2 v[26:27], v21, s[10:11]
	v_bfe_u32 v36, v13, 9, 7
	s_waitcnt vmcnt(2)
	v_and_b32_e32 v28, 1, v29
	v_cmp_eq_u16_e32 vcc, 0, v28
	s_waitcnt vmcnt(0)
	v_mul_i32_i24_sdwa v21, v26, sext(v22) dst_sel:DWORD dst_unused:UNUSED_PAD src0_sel:BYTE_0 src1_sel:BYTE_0
	v_sub_u32_e32 v28, 0, v21
	v_cndmask_b32_e32 v21, v28, v21, vcc
	v_mul_i32_i24_sdwa v28, v26, sext(v22) dst_sel:DWORD dst_unused:UNUSED_PAD src0_sel:BYTE_1 src1_sel:BYTE_1
	v_and_b32_e32 v30, 2, v29
	v_cmp_eq_u16_e32 vcc, 0, v30
	v_sub_u32_e32 v30, 0, v28
	s_nop 0
	v_cndmask_b32_e32 v28, v30, v28, vcc
	v_add_u32_e32 v21, v28, v21
	v_mul_i32_i24_sdwa v28, v26, sext(v22) dst_sel:DWORD dst_unused:UNUSED_PAD src0_sel:BYTE_2 src1_sel:BYTE_2
	v_and_b32_e32 v30, 4, v29
	v_cmp_eq_u16_e32 vcc, 0, v30
	v_sub_u32_e32 v30, 0, v28
	v_mul_i32_i24_sdwa v22, v26, sext(v22) dst_sel:DWORD dst_unused:UNUSED_PAD src0_sel:BYTE_3 src1_sel:BYTE_3
	v_and_b32_e32 v26, 8, v29
	v_cndmask_b32_e32 v28, v30, v28, vcc
	v_cmp_eq_u16_e32 vcc, 0, v26
	v_sub_u32_e32 v26, 0, v22
	s_nop 0
	v_cndmask_b32_e32 v22, v26, v22, vcc
	v_add3_u32 v21, v21, v28, v22
	v_mul_i32_i24_sdwa v22, v27, sext(v23) dst_sel:DWORD dst_unused:UNUSED_PAD src0_sel:BYTE_0 src1_sel:BYTE_0
	v_and_b32_e32 v26, 16, v29
	v_cmp_eq_u16_e32 vcc, 0, v26
	v_sub_u32_e32 v26, 0, v22
	v_and_b32_e32 v28, 32, v29
	v_cndmask_b32_e32 v22, v26, v22, vcc
	v_mul_i32_i24_sdwa v26, v27, sext(v23) dst_sel:DWORD dst_unused:UNUSED_PAD src0_sel:BYTE_1 src1_sel:BYTE_1
	v_cmp_eq_u16_e32 vcc, 0, v28
	v_sub_u32_e32 v28, 0, v26
	s_nop 0
	v_cndmask_b32_e32 v26, v28, v26, vcc
	v_add3_u32 v21, v21, v22, v26
	v_mul_i32_i24_sdwa v22, v27, sext(v23) dst_sel:DWORD dst_unused:UNUSED_PAD src0_sel:BYTE_2 src1_sel:BYTE_2
	v_sub_u32_e32 v26, 0, v22
	v_cmp_gt_i16_e32 vcc, 0, v12
	v_mul_i32_i24_sdwa v23, v27, sext(v23) dst_sel:DWORD dst_unused:UNUSED_PAD src0_sel:BYTE_3 src1_sel:BYTE_3
	v_lshrrev_b32_e32 v27, 25, v12
	v_cndmask_b32_e32 v22, v22, v26, vcc
	v_sub_u32_e32 v26, 0, v23
	v_cmp_gt_i16_e32 vcc, 0, v29
	s_nop 1
	v_cndmask_b32_e32 v23, v23, v26, vcc
	v_add3_u32 v21, v21, v22, v23
	v_lshrrev_b32_e32 v22, 13, v12
	v_and_b32_e32 v26, 0xff8, v22
	global_load_sbyte v28, v27, s[12:13]
	global_load_dwordx2 v[22:23], v26, s[10:11]
	s_waitcnt vmcnt(1)
	v_and_b32_e32 v27, 1, v28
	s_waitcnt vmcnt(0)
	v_mul_i32_i24_sdwa v26, v22, sext(v24) dst_sel:DWORD dst_unused:UNUSED_PAD src0_sel:BYTE_0 src1_sel:BYTE_0
	v_cmp_eq_u16_e32 vcc, 0, v27
	v_sub_u32_e32 v27, 0, v26
	s_nop 0
	v_cndmask_b32_e32 v29, v27, v26, vcc
	v_mul_i32_i24_sdwa v26, v22, sext(v24) dst_sel:DWORD dst_unused:UNUSED_PAD src0_sel:BYTE_1 src1_sel:BYTE_1
	v_and_b32_e32 v27, 2, v28
	v_cmp_eq_u16_e32 vcc, 0, v27
	v_sub_u32_e32 v27, 0, v26
	s_nop 0
	v_cndmask_b32_e32 v30, v27, v26, vcc
	v_mul_i32_i24_sdwa v26, v22, sext(v24) dst_sel:DWORD dst_unused:UNUSED_PAD src0_sel:BYTE_2 src1_sel:BYTE_2
	v_and_b32_e32 v27, 4, v28
	v_cmp_eq_u16_e32 vcc, 0, v27
	v_sub_u32_e32 v27, 0, v26
	v_mul_i32_i24_sdwa v22, v22, sext(v24) dst_sel:DWORD dst_unused:UNUSED_PAD src0_sel:BYTE_3 src1_sel:BYTE_3
	v_and_b32_e32 v24, 8, v28
	v_cndmask_b32_e32 v31, v27, v26, vcc
	v_cmp_eq_u16_e32 vcc, 0, v24
	v_sub_u32_e32 v24, 0, v22
	v_add3_u32 v21, v21, v29, v30
	v_cndmask_b32_e32 v32, v24, v22, vcc
	v_mul_i32_i24_sdwa v22, v23, sext(v25) dst_sel:DWORD dst_unused:UNUSED_PAD src0_sel:BYTE_0 src1_sel:BYTE_0
	v_and_b32_e32 v24, 16, v28
	v_cmp_eq_u16_e32 vcc, 0, v24
	v_sub_u32_e32 v24, 0, v22
	v_add3_u32 v21, v21, v31, v32
	v_cndmask_b32_e32 v33, v24, v22, vcc
	v_mul_i32_i24_sdwa v22, v23, sext(v25) dst_sel:DWORD dst_unused:UNUSED_PAD src0_sel:BYTE_1 src1_sel:BYTE_1
	v_and_b32_e32 v24, 32, v28
	v_cmp_eq_u16_e32 vcc, 0, v24
	v_sub_u32_e32 v24, 0, v22
	s_nop 0
	v_cndmask_b32_e32 v34, v24, v22, vcc
	v_mul_i32_i24_sdwa v22, v23, sext(v25) dst_sel:DWORD dst_unused:UNUSED_PAD src0_sel:BYTE_2 src1_sel:BYTE_2
	v_sub_u32_e32 v24, 0, v22
	v_cmp_lt_i16_sdwa vcc, v12, v1 src0_sel:WORD_1 src1_sel:DWORD
	v_add3_u32 v21, v21, v33, v34
	s_nop 0
	v_cndmask_b32_e32 v12, v22, v24, vcc
	v_mul_i32_i24_sdwa v22, v23, sext(v25) dst_sel:DWORD dst_unused:UNUSED_PAD src0_sel:BYTE_3 src1_sel:BYTE_3
	v_sub_u32_e32 v23, 0, v22
	v_cmp_gt_i16_e32 vcc, 0, v28
	s_nop 1
	v_cndmask_b32_e32 v28, v22, v23, vcc
	v_and_b32_e32 v22, 0x1ff, v13
	v_lshlrev_b32_e32 v35, 3, v22
	global_load_sbyte v37, v36, s[12:13]
	global_load_dwordx4 v[22:25], v[8:9], off offset:20
	global_load_dwordx2 v[26:27], v35, s[10:11]
	v_add3_u32 v12, v21, v12, v28
	v_lshrrev_b16_e32 v21, 4, v20
	v_and_b32_e32 v20, 15, v20
	s_waitcnt vmcnt(2)
	v_and_b32_e32 v36, 1, v37
	v_cmp_eq_u16_e32 vcc, 0, v36
	s_waitcnt vmcnt(0)
	v_mul_i32_i24_sdwa v35, v26, sext(v22) dst_sel:DWORD dst_unused:UNUSED_PAD src0_sel:BYTE_0 src1_sel:BYTE_0
	v_sub_u32_e32 v36, 0, v35
	v_cndmask_b32_e32 v35, v36, v35, vcc
	v_mul_i32_i24_sdwa v36, v26, sext(v22) dst_sel:DWORD dst_unused:UNUSED_PAD src0_sel:BYTE_1 src1_sel:BYTE_1
	v_and_b32_e32 v38, 2, v37
	v_cmp_eq_u16_e32 vcc, 0, v38
	v_sub_u32_e32 v38, 0, v36
	s_nop 0
	v_cndmask_b32_e32 v36, v38, v36, vcc
	v_add_u32_e32 v35, v36, v35
	v_mul_i32_i24_sdwa v36, v26, sext(v22) dst_sel:DWORD dst_unused:UNUSED_PAD src0_sel:BYTE_2 src1_sel:BYTE_2
	v_and_b32_e32 v38, 4, v37
	v_cmp_eq_u16_e32 vcc, 0, v38
	v_sub_u32_e32 v38, 0, v36
	v_mul_i32_i24_sdwa v22, v26, sext(v22) dst_sel:DWORD dst_unused:UNUSED_PAD src0_sel:BYTE_3 src1_sel:BYTE_3
	v_and_b32_e32 v26, 8, v37
	v_cndmask_b32_e32 v36, v38, v36, vcc
	v_cmp_eq_u16_e32 vcc, 0, v26
	v_sub_u32_e32 v26, 0, v22
	s_nop 0
	v_cndmask_b32_e32 v22, v26, v22, vcc
	v_add3_u32 v22, v35, v36, v22
	v_mul_i32_i24_sdwa v26, v27, sext(v23) dst_sel:DWORD dst_unused:UNUSED_PAD src0_sel:BYTE_0 src1_sel:BYTE_0
	v_and_b32_e32 v35, 16, v37
	v_cmp_eq_u16_e32 vcc, 0, v35
	v_sub_u32_e32 v35, 0, v26
	v_and_b32_e32 v36, 32, v37
	v_cndmask_b32_e32 v26, v35, v26, vcc
	v_mul_i32_i24_sdwa v35, v27, sext(v23) dst_sel:DWORD dst_unused:UNUSED_PAD src0_sel:BYTE_1 src1_sel:BYTE_1
	v_cmp_eq_u16_e32 vcc, 0, v36
	v_sub_u32_e32 v36, 0, v35
	s_nop 0
	v_cndmask_b32_e32 v35, v36, v35, vcc
	v_add3_u32 v22, v22, v26, v35
	v_mul_i32_i24_sdwa v26, v27, sext(v23) dst_sel:DWORD dst_unused:UNUSED_PAD src0_sel:BYTE_2 src1_sel:BYTE_2
	v_sub_u32_e32 v35, 0, v26
	v_cmp_gt_i16_e32 vcc, 0, v13
	v_mul_i32_i24_sdwa v23, v27, sext(v23) dst_sel:DWORD dst_unused:UNUSED_PAD src0_sel:BYTE_3 src1_sel:BYTE_3
	v_sub_u32_e32 v27, 0, v23
	v_cndmask_b32_e32 v26, v26, v35, vcc
	v_cmp_gt_i16_e32 vcc, 0, v37
	v_lshrrev_b32_e32 v35, 25, v13
	s_nop 0
	v_cndmask_b32_e32 v23, v23, v27, vcc
	v_add3_u32 v26, v22, v26, v23
	v_lshrrev_b32_e32 v22, 13, v13
	v_and_b32_e32 v27, 0xff8, v22
	global_load_sbyte v36, v35, s[12:13]
	global_load_dwordx2 v[22:23], v27, s[10:11]
	s_waitcnt vmcnt(1)
	v_and_b32_e32 v35, 1, v36
	global_load_ushort v10, v[10:11], off
	s_waitcnt vmcnt(1)
	v_mul_i32_i24_sdwa v27, v22, sext(v24) dst_sel:DWORD dst_unused:UNUSED_PAD src0_sel:BYTE_0 src1_sel:BYTE_0
	global_load_ushort v8, v[8:9], off
	v_cmp_eq_u16_e32 vcc, 0, v35
	v_sub_u32_e32 v35, 0, v27
	v_and_b32_e32 v37, 2, v36
	v_cndmask_b32_e32 v27, v35, v27, vcc
	v_mul_i32_i24_sdwa v35, v22, sext(v24) dst_sel:DWORD dst_unused:UNUSED_PAD src0_sel:BYTE_1 src1_sel:BYTE_1
	v_cmp_eq_u16_e32 vcc, 0, v37
	v_sub_u32_e32 v37, 0, v35
	v_cvt_f32_ubyte0_e32 v11, v21
	v_cndmask_b32_e32 v35, v37, v35, vcc
	v_add3_u32 v26, v26, v27, v35
	v_mul_i32_i24_sdwa v27, v22, sext(v24) dst_sel:DWORD dst_unused:UNUSED_PAD src0_sel:BYTE_2 src1_sel:BYTE_2
	v_and_b32_e32 v35, 4, v36
	v_cmp_eq_u16_e32 vcc, 0, v35
	v_sub_u32_e32 v35, 0, v27
	v_mul_i32_i24_sdwa v22, v22, sext(v24) dst_sel:DWORD dst_unused:UNUSED_PAD src0_sel:BYTE_3 src1_sel:BYTE_3
	v_and_b32_e32 v24, 8, v36
	v_cndmask_b32_e32 v27, v35, v27, vcc
	v_cmp_eq_u16_e32 vcc, 0, v24
	v_sub_u32_e32 v24, 0, v22
	v_cvt_f32_ubyte0_e32 v9, v20
	v_cndmask_b32_e32 v22, v24, v22, vcc
	v_add3_u32 v22, v26, v27, v22
	v_mul_i32_i24_sdwa v24, v23, sext(v25) dst_sel:DWORD dst_unused:UNUSED_PAD src0_sel:BYTE_0 src1_sel:BYTE_0
	v_and_b32_e32 v26, 16, v36
	v_cmp_eq_u16_e32 vcc, 0, v26
	v_sub_u32_e32 v26, 0, v24
	v_and_b32_e32 v27, 32, v36
	v_cndmask_b32_e32 v24, v26, v24, vcc
	v_mul_i32_i24_sdwa v26, v23, sext(v25) dst_sel:DWORD dst_unused:UNUSED_PAD src0_sel:BYTE_1 src1_sel:BYTE_1
	v_cmp_eq_u16_e32 vcc, 0, v27
	v_sub_u32_e32 v27, 0, v26
	v_add_f32_e32 v11, 0.5, v11
	v_cndmask_b32_e32 v26, v27, v26, vcc
	v_add3_u32 v22, v22, v24, v26
	v_mul_i32_i24_sdwa v24, v23, sext(v25) dst_sel:DWORD dst_unused:UNUSED_PAD src0_sel:BYTE_2 src1_sel:BYTE_2
	v_sub_u32_e32 v26, 0, v24
	v_cmp_lt_i16_sdwa vcc, v13, v1 src0_sel:WORD_1 src1_sel:DWORD
	v_mul_i32_i24_sdwa v23, v23, sext(v25) dst_sel:DWORD dst_unused:UNUSED_PAD src0_sel:BYTE_3 src1_sel:BYTE_3
	v_add_f32_e32 v9, 0.5, v9
	v_cndmask_b32_e32 v13, v24, v26, vcc
	v_sub_u32_e32 v24, 0, v23
	v_cmp_gt_i16_e32 vcc, 0, v36
	s_waitcnt vmcnt(1)
	v_cvt_f32_f16_e32 v10, v10
	v_cndmask_b32_e32 v23, v23, v24, vcc
	s_waitcnt vmcnt(0)
	v_cvt_f32_f16_e32 v8, v8
	v_add3_u32 v13, v22, v13, v23
	v_cmp_le_u32_e32 vcc, s2, v16
	s_or_b64 s[0:1], vcc, s[0:1]
	v_mul_f32_e32 v8, v10, v8
	v_cvt_f32_i32_e32 v10, v12
	v_cvt_f32_i32_e32 v12, v13
	v_mul_f32_e32 v8, 0x3e800000, v8
	v_mul_f32_e32 v11, v11, v12
	v_fmac_f32_e32 v11, v9, v10
	v_fmac_f32_e32 v17, v8, v11
	s_andn2_b64 exec, exec, s[0:1]
	s_cbranch_execnz .LBB69_3
; %bb.4:
	s_or_b64 exec, exec, s[0:1]
.LBB69_5:
	s_or_b64 exec, exec, s[8:9]
	v_mbcnt_lo_u32_b32 v0, -1, 0
	v_mbcnt_hi_u32_b32 v1, -1, v0
	v_and_b32_e32 v0, 64, v1
	v_add_u32_e32 v2, 64, v0
	v_xor_b32_e32 v0, 32, v1
	v_cmp_lt_i32_e32 vcc, v0, v2
	v_xor_b32_e32 v3, 16, v1
	v_xor_b32_e32 v4, 8, v1
	v_cndmask_b32_e32 v0, v1, v0, vcc
	v_lshlrev_b32_e32 v0, 2, v0
	ds_bpermute_b32 v0, v0, v17
	v_cmp_lt_i32_e32 vcc, v3, v2
	s_waitcnt lgkmcnt(0)
	v_add_f32_e32 v0, v17, v0
	v_cndmask_b32_e32 v3, v1, v3, vcc
	v_lshlrev_b32_e32 v3, 2, v3
	ds_bpermute_b32 v3, v3, v0
	v_cmp_lt_i32_e32 vcc, v4, v2
	s_waitcnt lgkmcnt(0)
	v_add_f32_e32 v0, v0, v3
	v_cndmask_b32_e32 v3, v1, v4, vcc
	v_lshlrev_b32_e32 v3, 2, v3
	ds_bpermute_b32 v3, v3, v0
	v_xor_b32_e32 v4, 4, v1
	v_cmp_lt_i32_e32 vcc, v4, v2
	s_waitcnt lgkmcnt(0)
	v_add_f32_e32 v0, v0, v3
	v_cndmask_b32_e32 v3, v1, v4, vcc
	v_lshlrev_b32_e32 v3, 2, v3
	ds_bpermute_b32 v3, v3, v0
	v_xor_b32_e32 v4, 2, v1
	;; [unrolled: 7-line block ×3, first 2 shown]
	v_cmp_lt_i32_e32 vcc, v4, v2
	s_waitcnt lgkmcnt(0)
	v_add_f32_e32 v0, v0, v3
	v_cndmask_b32_e32 v1, v1, v4, vcc
	v_lshlrev_b32_e32 v1, 2, v1
	ds_bpermute_b32 v1, v1, v0
	v_cmp_eq_u32_e32 vcc, 0, v15
	s_and_b64 exec, exec, vcc
	s_cbranch_execz .LBB69_7
; %bb.6:
	s_mul_i32 s3, s3, s5
	s_waitcnt lgkmcnt(0)
	v_add_f32_e32 v2, v0, v1
	v_add_u32_e32 v0, s3, v14
	v_mov_b32_e32 v1, 0
	v_lshl_add_u64 v[0:1], v[0:1], 2, s[6:7]
	global_store_dword v[0:1], v2, off
.LBB69_7:
	s_endpgm
	.section	.rodata,"a",@progbits
	.p2align	6, 0x0
	.amdhsa_kernel _ZL13mul_mat_vec_qIfLi256ELi8E12block_iq2_xsLi1EXadL_ZL19vec_dot_iq2_xs_q8_1PKvPK10block_q8_1RKiEEEvS2_S2_PT_iii
		.amdhsa_group_segment_fixed_size 0
		.amdhsa_private_segment_fixed_size 0
		.amdhsa_kernarg_size 296
		.amdhsa_user_sgpr_count 2
		.amdhsa_user_sgpr_dispatch_ptr 0
		.amdhsa_user_sgpr_queue_ptr 0
		.amdhsa_user_sgpr_kernarg_segment_ptr 1
		.amdhsa_user_sgpr_dispatch_id 0
		.amdhsa_user_sgpr_kernarg_preload_length 0
		.amdhsa_user_sgpr_kernarg_preload_offset 0
		.amdhsa_user_sgpr_private_segment_size 0
		.amdhsa_uses_dynamic_stack 0
		.amdhsa_enable_private_segment 0
		.amdhsa_system_sgpr_workgroup_id_x 1
		.amdhsa_system_sgpr_workgroup_id_y 1
		.amdhsa_system_sgpr_workgroup_id_z 0
		.amdhsa_system_sgpr_workgroup_info 0
		.amdhsa_system_vgpr_workitem_id 1
		.amdhsa_next_free_vgpr 39
		.amdhsa_next_free_sgpr 16
		.amdhsa_accum_offset 40
		.amdhsa_reserve_vcc 1
		.amdhsa_float_round_mode_32 0
		.amdhsa_float_round_mode_16_64 0
		.amdhsa_float_denorm_mode_32 3
		.amdhsa_float_denorm_mode_16_64 3
		.amdhsa_dx10_clamp 1
		.amdhsa_ieee_mode 1
		.amdhsa_fp16_overflow 0
		.amdhsa_tg_split 0
		.amdhsa_exception_fp_ieee_invalid_op 0
		.amdhsa_exception_fp_denorm_src 0
		.amdhsa_exception_fp_ieee_div_zero 0
		.amdhsa_exception_fp_ieee_overflow 0
		.amdhsa_exception_fp_ieee_underflow 0
		.amdhsa_exception_fp_ieee_inexact 0
		.amdhsa_exception_int_div_zero 0
	.end_amdhsa_kernel
	.section	.text._ZL13mul_mat_vec_qIfLi256ELi8E12block_iq2_xsLi1EXadL_ZL19vec_dot_iq2_xs_q8_1PKvPK10block_q8_1RKiEEEvS2_S2_PT_iii,"axG",@progbits,_ZL13mul_mat_vec_qIfLi256ELi8E12block_iq2_xsLi1EXadL_ZL19vec_dot_iq2_xs_q8_1PKvPK10block_q8_1RKiEEEvS2_S2_PT_iii,comdat
.Lfunc_end69:
	.size	_ZL13mul_mat_vec_qIfLi256ELi8E12block_iq2_xsLi1EXadL_ZL19vec_dot_iq2_xs_q8_1PKvPK10block_q8_1RKiEEEvS2_S2_PT_iii, .Lfunc_end69-_ZL13mul_mat_vec_qIfLi256ELi8E12block_iq2_xsLi1EXadL_ZL19vec_dot_iq2_xs_q8_1PKvPK10block_q8_1RKiEEEvS2_S2_PT_iii
                                        ; -- End function
	.section	.AMDGPU.csdata,"",@progbits
; Kernel info:
; codeLenInByte = 1796
; NumSgprs: 22
; NumVgprs: 39
; NumAgprs: 0
; TotalNumVgprs: 39
; ScratchSize: 0
; MemoryBound: 0
; FloatMode: 240
; IeeeMode: 1
; LDSByteSize: 0 bytes/workgroup (compile time only)
; SGPRBlocks: 2
; VGPRBlocks: 4
; NumSGPRsForWavesPerEU: 22
; NumVGPRsForWavesPerEU: 39
; AccumOffset: 40
; Occupancy: 8
; WaveLimiterHint : 0
; COMPUTE_PGM_RSRC2:SCRATCH_EN: 0
; COMPUTE_PGM_RSRC2:USER_SGPR: 2
; COMPUTE_PGM_RSRC2:TRAP_HANDLER: 0
; COMPUTE_PGM_RSRC2:TGID_X_EN: 1
; COMPUTE_PGM_RSRC2:TGID_Y_EN: 1
; COMPUTE_PGM_RSRC2:TGID_Z_EN: 0
; COMPUTE_PGM_RSRC2:TIDIG_COMP_CNT: 1
; COMPUTE_PGM_RSRC3_GFX90A:ACCUM_OFFSET: 9
; COMPUTE_PGM_RSRC3_GFX90A:TG_SPLIT: 0
	.section	.text._ZL13mul_mat_vec_qIfLi256ELi8E13block_iq3_xxsLi1EXadL_ZL20vec_dot_iq3_xxs_q8_1PKvPK10block_q8_1RKiEEEvS2_S2_PT_iii,"axG",@progbits,_ZL13mul_mat_vec_qIfLi256ELi8E13block_iq3_xxsLi1EXadL_ZL20vec_dot_iq3_xxs_q8_1PKvPK10block_q8_1RKiEEEvS2_S2_PT_iii,comdat
	.globl	_ZL13mul_mat_vec_qIfLi256ELi8E13block_iq3_xxsLi1EXadL_ZL20vec_dot_iq3_xxs_q8_1PKvPK10block_q8_1RKiEEEvS2_S2_PT_iii ; -- Begin function _ZL13mul_mat_vec_qIfLi256ELi8E13block_iq3_xxsLi1EXadL_ZL20vec_dot_iq3_xxs_q8_1PKvPK10block_q8_1RKiEEEvS2_S2_PT_iii
	.p2align	8
	.type	_ZL13mul_mat_vec_qIfLi256ELi8E13block_iq3_xxsLi1EXadL_ZL20vec_dot_iq3_xxs_q8_1PKvPK10block_q8_1RKiEEEvS2_S2_PT_iii,@function
_ZL13mul_mat_vec_qIfLi256ELi8E13block_iq3_xxsLi1EXadL_ZL20vec_dot_iq3_xxs_q8_1PKvPK10block_q8_1RKiEEEvS2_S2_PT_iii: ; @_ZL13mul_mat_vec_qIfLi256ELi8E13block_iq3_xxsLi1EXadL_ZL20vec_dot_iq3_xxs_q8_1PKvPK10block_q8_1RKiEEEvS2_S2_PT_iii
; %bb.0:
	s_load_dword s8, s[0:1], 0x34
	s_load_dwordx4 s[4:7], s[0:1], 0x18
	v_bfe_u32 v1, v0, 10, 10
	s_waitcnt lgkmcnt(0)
	s_lshr_b32 s7, s8, 16
	s_mul_i32 s2, s2, s7
	v_add_u32_e32 v18, s2, v1
	s_cmp_lt_u32 s3, s6
	v_cmp_gt_u32_e32 vcc, s5, v18
	s_cselect_b64 s[6:7], -1, 0
	s_and_b64 s[6:7], s[6:7], vcc
	s_and_saveexec_b64 s[8:9], s[6:7]
	s_cbranch_execz .LBB70_7
; %bb.1:
	s_load_dwordx2 s[6:7], s[0:1], 0x10
	s_ashr_i32 s2, s4, 31
	s_lshr_b32 s2, s2, 24
	s_add_i32 s2, s4, s2
	v_and_b32_e32 v19, 0x3ff, v0
	s_ashr_i32 s2, s2, 8
	v_lshrrev_b32_e32 v20, 3, v19
	v_cmp_gt_u32_e32 vcc, s2, v20
	v_mov_b32_e32 v21, 0
	s_and_saveexec_b64 s[8:9], vcc
	s_cbranch_execz .LBB70_5
; %bb.2:
	s_load_dwordx4 s[12:15], s[0:1], 0x0
	s_add_i32 s0, s4, 0x1ff
	s_ashr_i32 s1, s0, 31
	s_lshr_b32 s1, s1, 23
	s_add_i32 s0, s0, s1
	s_ashr_i32 s0, s0, 9
	v_and_b32_e32 v1, 7, v19
	s_mul_i32 s4, s3, s0
	v_lshlrev_b32_e32 v8, 3, v1
	v_mov_b32_e32 v9, 0
	v_lshlrev_b32_e32 v0, 1, v1
	s_waitcnt lgkmcnt(0)
	v_mad_u64_u32 v[10:11], s[0:1], v1, 36, s[14:15]
	v_lshlrev_b32_e32 v1, 3, v20
	v_mul_lo_u32 v22, v18, s2
	v_lshl_add_u32 v23, s4, 4, v1
	s_mov_b64 s[0:1], 0
	s_movk_i32 s4, 0x62
	v_mov_b64_e32 v[12:13], s[12:13]
	v_lshlrev_b32_e32 v14, 1, v0
	v_mov_b32_e32 v15, v9
	s_mov_b32 s14, 0xffff
	s_mov_b32 s15, 0xc060c00
	v_mov_b32_e32 v24, 2
	v_mov_b32_e32 v21, v9
	s_getpc_b64 s[12:13]
	s_add_u32 s12, s12, _ZL11iq3xxs_grid@rel32@lo+4
	s_addc_u32 s13, s13, _ZL11iq3xxs_grid@rel32@hi+12
.LBB70_3:                               ; =>This Inner Loop Header: Depth=1
	v_add_u32_e32 v0, v22, v20
	v_mad_i64_i32 v[26:27], s[16:17], v0, s4, v[12:13]
	v_mad_i64_i32 v[16:17], s[10:11], v23, 36, v[10:11]
	v_lshl_add_u64 v[28:29], v[26:27], 0, v[14:15]
	global_load_dword v32, v[16:17], off offset:32
	global_load_dwordx4 v[4:7], v[16:17], off
	global_load_dwordx4 v[0:3], v[16:17], off offset:16
	v_lshl_add_u64 v[16:17], v[26:27], 0, v[8:9]
	global_load_dword v33, v[28:29], off offset:66
	global_load_dwordx2 v[30:31], v[16:17], off offset:2
	global_load_ushort v34, v[26:27], off
	s_getpc_b64 s[10:11]
	s_add_u32 s10, s10, _ZL8ksigns64@rel32@lo+4
	s_addc_u32 s11, s11, _ZL8ksigns64@rel32@hi+12
	v_mov_b32_e32 v25, 0
	v_add_u32_e32 v20, 8, v20
	v_cmp_le_u32_e32 vcc, s2, v20
	v_add_u32_e32 v23, 64, v23
	s_or_b64 s[0:1], vcc, s[0:1]
	s_waitcnt vmcnt(4)
	v_cvt_f32_f16_e32 v4, v4
	s_waitcnt vmcnt(2)
	v_and_b32_e32 v27, 0x7f, v33
	v_and_b32_e32 v16, 0xffff0000, v33
	s_waitcnt vmcnt(1)
	v_lshlrev_b32_sdwa v17, v24, v30 dst_sel:DWORD dst_unused:UNUSED_PAD src0_sel:DWORD src1_sel:BYTE_0
	v_lshlrev_b32_sdwa v26, v24, v30 dst_sel:DWORD dst_unused:UNUSED_PAD src0_sel:DWORD src1_sel:BYTE_1
	v_lshlrev_b32_sdwa v28, v24, v30 dst_sel:DWORD dst_unused:UNUSED_PAD src0_sel:DWORD src1_sel:BYTE_2
	v_lshlrev_b32_sdwa v29, v24, v30 dst_sel:DWORD dst_unused:UNUSED_PAD src0_sel:DWORD src1_sel:BYTE_3
	v_lshrrev_b32_e32 v30, 4, v33
	v_lshlrev_b32_sdwa v35, v24, v31 dst_sel:DWORD dst_unused:UNUSED_PAD src0_sel:DWORD src1_sel:BYTE_0
	v_lshlrev_b32_sdwa v36, v24, v31 dst_sel:DWORD dst_unused:UNUSED_PAD src0_sel:DWORD src1_sel:BYTE_1
	v_lshlrev_b32_sdwa v37, v24, v31 dst_sel:DWORD dst_unused:UNUSED_PAD src0_sel:DWORD src1_sel:BYTE_2
	v_lshrrev_b32_e32 v38, 18, v33
	v_lshlrev_b32_e32 v40, 3, v27
	v_lshlrev_b32_sdwa v31, v24, v31 dst_sel:DWORD dst_unused:UNUSED_PAD src0_sel:DWORD src1_sel:BYTE_3
	v_lshrrev_b32_e32 v39, 28, v33
	v_and_or_b32 v33, v33, s14, v16
	global_load_dword v41, v17, s[12:13]
	global_load_dword v42, v26, s[12:13]
	v_and_b32_e32 v30, 0x3f8, v30
	global_load_dword v43, v28, s[12:13]
	global_load_dword v44, v29, s[12:13]
	;; [unrolled: 1-line block ×4, first 2 shown]
	v_and_b32_e32 v35, 0x3f8, v38
	global_load_dword v36, v37, s[12:13]
	global_load_dword v38, v31, s[12:13]
	global_load_dwordx2 v[16:17], v40, s[10:11]
	global_load_dwordx2 v[26:27], v30, s[10:11]
	;; [unrolled: 1-line block ×3, first 2 shown]
	v_lshrrev_b32_e32 v30, 11, v33
	v_cvt_f32_ubyte0_e32 v31, v39
	v_and_b32_e32 v30, 0x3f8, v30
	v_add_f32_e32 v33, 0.5, v31
	global_load_dwordx2 v[30:31], v30, s[10:11]
	s_waitcnt vmcnt(12)
	v_cvt_f32_f16_e32 v34, v34
	s_waitcnt vmcnt(3)
	v_and_b32_e32 v37, 0xff000000, v16
	v_xor_b32_e32 v35, v16, v41
	v_and_b32_e32 v39, 0xff0000, v16
	v_and_b32_e32 v40, 0xff00, v16
	v_xor_b32_e32 v41, v17, v42
	v_and_b32_e32 v42, 0xff000000, v17
	v_and_b32_e32 v47, 0xff0000, v17
	;; [unrolled: 1-line block ×3, first 2 shown]
	s_waitcnt vmcnt(2)
	v_xor_b32_e32 v43, v26, v43
	v_and_b32_e32 v49, 0xff000000, v26
	v_and_b32_e32 v50, 0xff0000, v26
	;; [unrolled: 1-line block ×3, first 2 shown]
	v_xor_b32_e32 v44, v27, v44
	v_and_b32_e32 v52, 0xff000000, v27
	v_and_b32_e32 v53, 0xff0000, v27
	;; [unrolled: 1-line block ×3, first 2 shown]
	s_waitcnt vmcnt(1)
	v_xor_b32_e32 v36, v28, v36
	v_and_b32_e32 v55, 0xff000000, v28
	v_and_b32_e32 v56, 0xff0000, v28
	;; [unrolled: 1-line block ×3, first 2 shown]
	v_xor_b32_e32 v38, v29, v38
	v_and_b32_e32 v58, 0xff000000, v29
	v_and_b32_e32 v59, 0xff0000, v29
	;; [unrolled: 1-line block ×3, first 2 shown]
	v_sub_u32_e32 v37, v35, v37
	v_sub_u32_e32 v39, v35, v39
	;; [unrolled: 1-line block ×24, first 2 shown]
	v_and_b32_e32 v37, 0xff000000, v37
	v_and_b32_e32 v38, 0xff00, v40
	v_perm_b32 v16, v39, v16, s15
	v_and_b32_e32 v35, 0xff000000, v35
	v_and_b32_e32 v39, 0xff00, v47
	v_perm_b32 v17, v42, v17, s15
	v_or3_b32 v16, v16, v37, v38
	v_and_b32_e32 v40, 0xff000000, v41
	v_and_b32_e32 v41, 0xff00, v49
	v_perm_b32 v26, v48, v26, s15
	s_waitcnt vmcnt(0)
	v_xor_b32_e32 v45, v30, v45
	v_and_b32_e32 v47, 0xff000000, v30
	v_and_b32_e32 v48, 0xff0000, v30
	v_and_b32_e32 v49, 0xff00, v30
	v_or3_b32 v17, v17, v35, v39
	v_dot4c_i32_i8_e32 v25, v16, v5
	v_and_b32_e32 v42, 0xff000000, v43
	v_and_b32_e32 v43, 0xff00, v51
	v_perm_b32 v27, v50, v27, s15
	v_xor_b32_e32 v46, v31, v46
	v_and_b32_e32 v50, 0xff000000, v31
	v_and_b32_e32 v51, 0xff0000, v31
	;; [unrolled: 1-line block ×3, first 2 shown]
	v_or3_b32 v26, v26, v40, v41
	v_sub_u32_e32 v35, v45, v47
	v_sub_u32_e32 v37, v45, v48
	v_sub_u32_e32 v38, v45, v49
	v_sub_u32_e32 v30, v45, v30
	v_dot4c_i32_i8_e32 v25, v17, v6
	v_perm_b32 v28, v52, v28, s15
	v_and_b32_e32 v36, 0xff000000, v36
	v_and_b32_e32 v52, 0xff00, v55
	v_perm_b32 v29, v54, v29, s15
	v_or3_b32 v27, v27, v42, v43
	v_sub_u32_e32 v39, v46, v50
	v_sub_u32_e32 v40, v46, v51
	;; [unrolled: 1-line block ×4, first 2 shown]
	v_and_b32_e32 v5, 0xff000000, v35
	v_and_b32_e32 v16, 0xff00, v38
	v_perm_b32 v30, v37, v30, s15
	v_dot4c_i32_i8_e32 v25, v26, v7
	v_or3_b32 v29, v29, v36, v52
	v_and_b32_e32 v35, 0xff000000, v39
	v_and_b32_e32 v36, 0xff00, v41
	v_perm_b32 v31, v40, v31, s15
	v_or3_b32 v5, v30, v5, v16
	v_dot4c_i32_i8_e32 v25, v27, v0
	v_and_b32_e32 v44, 0xff000000, v44
	v_and_b32_e32 v53, 0xff00, v53
	v_or3_b32 v6, v31, v35, v36
	v_dot4c_i32_i8_e32 v25, v5, v1
	v_or3_b32 v28, v28, v44, v53
	v_dot4c_i32_i8_e32 v25, v6, v2
	v_dot4c_i32_i8_e32 v25, v28, v3
	;; [unrolled: 1-line block ×3, first 2 shown]
	v_mul_f32_e32 v1, v33, v34
	v_mul_f32_e32 v1, v1, v4
	v_mul_f32_e32 v1, 0.5, v1
	v_cvt_f32_i32_e32 v0, v25
	v_fmac_f32_e32 v21, v1, v0
	s_andn2_b64 exec, exec, s[0:1]
	s_cbranch_execnz .LBB70_3
; %bb.4:
	s_or_b64 exec, exec, s[0:1]
.LBB70_5:
	s_or_b64 exec, exec, s[8:9]
	v_mbcnt_lo_u32_b32 v0, -1, 0
	v_mbcnt_hi_u32_b32 v1, -1, v0
	v_and_b32_e32 v0, 64, v1
	v_add_u32_e32 v2, 64, v0
	v_xor_b32_e32 v0, 32, v1
	v_cmp_lt_i32_e32 vcc, v0, v2
	v_xor_b32_e32 v3, 16, v1
	v_xor_b32_e32 v4, 8, v1
	v_cndmask_b32_e32 v0, v1, v0, vcc
	v_lshlrev_b32_e32 v0, 2, v0
	ds_bpermute_b32 v0, v0, v21
	v_cmp_lt_i32_e32 vcc, v3, v2
	s_waitcnt lgkmcnt(0)
	v_add_f32_e32 v0, v21, v0
	v_cndmask_b32_e32 v3, v1, v3, vcc
	v_lshlrev_b32_e32 v3, 2, v3
	ds_bpermute_b32 v3, v3, v0
	v_cmp_lt_i32_e32 vcc, v4, v2
	s_waitcnt lgkmcnt(0)
	v_add_f32_e32 v0, v0, v3
	v_cndmask_b32_e32 v3, v1, v4, vcc
	v_lshlrev_b32_e32 v3, 2, v3
	ds_bpermute_b32 v3, v3, v0
	v_xor_b32_e32 v4, 4, v1
	v_cmp_lt_i32_e32 vcc, v4, v2
	s_waitcnt lgkmcnt(0)
	v_add_f32_e32 v0, v0, v3
	v_cndmask_b32_e32 v3, v1, v4, vcc
	v_lshlrev_b32_e32 v3, 2, v3
	ds_bpermute_b32 v3, v3, v0
	v_xor_b32_e32 v4, 2, v1
	v_cmp_lt_i32_e32 vcc, v4, v2
	s_waitcnt lgkmcnt(0)
	v_add_f32_e32 v0, v0, v3
	v_cndmask_b32_e32 v3, v1, v4, vcc
	v_lshlrev_b32_e32 v3, 2, v3
	ds_bpermute_b32 v3, v3, v0
	v_xor_b32_e32 v4, 1, v1
	v_cmp_lt_i32_e32 vcc, v4, v2
	s_waitcnt lgkmcnt(0)
	v_add_f32_e32 v0, v0, v3
	v_cndmask_b32_e32 v1, v1, v4, vcc
	v_lshlrev_b32_e32 v1, 2, v1
	ds_bpermute_b32 v1, v1, v0
	v_cmp_eq_u32_e32 vcc, 0, v19
	s_and_b64 exec, exec, vcc
	s_cbranch_execz .LBB70_7
; %bb.6:
	s_mul_i32 s3, s3, s5
	s_waitcnt lgkmcnt(0)
	v_add_f32_e32 v2, v0, v1
	v_add_u32_e32 v0, s3, v18
	v_mov_b32_e32 v1, 0
	v_lshl_add_u64 v[0:1], v[0:1], 2, s[6:7]
	global_store_dword v[0:1], v2, off
.LBB70_7:
	s_endpgm
	.section	.rodata,"a",@progbits
	.p2align	6, 0x0
	.amdhsa_kernel _ZL13mul_mat_vec_qIfLi256ELi8E13block_iq3_xxsLi1EXadL_ZL20vec_dot_iq3_xxs_q8_1PKvPK10block_q8_1RKiEEEvS2_S2_PT_iii
		.amdhsa_group_segment_fixed_size 0
		.amdhsa_private_segment_fixed_size 0
		.amdhsa_kernarg_size 296
		.amdhsa_user_sgpr_count 2
		.amdhsa_user_sgpr_dispatch_ptr 0
		.amdhsa_user_sgpr_queue_ptr 0
		.amdhsa_user_sgpr_kernarg_segment_ptr 1
		.amdhsa_user_sgpr_dispatch_id 0
		.amdhsa_user_sgpr_kernarg_preload_length 0
		.amdhsa_user_sgpr_kernarg_preload_offset 0
		.amdhsa_user_sgpr_private_segment_size 0
		.amdhsa_uses_dynamic_stack 0
		.amdhsa_enable_private_segment 0
		.amdhsa_system_sgpr_workgroup_id_x 1
		.amdhsa_system_sgpr_workgroup_id_y 1
		.amdhsa_system_sgpr_workgroup_id_z 0
		.amdhsa_system_sgpr_workgroup_info 0
		.amdhsa_system_vgpr_workitem_id 1
		.amdhsa_next_free_vgpr 61
		.amdhsa_next_free_sgpr 18
		.amdhsa_accum_offset 64
		.amdhsa_reserve_vcc 1
		.amdhsa_float_round_mode_32 0
		.amdhsa_float_round_mode_16_64 0
		.amdhsa_float_denorm_mode_32 3
		.amdhsa_float_denorm_mode_16_64 3
		.amdhsa_dx10_clamp 1
		.amdhsa_ieee_mode 1
		.amdhsa_fp16_overflow 0
		.amdhsa_tg_split 0
		.amdhsa_exception_fp_ieee_invalid_op 0
		.amdhsa_exception_fp_denorm_src 0
		.amdhsa_exception_fp_ieee_div_zero 0
		.amdhsa_exception_fp_ieee_overflow 0
		.amdhsa_exception_fp_ieee_underflow 0
		.amdhsa_exception_fp_ieee_inexact 0
		.amdhsa_exception_int_div_zero 0
	.end_amdhsa_kernel
	.section	.text._ZL13mul_mat_vec_qIfLi256ELi8E13block_iq3_xxsLi1EXadL_ZL20vec_dot_iq3_xxs_q8_1PKvPK10block_q8_1RKiEEEvS2_S2_PT_iii,"axG",@progbits,_ZL13mul_mat_vec_qIfLi256ELi8E13block_iq3_xxsLi1EXadL_ZL20vec_dot_iq3_xxs_q8_1PKvPK10block_q8_1RKiEEEvS2_S2_PT_iii,comdat
.Lfunc_end70:
	.size	_ZL13mul_mat_vec_qIfLi256ELi8E13block_iq3_xxsLi1EXadL_ZL20vec_dot_iq3_xxs_q8_1PKvPK10block_q8_1RKiEEEvS2_S2_PT_iii, .Lfunc_end70-_ZL13mul_mat_vec_qIfLi256ELi8E13block_iq3_xxsLi1EXadL_ZL20vec_dot_iq3_xxs_q8_1PKvPK10block_q8_1RKiEEEvS2_S2_PT_iii
                                        ; -- End function
	.section	.AMDGPU.csdata,"",@progbits
; Kernel info:
; codeLenInByte = 1600
; NumSgprs: 24
; NumVgprs: 61
; NumAgprs: 0
; TotalNumVgprs: 61
; ScratchSize: 0
; MemoryBound: 0
; FloatMode: 240
; IeeeMode: 1
; LDSByteSize: 0 bytes/workgroup (compile time only)
; SGPRBlocks: 2
; VGPRBlocks: 7
; NumSGPRsForWavesPerEU: 24
; NumVGPRsForWavesPerEU: 61
; AccumOffset: 64
; Occupancy: 8
; WaveLimiterHint : 0
; COMPUTE_PGM_RSRC2:SCRATCH_EN: 0
; COMPUTE_PGM_RSRC2:USER_SGPR: 2
; COMPUTE_PGM_RSRC2:TRAP_HANDLER: 0
; COMPUTE_PGM_RSRC2:TGID_X_EN: 1
; COMPUTE_PGM_RSRC2:TGID_Y_EN: 1
; COMPUTE_PGM_RSRC2:TGID_Z_EN: 0
; COMPUTE_PGM_RSRC2:TIDIG_COMP_CNT: 1
; COMPUTE_PGM_RSRC3_GFX90A:ACCUM_OFFSET: 15
; COMPUTE_PGM_RSRC3_GFX90A:TG_SPLIT: 0
	.section	.text._ZL13mul_mat_vec_qIfLi256ELi8E11block_iq1_sLi1EXadL_ZL18vec_dot_iq1_s_q8_1PKvPK10block_q8_1RKiEEEvS2_S2_PT_iii,"axG",@progbits,_ZL13mul_mat_vec_qIfLi256ELi8E11block_iq1_sLi1EXadL_ZL18vec_dot_iq1_s_q8_1PKvPK10block_q8_1RKiEEEvS2_S2_PT_iii,comdat
	.globl	_ZL13mul_mat_vec_qIfLi256ELi8E11block_iq1_sLi1EXadL_ZL18vec_dot_iq1_s_q8_1PKvPK10block_q8_1RKiEEEvS2_S2_PT_iii ; -- Begin function _ZL13mul_mat_vec_qIfLi256ELi8E11block_iq1_sLi1EXadL_ZL18vec_dot_iq1_s_q8_1PKvPK10block_q8_1RKiEEEvS2_S2_PT_iii
	.p2align	8
	.type	_ZL13mul_mat_vec_qIfLi256ELi8E11block_iq1_sLi1EXadL_ZL18vec_dot_iq1_s_q8_1PKvPK10block_q8_1RKiEEEvS2_S2_PT_iii,@function
_ZL13mul_mat_vec_qIfLi256ELi8E11block_iq1_sLi1EXadL_ZL18vec_dot_iq1_s_q8_1PKvPK10block_q8_1RKiEEEvS2_S2_PT_iii: ; @_ZL13mul_mat_vec_qIfLi256ELi8E11block_iq1_sLi1EXadL_ZL18vec_dot_iq1_s_q8_1PKvPK10block_q8_1RKiEEEvS2_S2_PT_iii
; %bb.0:
	s_load_dword s8, s[0:1], 0x34
	s_load_dwordx4 s[4:7], s[0:1], 0x18
	v_bfe_u32 v1, v0, 10, 10
	s_waitcnt lgkmcnt(0)
	s_lshr_b32 s7, s8, 16
	s_mul_i32 s2, s2, s7
	v_add_u32_e32 v1, s2, v1
	s_cmp_lt_u32 s3, s6
	v_cmp_gt_u32_e32 vcc, s5, v1
	s_cselect_b64 s[6:7], -1, 0
	s_and_b64 s[6:7], s[6:7], vcc
	s_and_saveexec_b64 s[8:9], s[6:7]
	s_cbranch_execz .LBB71_7
; %bb.1:
	s_load_dwordx2 s[6:7], s[0:1], 0x10
	s_ashr_i32 s2, s4, 31
	s_lshr_b32 s2, s2, 24
	s_add_i32 s2, s4, s2
	v_and_b32_e32 v6, 0x3ff, v0
	s_ashr_i32 s2, s2, 8
	v_lshrrev_b32_e32 v7, 3, v6
	v_cmp_gt_u32_e32 vcc, s2, v7
	v_mov_b32_e32 v8, 0
	s_and_saveexec_b64 s[12:13], vcc
	s_cbranch_execz .LBB71_5
; %bb.2:
	s_load_dwordx4 s[8:11], s[0:1], 0x0
	s_add_i32 s0, s4, 0x1ff
	s_ashr_i32 s1, s0, 31
	s_lshr_b32 s1, s1, 23
	s_add_i32 s0, s0, s1
	s_ashr_i32 s0, s0, 9
	v_and_b32_e32 v0, 7, v6
	s_mul_i32 s0, s3, s0
	v_lshlrev_b32_e32 v2, 1, v0
	v_mov_b32_e32 v3, 0
	v_lshlrev_b32_e32 v4, 3, v7
	v_mul_lo_u32 v9, v1, s2
	v_lshl_add_u32 v10, s0, 4, v4
	s_mov_b64 s[0:1], 0
	v_lshlrev_b32_e32 v2, 1, v2
	v_lshlrev_b32_e32 v4, 1, v0
	s_movk_i32 s4, 0x700
	v_mov_b32_e32 v11, 0xbf600000
	v_mov_b32_e32 v5, v3
	;; [unrolled: 1-line block ×3, first 2 shown]
.LBB71_3:                               ; =>This Inner Loop Header: Depth=1
	v_add_u32_e32 v12, v9, v7
	s_waitcnt lgkmcnt(0)
	v_mad_i64_i32 v[20:21], s[14:15], v12, 50, s[8:9]
	v_lshl_add_u64 v[12:13], v[20:21], 0, v[2:3]
	v_lshl_add_u64 v[14:15], v[20:21], 0, v[4:5]
	global_load_dword v24, v[12:13], off offset:2
	global_load_ushort v25, v[14:15], off offset:34
	v_mad_i64_i32 v[12:13], s[14:15], v10, 36, s[10:11]
	v_mad_u64_u32 v[22:23], s[16:17], v0, 36, v[12:13]
	global_load_dwordx4 v[12:15], v[22:23], off
	global_load_dwordx4 v[16:19], v[22:23], off offset:16
	global_load_ushort v26, v[20:21], off
	s_getpc_b64 s[14:15]
	s_add_u32 s14, s14, _ZL13iq1s_grid_gpu@rel32@lo+4
	s_addc_u32 s15, s15, _ZL13iq1s_grid_gpu@rel32@hi+12
	v_add_u32_e32 v7, 8, v7
	v_cmp_le_u32_e32 vcc, s2, v7
	v_add_u32_e32 v10, 64, v10
	s_or_b64 s[0:1], vcc, s[0:1]
	s_waitcnt vmcnt(4)
	v_and_b32_e32 v27, 0xff, v24
	s_waitcnt vmcnt(3)
	v_lshlrev_b32_e32 v28, 8, v25
	v_lshrrev_b16_e32 v20, 8, v24
	v_lshrrev_b32_e32 v21, 24, v24
	v_lshlrev_b32_e32 v29, 5, v25
	v_bfe_u32 v24, v24, 16, 8
	v_lshlrev_b32_e32 v30, 2, v25
	v_lshrrev_b32_e32 v31, 1, v25
	v_and_or_b32 v27, v28, s4, v27
	v_and_or_b32 v20, v29, s4, v20
	;; [unrolled: 1-line block ×4, first 2 shown]
	v_lshlrev_b32_e32 v27, 3, v27
	v_lshlrev_b32_e32 v20, 3, v20
	v_lshlrev_b32_e32 v24, 3, v24
	v_lshlrev_b32_e32 v21, 3, v21
	global_load_dword v28, v27, s[14:15]
	global_load_dword v29, v20, s[14:15]
	;; [unrolled: 1-line block ×4, first 2 shown]
	global_load_dword v32, v[22:23], off offset:32
	s_waitcnt vmcnt(7)
	v_cvt_f32_f16_e32 v20, v12
	v_cvt_f32_f16_sdwa v21, v12 dst_sel:DWORD dst_unused:UNUSED_PAD src0_sel:WORD_1
	v_lshrrev_b32_e32 v12, 11, v25
	v_mov_b32_e32 v22, 0
	s_waitcnt vmcnt(5)
	v_cvt_f32_f16_e32 v23, v26
	v_and_b32_e32 v24, 0x8000, v25
	v_and_or_b32 v25, v12, 14, 1
	v_cvt_f32_u32_e32 v24, v24
	s_waitcnt vmcnt(4)
	v_and_b32_e32 v12, 0xf0f0f0f, v28
	v_lshrrev_b32_e32 v26, 4, v28
	v_and_b32_e32 v26, 0xf0f0f0f, v26
	v_dot4c_i32_i8_e32 v22, v12, v13
	s_waitcnt vmcnt(3)
	v_and_b32_e32 v27, 0xf0f0f0f, v29
	v_lshrrev_b32_e32 v28, 4, v29
	v_dot4c_i32_i8_e32 v22, v26, v14
	v_and_b32_e32 v12, 0xf0f0f0f, v28
	v_dot4c_i32_i8_e32 v22, v27, v15
	s_waitcnt vmcnt(2)
	v_and_b32_e32 v29, 0xf0f0f0f, v30
	v_lshrrev_b32_e32 v30, 4, v30
	v_dot4c_i32_i8_e32 v22, v12, v16
	;; [unrolled: 6-line block ×3, first 2 shown]
	v_and_b32_e32 v28, 0xf0f0f0f, v31
	v_dot4c_i32_i8_e32 v22, v33, v19
	s_waitcnt vmcnt(0)
	v_dot4c_i32_i8_e32 v22, v28, v32
	v_cvt_f32_ubyte0_e32 v13, v25
	v_mul_f32_e32 v14, v13, v23
	v_fmamk_f32 v13, v24, 0xb7000000, v11
	v_cvt_f32_i32_e32 v12, v22
	v_pk_mul_f32 v[12:13], v[12:13], v[20:21]
	s_nop 0
	v_add_f32_e32 v12, v12, v13
	v_fmac_f32_e32 v8, v14, v12
	s_andn2_b64 exec, exec, s[0:1]
	s_cbranch_execnz .LBB71_3
; %bb.4:
	s_or_b64 exec, exec, s[0:1]
.LBB71_5:
	s_or_b64 exec, exec, s[12:13]
	v_mbcnt_lo_u32_b32 v0, -1, 0
	v_mbcnt_hi_u32_b32 v2, -1, v0
	v_and_b32_e32 v0, 64, v2
	v_add_u32_e32 v3, 64, v0
	v_xor_b32_e32 v0, 32, v2
	v_cmp_lt_i32_e32 vcc, v0, v3
	v_xor_b32_e32 v4, 16, v2
	v_xor_b32_e32 v5, 8, v2
	v_cndmask_b32_e32 v0, v2, v0, vcc
	v_lshlrev_b32_e32 v0, 2, v0
	ds_bpermute_b32 v0, v0, v8
	v_cmp_lt_i32_e32 vcc, v4, v3
	s_waitcnt lgkmcnt(0)
	v_add_f32_e32 v0, v8, v0
	v_cndmask_b32_e32 v4, v2, v4, vcc
	v_lshlrev_b32_e32 v4, 2, v4
	ds_bpermute_b32 v4, v4, v0
	v_cmp_lt_i32_e32 vcc, v5, v3
	s_waitcnt lgkmcnt(0)
	v_add_f32_e32 v0, v0, v4
	v_cndmask_b32_e32 v4, v2, v5, vcc
	v_lshlrev_b32_e32 v4, 2, v4
	ds_bpermute_b32 v4, v4, v0
	v_xor_b32_e32 v5, 4, v2
	v_cmp_lt_i32_e32 vcc, v5, v3
	s_waitcnt lgkmcnt(0)
	v_add_f32_e32 v0, v0, v4
	v_cndmask_b32_e32 v4, v2, v5, vcc
	v_lshlrev_b32_e32 v4, 2, v4
	ds_bpermute_b32 v4, v4, v0
	v_xor_b32_e32 v5, 2, v2
	;; [unrolled: 7-line block ×3, first 2 shown]
	v_cmp_lt_i32_e32 vcc, v5, v3
	s_waitcnt lgkmcnt(0)
	v_add_f32_e32 v0, v0, v4
	v_cndmask_b32_e32 v2, v2, v5, vcc
	v_lshlrev_b32_e32 v2, 2, v2
	ds_bpermute_b32 v2, v2, v0
	v_cmp_eq_u32_e32 vcc, 0, v6
	s_and_b64 exec, exec, vcc
	s_cbranch_execz .LBB71_7
; %bb.6:
	s_mul_i32 s3, s3, s5
	s_waitcnt lgkmcnt(0)
	v_add_f32_e32 v2, v0, v2
	v_add_u32_e32 v0, s3, v1
	v_mov_b32_e32 v1, 0
	v_lshl_add_u64 v[0:1], v[0:1], 2, s[6:7]
	global_store_dword v[0:1], v2, off
.LBB71_7:
	s_endpgm
	.section	.rodata,"a",@progbits
	.p2align	6, 0x0
	.amdhsa_kernel _ZL13mul_mat_vec_qIfLi256ELi8E11block_iq1_sLi1EXadL_ZL18vec_dot_iq1_s_q8_1PKvPK10block_q8_1RKiEEEvS2_S2_PT_iii
		.amdhsa_group_segment_fixed_size 0
		.amdhsa_private_segment_fixed_size 0
		.amdhsa_kernarg_size 296
		.amdhsa_user_sgpr_count 2
		.amdhsa_user_sgpr_dispatch_ptr 0
		.amdhsa_user_sgpr_queue_ptr 0
		.amdhsa_user_sgpr_kernarg_segment_ptr 1
		.amdhsa_user_sgpr_dispatch_id 0
		.amdhsa_user_sgpr_kernarg_preload_length 0
		.amdhsa_user_sgpr_kernarg_preload_offset 0
		.amdhsa_user_sgpr_private_segment_size 0
		.amdhsa_uses_dynamic_stack 0
		.amdhsa_enable_private_segment 0
		.amdhsa_system_sgpr_workgroup_id_x 1
		.amdhsa_system_sgpr_workgroup_id_y 1
		.amdhsa_system_sgpr_workgroup_id_z 0
		.amdhsa_system_sgpr_workgroup_info 0
		.amdhsa_system_vgpr_workitem_id 1
		.amdhsa_next_free_vgpr 34
		.amdhsa_next_free_sgpr 18
		.amdhsa_accum_offset 36
		.amdhsa_reserve_vcc 1
		.amdhsa_float_round_mode_32 0
		.amdhsa_float_round_mode_16_64 0
		.amdhsa_float_denorm_mode_32 3
		.amdhsa_float_denorm_mode_16_64 3
		.amdhsa_dx10_clamp 1
		.amdhsa_ieee_mode 1
		.amdhsa_fp16_overflow 0
		.amdhsa_tg_split 0
		.amdhsa_exception_fp_ieee_invalid_op 0
		.amdhsa_exception_fp_denorm_src 0
		.amdhsa_exception_fp_ieee_div_zero 0
		.amdhsa_exception_fp_ieee_overflow 0
		.amdhsa_exception_fp_ieee_underflow 0
		.amdhsa_exception_fp_ieee_inexact 0
		.amdhsa_exception_int_div_zero 0
	.end_amdhsa_kernel
	.section	.text._ZL13mul_mat_vec_qIfLi256ELi8E11block_iq1_sLi1EXadL_ZL18vec_dot_iq1_s_q8_1PKvPK10block_q8_1RKiEEEvS2_S2_PT_iii,"axG",@progbits,_ZL13mul_mat_vec_qIfLi256ELi8E11block_iq1_sLi1EXadL_ZL18vec_dot_iq1_s_q8_1PKvPK10block_q8_1RKiEEEvS2_S2_PT_iii,comdat
.Lfunc_end71:
	.size	_ZL13mul_mat_vec_qIfLi256ELi8E11block_iq1_sLi1EXadL_ZL18vec_dot_iq1_s_q8_1PKvPK10block_q8_1RKiEEEvS2_S2_PT_iii, .Lfunc_end71-_ZL13mul_mat_vec_qIfLi256ELi8E11block_iq1_sLi1EXadL_ZL18vec_dot_iq1_s_q8_1PKvPK10block_q8_1RKiEEEvS2_S2_PT_iii
                                        ; -- End function
	.section	.AMDGPU.csdata,"",@progbits
; Kernel info:
; codeLenInByte = 976
; NumSgprs: 24
; NumVgprs: 34
; NumAgprs: 0
; TotalNumVgprs: 34
; ScratchSize: 0
; MemoryBound: 0
; FloatMode: 240
; IeeeMode: 1
; LDSByteSize: 0 bytes/workgroup (compile time only)
; SGPRBlocks: 2
; VGPRBlocks: 4
; NumSGPRsForWavesPerEU: 24
; NumVGPRsForWavesPerEU: 34
; AccumOffset: 36
; Occupancy: 8
; WaveLimiterHint : 0
; COMPUTE_PGM_RSRC2:SCRATCH_EN: 0
; COMPUTE_PGM_RSRC2:USER_SGPR: 2
; COMPUTE_PGM_RSRC2:TRAP_HANDLER: 0
; COMPUTE_PGM_RSRC2:TGID_X_EN: 1
; COMPUTE_PGM_RSRC2:TGID_Y_EN: 1
; COMPUTE_PGM_RSRC2:TGID_Z_EN: 0
; COMPUTE_PGM_RSRC2:TIDIG_COMP_CNT: 1
; COMPUTE_PGM_RSRC3_GFX90A:ACCUM_OFFSET: 8
; COMPUTE_PGM_RSRC3_GFX90A:TG_SPLIT: 0
	.section	.text._ZL13mul_mat_vec_qIfLi32ELi4E12block_iq4_nlLi2EXadL_ZL19vec_dot_iq4_nl_q8_1PKvPK10block_q8_1RKiEEEvS2_S2_PT_iii,"axG",@progbits,_ZL13mul_mat_vec_qIfLi32ELi4E12block_iq4_nlLi2EXadL_ZL19vec_dot_iq4_nl_q8_1PKvPK10block_q8_1RKiEEEvS2_S2_PT_iii,comdat
	.globl	_ZL13mul_mat_vec_qIfLi32ELi4E12block_iq4_nlLi2EXadL_ZL19vec_dot_iq4_nl_q8_1PKvPK10block_q8_1RKiEEEvS2_S2_PT_iii ; -- Begin function _ZL13mul_mat_vec_qIfLi32ELi4E12block_iq4_nlLi2EXadL_ZL19vec_dot_iq4_nl_q8_1PKvPK10block_q8_1RKiEEEvS2_S2_PT_iii
	.p2align	8
	.type	_ZL13mul_mat_vec_qIfLi32ELi4E12block_iq4_nlLi2EXadL_ZL19vec_dot_iq4_nl_q8_1PKvPK10block_q8_1RKiEEEvS2_S2_PT_iii,@function
_ZL13mul_mat_vec_qIfLi32ELi4E12block_iq4_nlLi2EXadL_ZL19vec_dot_iq4_nl_q8_1PKvPK10block_q8_1RKiEEEvS2_S2_PT_iii: ; @_ZL13mul_mat_vec_qIfLi32ELi4E12block_iq4_nlLi2EXadL_ZL19vec_dot_iq4_nl_q8_1PKvPK10block_q8_1RKiEEEvS2_S2_PT_iii
; %bb.0:
	s_load_dword s8, s[0:1], 0x34
	s_load_dwordx4 s[4:7], s[0:1], 0x18
	v_bfe_u32 v1, v0, 10, 10
	s_waitcnt lgkmcnt(0)
	s_lshr_b32 s7, s8, 16
	s_mul_i32 s2, s2, s7
	v_add_u32_e32 v4, s2, v1
	s_cmp_lt_u32 s3, s6
	v_cmp_gt_u32_e32 vcc, s5, v4
	s_cselect_b64 s[6:7], -1, 0
	s_and_b64 s[6:7], s[6:7], vcc
	s_and_saveexec_b64 s[8:9], s[6:7]
	s_cbranch_execz .LBB72_7
; %bb.1:
	s_load_dwordx2 s[6:7], s[0:1], 0x10
	s_ashr_i32 s2, s4, 31
	s_lshr_b32 s2, s2, 27
	s_add_i32 s2, s4, s2
	v_and_b32_e32 v5, 0x3ff, v0
	s_ashr_i32 s2, s2, 5
	v_lshrrev_b32_e32 v6, 1, v5
	v_cmp_gt_u32_e32 vcc, s2, v6
	v_mov_b32_e32 v7, 0
	s_and_saveexec_b64 s[12:13], vcc
	s_cbranch_execz .LBB72_5
; %bb.2:
	s_load_dwordx4 s[8:11], s[0:1], 0x0
	s_add_i32 s0, s4, 0x1ff
	s_ashr_i32 s1, s0, 31
	s_lshr_b32 s1, s1, 23
	s_add_i32 s0, s0, s1
	v_lshlrev_b32_e32 v0, 1, v5
	s_ashr_i32 s0, s0, 9
	v_and_b32_e32 v2, 2, v0
	s_mul_i32 s0, s3, s0
	v_lshlrev_b32_e32 v0, 1, v2
	v_mov_b32_e32 v1, 0
	v_mul_lo_u32 v8, v4, s2
	s_lshl_b32 s4, s0, 4
	s_mov_b64 s[0:1], 0
	v_lshlrev_b32_e32 v0, 1, v0
	v_lshlrev_b32_e32 v2, 2, v2
	v_mov_b32_e32 v3, v1
	v_mov_b32_e32 v7, v1
.LBB72_3:                               ; =>This Inner Loop Header: Depth=1
	v_add_u32_e32 v9, v8, v6
	s_waitcnt lgkmcnt(0)
	v_mad_i64_i32 v[10:11], s[14:15], v9, 18, s[8:9]
	v_lshl_add_u64 v[12:13], v[10:11], 0, v[0:1]
	global_load_dwordx2 v[12:13], v[12:13], off offset:2
	v_add_u32_e32 v9, s4, v6
	v_mad_i64_i32 v[14:15], s[16:17], v9, 36, s[10:11]
	v_lshl_add_u64 v[16:17], v[14:15], 0, v[2:3]
	s_getpc_b64 s[14:15]
	s_add_u32 s14, s14, _ZL13kvalues_iq4nl@rel32@lo+4
	s_addc_u32 s15, s15, _ZL13kvalues_iq4nl@rel32@hi+12
	global_load_ushort v9, v[10:11], off
	global_load_dwordx2 v[18:19], v[16:17], off offset:4
	global_load_dwordx2 v[20:21], v[16:17], off offset:20
	v_add_u32_e32 v6, 32, v6
	v_cmp_le_u32_e32 vcc, s2, v6
	s_or_b64 s[0:1], vcc, s[0:1]
	s_waitcnt vmcnt(3)
	v_bfe_u32 v10, v12, 24, 4
	v_and_b32_e32 v11, 15, v12
	v_bfe_u32 v16, v12, 8, 4
	v_bfe_u32 v17, v12, 16, 4
	;; [unrolled: 1-line block ×4, first 2 shown]
	v_lshrrev_b32_e32 v24, 28, v12
	v_bfe_u32 v12, v12, 4, 4
	v_bfe_u32 v25, v13, 24, 4
	v_and_b32_e32 v26, 15, v13
	v_bfe_u32 v27, v13, 8, 4
	v_bfe_u32 v28, v13, 16, 4
	;; [unrolled: 1-line block ×4, first 2 shown]
	v_lshrrev_b32_e32 v31, 28, v13
	v_bfe_u32 v13, v13, 4, 4
	global_load_ubyte v32, v16, s[14:15]
	global_load_ubyte v33, v17, s[14:15]
	global_load_ubyte v34, v22, s[14:15]
	global_load_ubyte v35, v23, s[14:15]
	global_load_ubyte v36, v12, s[14:15]
	global_load_ubyte v37, v24, s[14:15]
	global_load_ubyte v38, v11, s[14:15]
	global_load_ubyte v39, v10, s[14:15]
	global_load_ubyte v40, v27, s[14:15]
	global_load_ubyte v41, v28, s[14:15]
	global_load_ubyte v42, v29, s[14:15]
	global_load_ubyte v43, v30, s[14:15]
	global_load_ubyte v44, v13, s[14:15]
	global_load_ubyte v45, v31, s[14:15]
	global_load_ubyte v46, v26, s[14:15]
                                        ; kill: killed $vgpr28
                                        ; kill: killed $vgpr23
                                        ; kill: killed $vgpr27
                                        ; kill: killed $vgpr13
                                        ; kill: killed $vgpr11
                                        ; kill: killed $vgpr12
                                        ; kill: killed $vgpr26
                                        ; kill: killed $vgpr30
                                        ; kill: killed $vgpr17
                                        ; kill: killed $vgpr10
                                        ; kill: killed $vgpr16
                                        ; kill: killed $vgpr22
                                        ; kill: killed $vgpr31
                                        ; kill: killed $vgpr24
                                        ; kill: killed $vgpr29
	global_load_ubyte v10, v25, s[14:15]
	global_load_dword v11, v[14:15], off
	v_mov_b32_e32 v12, 0
	v_mov_b32_e32 v13, 0
	s_waitcnt vmcnt(19)
	v_cvt_f32_f16_e32 v9, v9
	s_waitcnt vmcnt(15)
	v_lshlrev_b32_e32 v15, 16, v33
	s_waitcnt vmcnt(13)
	v_lshlrev_b32_e32 v22, 16, v35
	s_waitcnt vmcnt(12)
	v_lshl_or_b32 v23, v34, 8, v36
	s_waitcnt vmcnt(11)
	v_lshlrev_b32_e32 v17, 24, v37
	s_waitcnt vmcnt(10)
	v_lshl_or_b32 v16, v32, 8, v38
	s_waitcnt vmcnt(9)
	v_lshlrev_b32_e32 v14, 24, v39
	v_or3_b32 v14, v16, v15, v14
	s_waitcnt vmcnt(7)
	v_lshlrev_b32_e32 v24, 16, v41
	v_or3_b32 v15, v23, v22, v17
	s_waitcnt vmcnt(5)
	v_lshlrev_b32_e32 v27, 16, v43
	s_waitcnt vmcnt(4)
	v_lshl_or_b32 v28, v42, 8, v44
	s_waitcnt vmcnt(3)
	v_lshlrev_b32_e32 v26, 24, v45
	s_waitcnt vmcnt(2)
	v_lshl_or_b32 v25, v40, 8, v46
	v_or3_b32 v16, v28, v27, v26
	v_dot4c_i32_i8_e32 v12, v14, v18
	v_dot4c_i32_i8_e32 v13, v15, v20
	;; [unrolled: 1-line block ×3, first 2 shown]
	s_waitcnt vmcnt(1)
	v_lshlrev_b32_e32 v10, 24, v10
	v_or3_b32 v10, v25, v24, v10
	v_dot4c_i32_i8_e32 v12, v10, v19
	s_waitcnt vmcnt(0)
	v_cvt_f32_f16_e32 v11, v11
	v_mul_f32_e32 v9, v9, v11
	v_add_u32_e32 v10, v13, v12
	v_cvt_f32_i32_e32 v10, v10
	v_fmac_f32_e32 v7, v9, v10
	s_andn2_b64 exec, exec, s[0:1]
	s_cbranch_execnz .LBB72_3
; %bb.4:
	s_or_b64 exec, exec, s[0:1]
.LBB72_5:
	s_or_b64 exec, exec, s[12:13]
	v_mbcnt_lo_u32_b32 v0, -1, 0
	v_mbcnt_hi_u32_b32 v1, -1, v0
	v_and_b32_e32 v0, 64, v1
	v_add_u32_e32 v2, 64, v0
	v_xor_b32_e32 v0, 32, v1
	v_cmp_lt_i32_e32 vcc, v0, v2
	v_xor_b32_e32 v3, 16, v1
	v_xor_b32_e32 v6, 8, v1
	v_cndmask_b32_e32 v0, v1, v0, vcc
	v_lshlrev_b32_e32 v0, 2, v0
	ds_bpermute_b32 v0, v0, v7
	v_cmp_lt_i32_e32 vcc, v3, v2
	s_waitcnt lgkmcnt(0)
	v_add_f32_e32 v0, v7, v0
	v_cndmask_b32_e32 v3, v1, v3, vcc
	v_lshlrev_b32_e32 v3, 2, v3
	ds_bpermute_b32 v3, v3, v0
	v_cmp_lt_i32_e32 vcc, v6, v2
	s_waitcnt lgkmcnt(0)
	v_add_f32_e32 v0, v0, v3
	v_cndmask_b32_e32 v3, v1, v6, vcc
	v_lshlrev_b32_e32 v3, 2, v3
	ds_bpermute_b32 v3, v3, v0
	v_xor_b32_e32 v6, 4, v1
	v_cmp_lt_i32_e32 vcc, v6, v2
	s_waitcnt lgkmcnt(0)
	v_add_f32_e32 v0, v0, v3
	v_cndmask_b32_e32 v3, v1, v6, vcc
	v_lshlrev_b32_e32 v3, 2, v3
	ds_bpermute_b32 v3, v3, v0
	v_xor_b32_e32 v6, 2, v1
	;; [unrolled: 7-line block ×3, first 2 shown]
	v_cmp_lt_i32_e32 vcc, v6, v2
	s_waitcnt lgkmcnt(0)
	v_add_f32_e32 v0, v0, v3
	v_cndmask_b32_e32 v1, v1, v6, vcc
	v_lshlrev_b32_e32 v1, 2, v1
	ds_bpermute_b32 v1, v1, v0
	v_cmp_eq_u32_e32 vcc, 0, v5
	s_and_b64 exec, exec, vcc
	s_cbranch_execz .LBB72_7
; %bb.6:
	s_mul_i32 s3, s3, s5
	s_waitcnt lgkmcnt(0)
	v_add_f32_e32 v2, v0, v1
	v_add_u32_e32 v0, s3, v4
	v_mov_b32_e32 v1, 0
	v_lshl_add_u64 v[0:1], v[0:1], 2, s[6:7]
	global_store_dword v[0:1], v2, off
.LBB72_7:
	s_endpgm
	.section	.rodata,"a",@progbits
	.p2align	6, 0x0
	.amdhsa_kernel _ZL13mul_mat_vec_qIfLi32ELi4E12block_iq4_nlLi2EXadL_ZL19vec_dot_iq4_nl_q8_1PKvPK10block_q8_1RKiEEEvS2_S2_PT_iii
		.amdhsa_group_segment_fixed_size 0
		.amdhsa_private_segment_fixed_size 0
		.amdhsa_kernarg_size 296
		.amdhsa_user_sgpr_count 2
		.amdhsa_user_sgpr_dispatch_ptr 0
		.amdhsa_user_sgpr_queue_ptr 0
		.amdhsa_user_sgpr_kernarg_segment_ptr 1
		.amdhsa_user_sgpr_dispatch_id 0
		.amdhsa_user_sgpr_kernarg_preload_length 0
		.amdhsa_user_sgpr_kernarg_preload_offset 0
		.amdhsa_user_sgpr_private_segment_size 0
		.amdhsa_uses_dynamic_stack 0
		.amdhsa_enable_private_segment 0
		.amdhsa_system_sgpr_workgroup_id_x 1
		.amdhsa_system_sgpr_workgroup_id_y 1
		.amdhsa_system_sgpr_workgroup_id_z 0
		.amdhsa_system_sgpr_workgroup_info 0
		.amdhsa_system_vgpr_workitem_id 1
		.amdhsa_next_free_vgpr 47
		.amdhsa_next_free_sgpr 18
		.amdhsa_accum_offset 48
		.amdhsa_reserve_vcc 1
		.amdhsa_float_round_mode_32 0
		.amdhsa_float_round_mode_16_64 0
		.amdhsa_float_denorm_mode_32 3
		.amdhsa_float_denorm_mode_16_64 3
		.amdhsa_dx10_clamp 1
		.amdhsa_ieee_mode 1
		.amdhsa_fp16_overflow 0
		.amdhsa_tg_split 0
		.amdhsa_exception_fp_ieee_invalid_op 0
		.amdhsa_exception_fp_denorm_src 0
		.amdhsa_exception_fp_ieee_div_zero 0
		.amdhsa_exception_fp_ieee_overflow 0
		.amdhsa_exception_fp_ieee_underflow 0
		.amdhsa_exception_fp_ieee_inexact 0
		.amdhsa_exception_int_div_zero 0
	.end_amdhsa_kernel
	.section	.text._ZL13mul_mat_vec_qIfLi32ELi4E12block_iq4_nlLi2EXadL_ZL19vec_dot_iq4_nl_q8_1PKvPK10block_q8_1RKiEEEvS2_S2_PT_iii,"axG",@progbits,_ZL13mul_mat_vec_qIfLi32ELi4E12block_iq4_nlLi2EXadL_ZL19vec_dot_iq4_nl_q8_1PKvPK10block_q8_1RKiEEEvS2_S2_PT_iii,comdat
.Lfunc_end72:
	.size	_ZL13mul_mat_vec_qIfLi32ELi4E12block_iq4_nlLi2EXadL_ZL19vec_dot_iq4_nl_q8_1PKvPK10block_q8_1RKiEEEvS2_S2_PT_iii, .Lfunc_end72-_ZL13mul_mat_vec_qIfLi32ELi4E12block_iq4_nlLi2EXadL_ZL19vec_dot_iq4_nl_q8_1PKvPK10block_q8_1RKiEEEvS2_S2_PT_iii
                                        ; -- End function
	.section	.AMDGPU.csdata,"",@progbits
; Kernel info:
; codeLenInByte = 1036
; NumSgprs: 24
; NumVgprs: 47
; NumAgprs: 0
; TotalNumVgprs: 47
; ScratchSize: 0
; MemoryBound: 0
; FloatMode: 240
; IeeeMode: 1
; LDSByteSize: 0 bytes/workgroup (compile time only)
; SGPRBlocks: 2
; VGPRBlocks: 5
; NumSGPRsForWavesPerEU: 24
; NumVGPRsForWavesPerEU: 47
; AccumOffset: 48
; Occupancy: 8
; WaveLimiterHint : 0
; COMPUTE_PGM_RSRC2:SCRATCH_EN: 0
; COMPUTE_PGM_RSRC2:USER_SGPR: 2
; COMPUTE_PGM_RSRC2:TRAP_HANDLER: 0
; COMPUTE_PGM_RSRC2:TGID_X_EN: 1
; COMPUTE_PGM_RSRC2:TGID_Y_EN: 1
; COMPUTE_PGM_RSRC2:TGID_Z_EN: 0
; COMPUTE_PGM_RSRC2:TIDIG_COMP_CNT: 1
; COMPUTE_PGM_RSRC3_GFX90A:ACCUM_OFFSET: 11
; COMPUTE_PGM_RSRC3_GFX90A:TG_SPLIT: 0
	.section	.text._ZL13mul_mat_vec_qIfLi256ELi8E11block_iq3_sLi1EXadL_ZL18vec_dot_iq3_s_q8_1PKvPK10block_q8_1RKiEEEvS2_S2_PT_iii,"axG",@progbits,_ZL13mul_mat_vec_qIfLi256ELi8E11block_iq3_sLi1EXadL_ZL18vec_dot_iq3_s_q8_1PKvPK10block_q8_1RKiEEEvS2_S2_PT_iii,comdat
	.globl	_ZL13mul_mat_vec_qIfLi256ELi8E11block_iq3_sLi1EXadL_ZL18vec_dot_iq3_s_q8_1PKvPK10block_q8_1RKiEEEvS2_S2_PT_iii ; -- Begin function _ZL13mul_mat_vec_qIfLi256ELi8E11block_iq3_sLi1EXadL_ZL18vec_dot_iq3_s_q8_1PKvPK10block_q8_1RKiEEEvS2_S2_PT_iii
	.p2align	8
	.type	_ZL13mul_mat_vec_qIfLi256ELi8E11block_iq3_sLi1EXadL_ZL18vec_dot_iq3_s_q8_1PKvPK10block_q8_1RKiEEEvS2_S2_PT_iii,@function
_ZL13mul_mat_vec_qIfLi256ELi8E11block_iq3_sLi1EXadL_ZL18vec_dot_iq3_s_q8_1PKvPK10block_q8_1RKiEEEvS2_S2_PT_iii: ; @_ZL13mul_mat_vec_qIfLi256ELi8E11block_iq3_sLi1EXadL_ZL18vec_dot_iq3_s_q8_1PKvPK10block_q8_1RKiEEEvS2_S2_PT_iii
; %bb.0:
	s_load_dword s8, s[0:1], 0x34
	s_load_dwordx4 s[4:7], s[0:1], 0x18
	v_bfe_u32 v1, v0, 10, 10
	s_waitcnt lgkmcnt(0)
	s_lshr_b32 s7, s8, 16
	s_mul_i32 s2, s2, s7
	v_add_u32_e32 v24, s2, v1
	s_cmp_lt_u32 s3, s6
	v_cmp_gt_u32_e32 vcc, s5, v24
	s_cselect_b64 s[6:7], -1, 0
	s_and_b64 s[6:7], s[6:7], vcc
	s_and_saveexec_b64 s[8:9], s[6:7]
	s_cbranch_execz .LBB73_9
; %bb.1:
	s_load_dwordx2 s[6:7], s[0:1], 0x10
	s_ashr_i32 s2, s4, 31
	s_lshr_b32 s2, s2, 24
	s_add_i32 s2, s4, s2
	v_and_b32_e32 v25, 0x3ff, v0
	s_ashr_i32 s2, s2, 8
	v_lshrrev_b32_e32 v26, 3, v25
	v_cmp_gt_u32_e32 vcc, s2, v26
	v_mov_b32_e32 v1, 0
	s_and_saveexec_b64 s[8:9], vcc
	s_cbranch_execz .LBB73_7
; %bb.2:
	s_load_dwordx4 s[12:15], s[0:1], 0x0
	s_add_i32 s0, s4, 0x1ff
	s_ashr_i32 s1, s0, 31
	s_lshr_b32 s1, s1, 23
	s_add_i32 s0, s0, s1
	s_ashr_i32 s0, s0, 9
	s_mul_i32 s0, s3, s0
	v_and_b32_e32 v2, 7, v25
	v_mov_b32_e32 v1, 0
	v_lshlrev_b32_e32 v8, 2, v25
	s_lshl_b32 s4, s0, 4
	v_lshlrev_b32_e32 v0, 3, v2
	s_waitcnt lgkmcnt(0)
	v_mad_u64_u32 v[4:5], s[0:1], v2, 36, s[14:15]
	v_and_b32_e32 v28, 4, v8
	v_lshlrev_b32_e32 v8, 2, v2
	v_mov_b32_e32 v9, v1
	v_mul_lo_u32 v27, v24, s2
	v_lshl_add_u64 v[8:9], v[8:9], 0, s[12:13]
	s_mov_b64 s[0:1], 0x4a
	v_lshl_add_u64 v[10:11], v[0:1], 0, s[12:13]
	v_mov_b32_e32 v3, v1
	v_bfe_u32 v6, v25, 1, 2
	v_mov_b32_e32 v7, v1
	v_lshl_add_u64 v[8:9], v[8:9], 0, s[0:1]
	v_add_u32_e32 v29, v26, v27
	v_lshl_add_u64 v[10:11], v[10:11], 0, 2
	s_mov_b64 s[0:1], 0
	s_movk_i32 s10, 0x6e
	v_mov_b64_e32 v[12:13], s[12:13]
	s_movk_i32 s11, 0x100
	s_mov_b32 s12, 0x1010101
	s_mov_b32 s13, 0x1000000
	v_mov_b32_e32 v0, 0xff0000
	v_mov_b32_e32 v30, 0xff00
	;; [unrolled: 1-line block ×3, first 2 shown]
	s_mov_b32 s14, 0xc060c00
.LBB73_3:                               ; =>This Loop Header: Depth=1
                                        ;     Child Loop BB73_4 Depth 2
	v_add_u32_e32 v14, v26, v27
	v_mad_i64_i32 v[16:17], s[16:17], v14, s10, v[12:13]
	v_lshl_add_u64 v[14:15], v[16:17], 0, v[2:3]
	global_load_ubyte v33, v[14:15], off offset:66
	v_lshl_add_u32 v14, v26, 3, s4
	v_mad_i64_i32 v[14:15], s[16:17], v14, 36, v[4:5]
	v_mad_i64_i32 v[18:19], s[16:17], v29, s10, v[8:9]
	;; [unrolled: 1-line block ×3, first 2 shown]
	v_lshl_add_u64 v[22:23], v[14:15], 0, 4
	s_mov_b32 s15, 7
	v_mov_b32_e32 v32, 0
.LBB73_4:                               ;   Parent Loop BB73_3 Depth=1
                                        ; =>  This Inner Loop Header: Depth=2
	global_load_ushort v34, v[20:21], off
	global_load_ubyte v36, v[18:19], off
	s_add_i32 s18, s15, 1
	s_waitcnt vmcnt(2)
	v_lshlrev_b32_e32 v37, s18, v33
	v_lshlrev_b32_e32 v35, s15, v33
	s_getpc_b64 s[16:17]
	s_add_u32 s16, s16, _ZL10iq3xs_grid@rel32@lo+4
	s_addc_u32 s17, s17, _ZL10iq3xs_grid@rel32@hi+12
	s_add_i32 s15, s15, -2
	v_lshl_add_u64 v[18:19], v[18:19], 0, 1
	v_lshl_add_u64 v[20:21], v[20:21], 0, 2
	s_cmp_lg_u32 s15, -1
	s_waitcnt vmcnt(1)
	v_and_b32_e32 v38, 0xff, v34
	v_lshrrev_b16_e32 v34, 8, v34
	v_and_or_b32 v37, v37, s11, v38
	v_and_or_b32 v34, v35, s11, v34
	v_lshlrev_b32_e32 v37, 2, v37
	v_lshlrev_b32_e32 v38, 2, v34
	global_load_dword v39, v37, s[16:17]
	global_load_dword v40, v38, s[16:17]
	global_load_dwordx2 v[34:35], v[22:23], off
	s_waitcnt vmcnt(3)
	v_and_b32_e32 v37, 15, v36
	v_lshrrev_b16_e32 v36, 4, v36
	v_mul_lo_u32 v36, v36, s12
	v_not_b32_e32 v36, v36
	v_and_b32_e32 v38, 0x8040201, v36
	v_and_b32_e32 v37, 0xffff, v37
	;; [unrolled: 1-line block ×3, first 2 shown]
	v_cmp_gt_u32_e32 vcc, s13, v38
	v_mul_lo_u32 v37, v37, s12
	v_and_b32_e32 v42, 0x200, v36
	v_cndmask_b32_e64 v38, 0, -1, vcc
	v_cmp_eq_u32_e32 vcc, 0, v41
	v_not_b32_e32 v37, v37
	v_and_b32_e32 v36, 1, v36
	v_cndmask_b32_e32 v41, 0, v0, vcc
	v_cmp_eq_u32_e32 vcc, 0, v42
	v_and_b32_e32 v43, 0x8040201, v37
	v_and_b32_e32 v44, 0x40000, v37
	v_cndmask_b32_e32 v42, 0, v30, vcc
	v_cmp_eq_u32_e32 vcc, 0, v36
	v_and_b32_e32 v45, 0x200, v37
	v_and_b32_e32 v37, 1, v37
	v_cndmask_b32_e32 v36, 0, v31, vcc
	v_cmp_gt_u32_e32 vcc, s13, v43
	v_lshlrev_b32_e32 v38, 24, v38
	v_or_b32_e32 v46, v42, v36
	v_cndmask_b32_e64 v43, 0, -1, vcc
	v_cmp_eq_u32_e32 vcc, 0, v44
	v_lshlrev_b32_e32 v43, 24, v43
	v_or3_b32 v46, v46, v41, v38
	v_cndmask_b32_e32 v44, 0, v0, vcc
	v_cmp_eq_u32_e32 vcc, 0, v45
	v_lshl_add_u64 v[22:23], v[22:23], 0, 8
	s_waitcnt vmcnt(1)
	v_xor_b32_e32 v40, v46, v40
	v_cndmask_b32_e32 v45, 0, v30, vcc
	v_cmp_eq_u32_e32 vcc, 0, v37
	v_sub_u32_e32 v38, v40, v38
	v_sub_u32_e32 v36, v40, v36
	v_cndmask_b32_e32 v37, 0, v31, vcc
	v_or_b32_e32 v47, v45, v37
	v_or3_b32 v47, v47, v44, v43
	v_xor_b32_e32 v39, v47, v39
	v_sub_u32_e32 v43, v39, v43
	v_sub_u32_e32 v44, v39, v44
	;; [unrolled: 1-line block ×6, first 2 shown]
	v_and_b32_e32 v40, 0xff000000, v43
	v_and_b32_e32 v42, 0xff00, v45
	v_perm_b32 v37, v44, v37, s14
	v_and_b32_e32 v38, 0xff000000, v38
	v_and_b32_e32 v41, 0xff00, v41
	v_perm_b32 v36, v39, v36, s14
	v_or3_b32 v37, v37, v40, v42
	v_or3_b32 v36, v36, v38, v41
	s_waitcnt vmcnt(0)
	v_dot4c_i32_i8_e32 v32, v37, v34
	v_dot4c_i32_i8_e32 v32, v36, v35
	s_cbranch_scc1 .LBB73_4
; %bb.5:                                ;   in Loop: Header=BB73_3 Depth=1
	global_load_ushort v18, v[16:17], off
	v_lshl_add_u64 v[16:17], v[16:17], 0, v[6:7]
	global_load_dword v19, v[14:15], off
	global_load_ubyte v20, v[16:17], off offset:106
	v_cvt_f32_i32_e32 v14, v32
	v_add_u32_e32 v26, 8, v26
	v_cmp_le_u32_e32 vcc, s2, v26
	s_or_b64 s[0:1], vcc, s[0:1]
	v_add_u32_e32 v29, 8, v29
	s_waitcnt vmcnt(2)
	v_cvt_f32_f16_e32 v15, v18
	s_waitcnt vmcnt(1)
	v_cvt_f32_f16_e32 v16, v19
	s_waitcnt vmcnt(0)
	v_bfe_u32 v17, v20, v28, 4
	v_cvt_f32_ubyte0_e32 v17, v17
	v_add_f32_e32 v17, 0.5, v17
	v_mul_f32_e32 v15, v17, v15
	v_mul_f32_e32 v15, v15, v16
	v_mul_f32_e32 v15, 0.5, v15
	v_fmac_f32_e32 v1, v15, v14
	s_andn2_b64 exec, exec, s[0:1]
	s_cbranch_execnz .LBB73_3
; %bb.6:
	s_or_b64 exec, exec, s[0:1]
.LBB73_7:
	s_or_b64 exec, exec, s[8:9]
	v_mbcnt_lo_u32_b32 v0, -1, 0
	v_mbcnt_hi_u32_b32 v2, -1, v0
	v_and_b32_e32 v0, 64, v2
	v_add_u32_e32 v3, 64, v0
	v_xor_b32_e32 v0, 32, v2
	v_cmp_lt_i32_e32 vcc, v0, v3
	v_xor_b32_e32 v4, 16, v2
	s_nop 0
	v_cndmask_b32_e32 v0, v2, v0, vcc
	v_lshlrev_b32_e32 v0, 2, v0
	ds_bpermute_b32 v0, v0, v1
	v_cmp_lt_i32_e32 vcc, v4, v3
	s_waitcnt lgkmcnt(0)
	v_add_f32_e32 v0, v1, v0
	v_cndmask_b32_e32 v1, v2, v4, vcc
	v_lshlrev_b32_e32 v1, 2, v1
	ds_bpermute_b32 v1, v1, v0
	v_xor_b32_e32 v4, 8, v2
	v_cmp_lt_i32_e32 vcc, v4, v3
	s_waitcnt lgkmcnt(0)
	v_add_f32_e32 v0, v0, v1
	v_cndmask_b32_e32 v1, v2, v4, vcc
	v_lshlrev_b32_e32 v1, 2, v1
	ds_bpermute_b32 v1, v1, v0
	v_xor_b32_e32 v4, 4, v2
	;; [unrolled: 7-line block ×4, first 2 shown]
	v_cmp_lt_i32_e32 vcc, v4, v3
	s_waitcnt lgkmcnt(0)
	v_add_f32_e32 v0, v0, v1
	v_cndmask_b32_e32 v1, v2, v4, vcc
	v_lshlrev_b32_e32 v1, 2, v1
	ds_bpermute_b32 v1, v1, v0
	v_cmp_eq_u32_e32 vcc, 0, v25
	s_and_b64 exec, exec, vcc
	s_cbranch_execz .LBB73_9
; %bb.8:
	s_mul_i32 s3, s3, s5
	s_waitcnt lgkmcnt(0)
	v_add_f32_e32 v2, v0, v1
	v_add_u32_e32 v0, s3, v24
	v_mov_b32_e32 v1, 0
	v_lshl_add_u64 v[0:1], v[0:1], 2, s[6:7]
	global_store_dword v[0:1], v2, off
.LBB73_9:
	s_endpgm
	.section	.rodata,"a",@progbits
	.p2align	6, 0x0
	.amdhsa_kernel _ZL13mul_mat_vec_qIfLi256ELi8E11block_iq3_sLi1EXadL_ZL18vec_dot_iq3_s_q8_1PKvPK10block_q8_1RKiEEEvS2_S2_PT_iii
		.amdhsa_group_segment_fixed_size 0
		.amdhsa_private_segment_fixed_size 0
		.amdhsa_kernarg_size 296
		.amdhsa_user_sgpr_count 2
		.amdhsa_user_sgpr_dispatch_ptr 0
		.amdhsa_user_sgpr_queue_ptr 0
		.amdhsa_user_sgpr_kernarg_segment_ptr 1
		.amdhsa_user_sgpr_dispatch_id 0
		.amdhsa_user_sgpr_kernarg_preload_length 0
		.amdhsa_user_sgpr_kernarg_preload_offset 0
		.amdhsa_user_sgpr_private_segment_size 0
		.amdhsa_uses_dynamic_stack 0
		.amdhsa_enable_private_segment 0
		.amdhsa_system_sgpr_workgroup_id_x 1
		.amdhsa_system_sgpr_workgroup_id_y 1
		.amdhsa_system_sgpr_workgroup_id_z 0
		.amdhsa_system_sgpr_workgroup_info 0
		.amdhsa_system_vgpr_workitem_id 1
		.amdhsa_next_free_vgpr 48
		.amdhsa_next_free_sgpr 19
		.amdhsa_accum_offset 48
		.amdhsa_reserve_vcc 1
		.amdhsa_float_round_mode_32 0
		.amdhsa_float_round_mode_16_64 0
		.amdhsa_float_denorm_mode_32 3
		.amdhsa_float_denorm_mode_16_64 3
		.amdhsa_dx10_clamp 1
		.amdhsa_ieee_mode 1
		.amdhsa_fp16_overflow 0
		.amdhsa_tg_split 0
		.amdhsa_exception_fp_ieee_invalid_op 0
		.amdhsa_exception_fp_denorm_src 0
		.amdhsa_exception_fp_ieee_div_zero 0
		.amdhsa_exception_fp_ieee_overflow 0
		.amdhsa_exception_fp_ieee_underflow 0
		.amdhsa_exception_fp_ieee_inexact 0
		.amdhsa_exception_int_div_zero 0
	.end_amdhsa_kernel
	.section	.text._ZL13mul_mat_vec_qIfLi256ELi8E11block_iq3_sLi1EXadL_ZL18vec_dot_iq3_s_q8_1PKvPK10block_q8_1RKiEEEvS2_S2_PT_iii,"axG",@progbits,_ZL13mul_mat_vec_qIfLi256ELi8E11block_iq3_sLi1EXadL_ZL18vec_dot_iq3_s_q8_1PKvPK10block_q8_1RKiEEEvS2_S2_PT_iii,comdat
.Lfunc_end73:
	.size	_ZL13mul_mat_vec_qIfLi256ELi8E11block_iq3_sLi1EXadL_ZL18vec_dot_iq3_s_q8_1PKvPK10block_q8_1RKiEEEvS2_S2_PT_iii, .Lfunc_end73-_ZL13mul_mat_vec_qIfLi256ELi8E11block_iq3_sLi1EXadL_ZL18vec_dot_iq3_s_q8_1PKvPK10block_q8_1RKiEEEvS2_S2_PT_iii
                                        ; -- End function
	.section	.AMDGPU.csdata,"",@progbits
; Kernel info:
; codeLenInByte = 1264
; NumSgprs: 25
; NumVgprs: 48
; NumAgprs: 0
; TotalNumVgprs: 48
; ScratchSize: 0
; MemoryBound: 0
; FloatMode: 240
; IeeeMode: 1
; LDSByteSize: 0 bytes/workgroup (compile time only)
; SGPRBlocks: 3
; VGPRBlocks: 5
; NumSGPRsForWavesPerEU: 25
; NumVGPRsForWavesPerEU: 48
; AccumOffset: 48
; Occupancy: 8
; WaveLimiterHint : 0
; COMPUTE_PGM_RSRC2:SCRATCH_EN: 0
; COMPUTE_PGM_RSRC2:USER_SGPR: 2
; COMPUTE_PGM_RSRC2:TRAP_HANDLER: 0
; COMPUTE_PGM_RSRC2:TGID_X_EN: 1
; COMPUTE_PGM_RSRC2:TGID_Y_EN: 1
; COMPUTE_PGM_RSRC2:TGID_Z_EN: 0
; COMPUTE_PGM_RSRC2:TIDIG_COMP_CNT: 1
; COMPUTE_PGM_RSRC3_GFX90A:ACCUM_OFFSET: 11
; COMPUTE_PGM_RSRC3_GFX90A:TG_SPLIT: 0
	.section	.text._ZL13mul_mat_vec_qIfLi256ELi8E11block_iq2_sLi1EXadL_ZL18vec_dot_iq2_s_q8_1PKvPK10block_q8_1RKiEEEvS2_S2_PT_iii,"axG",@progbits,_ZL13mul_mat_vec_qIfLi256ELi8E11block_iq2_sLi1EXadL_ZL18vec_dot_iq2_s_q8_1PKvPK10block_q8_1RKiEEEvS2_S2_PT_iii,comdat
	.globl	_ZL13mul_mat_vec_qIfLi256ELi8E11block_iq2_sLi1EXadL_ZL18vec_dot_iq2_s_q8_1PKvPK10block_q8_1RKiEEEvS2_S2_PT_iii ; -- Begin function _ZL13mul_mat_vec_qIfLi256ELi8E11block_iq2_sLi1EXadL_ZL18vec_dot_iq2_s_q8_1PKvPK10block_q8_1RKiEEEvS2_S2_PT_iii
	.p2align	8
	.type	_ZL13mul_mat_vec_qIfLi256ELi8E11block_iq2_sLi1EXadL_ZL18vec_dot_iq2_s_q8_1PKvPK10block_q8_1RKiEEEvS2_S2_PT_iii,@function
_ZL13mul_mat_vec_qIfLi256ELi8E11block_iq2_sLi1EXadL_ZL18vec_dot_iq2_s_q8_1PKvPK10block_q8_1RKiEEEvS2_S2_PT_iii: ; @_ZL13mul_mat_vec_qIfLi256ELi8E11block_iq2_sLi1EXadL_ZL18vec_dot_iq2_s_q8_1PKvPK10block_q8_1RKiEEEvS2_S2_PT_iii
; %bb.0:
	s_load_dword s8, s[0:1], 0x34
	s_load_dwordx4 s[4:7], s[0:1], 0x18
	v_bfe_u32 v1, v0, 10, 10
	s_waitcnt lgkmcnt(0)
	s_lshr_b32 s7, s8, 16
	s_mul_i32 s2, s2, s7
	v_add_u32_e32 v14, s2, v1
	s_cmp_lt_u32 s3, s6
	v_cmp_gt_u32_e32 vcc, s5, v14
	s_cselect_b64 s[6:7], -1, 0
	s_and_b64 s[6:7], s[6:7], vcc
	s_and_saveexec_b64 s[8:9], s[6:7]
	s_cbranch_execz .LBB74_7
; %bb.1:
	s_load_dwordx2 s[6:7], s[0:1], 0x10
	s_ashr_i32 s2, s4, 31
	s_lshr_b32 s2, s2, 24
	s_add_i32 s2, s4, s2
	v_and_b32_e32 v15, 0x3ff, v0
	s_ashr_i32 s2, s2, 8
	v_lshrrev_b32_e32 v16, 3, v15
	v_cmp_gt_u32_e32 vcc, s2, v16
	v_mov_b32_e32 v17, 0
	s_and_saveexec_b64 s[8:9], vcc
	s_cbranch_execz .LBB74_5
; %bb.2:
	s_load_dwordx4 s[12:15], s[0:1], 0x0
	s_add_i32 s0, s4, 0x1ff
	s_ashr_i32 s1, s0, 31
	s_lshr_b32 s1, s1, 23
	s_add_i32 s0, s0, s1
	s_ashr_i32 s0, s0, 9
	s_mul_i32 s4, s3, s0
	v_and_b32_e32 v0, 7, v15
	v_mov_b32_e32 v1, 0
	v_lshlrev_b32_e32 v6, 3, v16
	v_mul_lo_u32 v18, v14, s2
	s_waitcnt lgkmcnt(0)
	v_mad_u64_u32 v[2:3], s[0:1], v0, 36, s[14:15]
	v_lshlrev_b32_e32 v4, 2, v0
	v_mov_b32_e32 v5, v1
	v_lshl_add_u32 v19, s4, 4, v6
	s_mov_b64 s[10:11], 0
	s_movk_i32 s4, 0x52
	v_mov_b64_e32 v[6:7], s[12:13]
	s_movk_i32 s12, 0x300
	s_mov_b32 s13, 0x1010101
	s_mov_b32 s14, 0x1000000
	v_mov_b32_e32 v20, 0xff0000
	v_mov_b32_e32 v21, 0xff00
	;; [unrolled: 1-line block ×3, first 2 shown]
	s_mov_b32 s15, 0xc060c00
	v_mov_b32_e32 v23, 4
	v_mov_b32_e32 v17, v1
.LBB74_3:                               ; =>This Inner Loop Header: Depth=1
	v_add_u32_e32 v8, v18, v16
	v_mad_i64_i32 v[8:9], s[16:17], v8, s4, v[6:7]
	v_lshl_add_u64 v[10:11], v[8:9], 0, v[4:5]
	v_lshl_add_u64 v[12:13], v[8:9], 0, v[0:1]
	global_load_ushort v28, v[8:9], off
	global_load_dword v24, v[10:11], off offset:2
	global_load_ubyte v25, v[12:13], off offset:66
	global_load_dword v26, v[10:11], off offset:34
	global_load_ubyte v29, v[12:13], off offset:74
	s_getpc_b64 s[0:1]
	s_add_u32 s0, s0, _ZL9iq2s_grid@rel32@lo+4
	s_addc_u32 s1, s1, _ZL9iq2s_grid@rel32@hi+12
	v_add_u32_e32 v16, 8, v16
	s_waitcnt vmcnt(4)
	v_cvt_f32_f16_e32 v28, v28
	s_waitcnt vmcnt(3)
	v_lshrrev_b32_e32 v8, 24, v24
	v_and_b32_e32 v9, 0xff, v24
	s_waitcnt vmcnt(2)
	v_lshlrev_b32_e32 v10, 8, v25
	s_waitcnt vmcnt(1)
	v_lshrrev_b32_e32 v11, 8, v26
	v_and_b32_e32 v12, 15, v26
	v_lshrrev_b16_e32 v13, 4, v26
	v_bfe_u32 v27, v24, 8, 8
	v_lshlrev_b32_e32 v30, 6, v25
	v_bfe_u32 v31, v26, 8, 4
	v_bfe_u32 v24, v24, 16, 8
	v_lshlrev_b32_e32 v32, 4, v25
	v_bfe_u32 v33, v26, 16, 4
	v_bfe_u32 v34, v26, 20, 4
	v_lshlrev_b32_e32 v25, 2, v25
	v_bfe_u32 v35, v26, 24, 4
	v_lshrrev_b16_sdwa v26, v23, v26 dst_sel:DWORD dst_unused:UNUSED_PAD src0_sel:DWORD src1_sel:BYTE_3
	v_and_or_b32 v9, v10, s12, v9
	v_mul_lo_u32 v10, v12, s13
	v_and_b32_e32 v12, 15, v13
	v_and_or_b32 v13, v30, s12, v27
	v_mul_lo_u32 v27, v31, s13
	v_lshrrev_b16_e32 v11, 4, v11
	v_and_or_b32 v24, v32, s12, v24
	v_mul_lo_u32 v30, v33, s13
	v_mul_lo_u32 v31, v34, s13
	v_and_or_b32 v8, v25, s12, v8
	v_mul_lo_u32 v25, v35, s13
	v_mul_lo_u32 v26, v26, s13
	v_lshlrev_b32_e32 v32, 3, v9
	v_not_b32_e32 v9, v10
	v_and_b32_e32 v10, 0xffff, v12
	v_lshlrev_b32_e32 v33, 3, v13
	v_not_b32_e32 v12, v27
	v_and_b32_e32 v11, 15, v11
	v_lshlrev_b32_e32 v27, 3, v24
	v_not_b32_e32 v13, v30
	v_not_b32_e32 v24, v31
	v_lshlrev_b32_e32 v30, 3, v8
	v_not_b32_e32 v8, v25
	v_not_b32_e32 v25, v26
	v_and_b32_e32 v26, 0x8040201, v9
	v_and_b32_e32 v31, 0x40000, v9
	;; [unrolled: 1-line block ×4, first 2 shown]
	v_mul_lo_u32 v36, v10, s13
	v_and_b32_e32 v37, 0x8040201, v12
	v_and_b32_e32 v38, 0x40000, v12
	;; [unrolled: 1-line block ×21, first 2 shown]
	global_load_dwordx2 v[8:9], v32, s[0:1]
	global_load_dwordx2 v[10:11], v33, s[0:1]
	;; [unrolled: 1-line block ×4, first 2 shown]
	v_cmp_gt_u32_e32 vcc, s14, v26
	v_not_b32_e32 v32, v36
	s_nop 0
	v_cndmask_b32_e64 v26, 0, -1, vcc
	v_cmp_eq_u32_e32 vcc, 0, v31
	v_lshlrev_b32_e32 v26, 24, v26
	s_nop 0
	v_cndmask_b32_e32 v27, 0, v20, vcc
	v_cmp_eq_u32_e32 vcc, 0, v34
	s_nop 1
	v_cndmask_b32_e32 v30, 0, v21, vcc
	v_cmp_eq_u32_e32 vcc, 0, v35
	s_nop 1
	v_cndmask_b32_e32 v31, 0, v22, vcc
	v_cmp_gt_u32_e32 vcc, s14, v37
	v_mul_lo_u32 v37, v41, s13
	v_not_b32_e32 v37, v37
	v_cndmask_b32_e64 v33, 0, -1, vcc
	v_cmp_eq_u32_e32 vcc, 0, v38
	v_and_b32_e32 v59, 0x8040201, v37
	v_and_b32_e32 v60, 0x40000, v37
	v_cndmask_b32_e32 v34, 0, v20, vcc
	v_cmp_eq_u32_e32 vcc, 0, v39
	v_and_b32_e32 v61, 0x200, v37
	v_and_b32_e32 v37, 1, v37
	v_cndmask_b32_e32 v35, 0, v21, vcc
	v_cmp_eq_u32_e32 vcc, 0, v40
	v_cmp_gt_u32_e64 s[0:1], s14, v59
	v_lshlrev_b32_e32 v33, 24, v33
	v_cndmask_b32_e32 v36, 0, v22, vcc
	v_cmp_gt_u32_e32 vcc, s14, v42
	v_cndmask_b32_e64 v59, 0, -1, s[0:1]
	v_cmp_eq_u32_e64 s[0:1], 0, v60
	v_cndmask_b32_e64 v38, 0, -1, vcc
	v_cmp_eq_u32_e32 vcc, 0, v43
	v_cndmask_b32_e64 v60, 0, v20, s[0:1]
	v_cmp_eq_u32_e64 s[0:1], 0, v61
	v_cndmask_b32_e32 v39, 0, v20, vcc
	v_cmp_eq_u32_e32 vcc, 0, v44
	v_cndmask_b32_e64 v61, 0, v21, s[0:1]
	v_or_b32_e32 v58, v35, v36
	v_cndmask_b32_e32 v40, 0, v21, vcc
	v_cmp_eq_u32_e32 vcc, 0, v45
	v_or3_b32 v58, v58, v34, v33
	v_lshlrev_b32_e32 v38, 24, v38
	v_cndmask_b32_e32 v41, 0, v22, vcc
	v_cmp_gt_u32_e32 vcc, s14, v46
	s_waitcnt vmcnt(2)
	v_xor_b32_e32 v10, v58, v10
	v_cndmask_b32_e64 v42, 0, -1, vcc
	v_cmp_eq_u32_e32 vcc, 0, v47
	v_or_b32_e32 v58, v40, v41
	v_lshlrev_b32_e32 v42, 24, v42
	v_cndmask_b32_e32 v43, 0, v20, vcc
	v_cmp_eq_u32_e32 vcc, 0, v48
	v_or3_b32 v58, v58, v39, v38
	s_waitcnt vmcnt(1)
	v_xor_b32_e32 v58, v58, v12
	v_cndmask_b32_e32 v44, 0, v21, vcc
	v_cmp_eq_u32_e32 vcc, 0, v49
	v_sub_u32_e32 v33, v10, v33
	v_sub_u32_e32 v34, v10, v34
	v_cndmask_b32_e32 v45, 0, v22, vcc
	v_cmp_gt_u32_e32 vcc, s14, v50
	v_sub_u32_e32 v35, v10, v35
	v_sub_u32_e32 v36, v10, v36
	v_cndmask_b32_e64 v46, 0, -1, vcc
	v_cmp_eq_u32_e32 vcc, 0, v51
	v_lshlrev_b32_e32 v46, 24, v46
	v_sub_u32_e32 v38, v58, v38
	v_cndmask_b32_e32 v47, 0, v20, vcc
	v_cmp_eq_u32_e32 vcc, 0, v52
	v_sub_u32_e32 v39, v58, v39
	v_sub_u32_e32 v40, v58, v40
	v_cndmask_b32_e32 v48, 0, v21, vcc
	v_cmp_eq_u32_e32 vcc, 0, v53
	v_sub_u32_e32 v41, v58, v41
	v_and_b32_e32 v38, 0xff000000, v38
	v_cndmask_b32_e32 v49, 0, v22, vcc
	v_cmp_gt_u32_e32 vcc, s14, v54
	v_or_b32_e32 v54, v30, v31
	v_or3_b32 v54, v54, v27, v26
	v_cndmask_b32_e64 v50, 0, -1, vcc
	v_cmp_eq_u32_e32 vcc, 0, v55
	v_and_b32_e32 v55, 0x8040201, v32
	v_xor_b32_e32 v8, v54, v8
	v_cndmask_b32_e32 v51, 0, v20, vcc
	v_cmp_eq_u32_e32 vcc, 0, v56
	v_and_b32_e32 v56, 0x40000, v32
	v_lshlrev_b32_e32 v54, 24, v59
	v_cndmask_b32_e32 v52, 0, v21, vcc
	v_cmp_eq_u32_e32 vcc, 0, v57
	v_and_b32_e32 v57, 0x200, v32
	v_and_b32_e32 v32, 1, v32
	v_cndmask_b32_e32 v53, 0, v22, vcc
	v_cmp_gt_u32_e32 vcc, s14, v55
	v_or_b32_e32 v12, v48, v49
	v_lshlrev_b32_e32 v50, 24, v50
	v_cndmask_b32_e64 v55, 0, -1, vcc
	v_cmp_eq_u32_e32 vcc, 0, v56
	v_lshlrev_b32_e32 v55, 24, v55
	v_or3_b32 v12, v12, v47, v46
	v_cndmask_b32_e32 v56, 0, v20, vcc
	v_cmp_eq_u32_e32 vcc, 0, v57
	s_waitcnt vmcnt(0)
	v_xor_b32_e32 v24, v12, v24
	v_sub_u32_e32 v63, v8, v26
	v_cndmask_b32_e32 v57, 0, v21, vcc
	v_cmp_eq_u32_e32 vcc, 0, v32
	v_sub_u32_e32 v64, v8, v27
	v_sub_u32_e32 v30, v8, v30
	v_cndmask_b32_e32 v32, 0, v22, vcc
	v_cmp_eq_u32_e32 vcc, 0, v37
	v_or_b32_e32 v37, v57, v32
	v_or3_b32 v37, v37, v56, v55
	v_xor_b32_e32 v9, v37, v9
	v_cndmask_b32_e32 v37, 0, v22, vcc
	v_or_b32_e32 v59, v61, v37
	v_or3_b32 v59, v59, v60, v54
	v_xor_b32_e32 v11, v59, v11
	v_or_b32_e32 v59, v44, v45
	v_or3_b32 v59, v59, v43, v42
	v_xor_b32_e32 v59, v59, v13
	;; [unrolled: 3-line block ×3, first 2 shown]
	v_mad_i64_i32 v[12:13], s[0:1], v19, 36, v[2:3]
	v_sub_u32_e32 v31, v8, v31
	v_sub_u32_e32 v55, v9, v55
	;; [unrolled: 1-line block ×9, first 2 shown]
	global_load_dwordx4 v[8:11], v[12:13], off
	v_sub_u32_e32 v46, v24, v46
	v_sub_u32_e32 v47, v24, v47
	;; [unrolled: 1-line block ×4, first 2 shown]
	global_load_dwordx4 v[24:27], v[12:13], off offset:16
	global_load_dword v58, v[12:13], off offset:32
	v_sub_u32_e32 v42, v59, v42
	v_sub_u32_e32 v43, v59, v43
	;; [unrolled: 1-line block ×8, first 2 shown]
	v_and_b32_e32 v40, 0xff00, v40
	v_perm_b32 v39, v39, v41, s15
	v_mov_b32_e32 v52, 0
	v_perm_b32 v31, v64, v31, s15
	v_perm_b32 v32, v56, v32, s15
	v_and_b32_e32 v56, 0xff000000, v63
	v_and_b32_e32 v41, 0xff000000, v42
	;; [unrolled: 1-line block ×3, first 2 shown]
	v_perm_b32 v43, v43, v45, s15
	v_and_b32_e32 v44, 0xff000000, v46
	v_perm_b32 v46, v47, v49, s15
	v_and_b32_e32 v12, 0xff000000, v12
	v_and_b32_e32 v47, 0xff00, v50
	v_perm_b32 v13, v13, v51, s15
	v_and_b32_e32 v30, 0xff00, v30
	v_or3_b32 v38, v39, v38, v40
	v_mov_b32_e32 v53, 0
	v_and_b32_e32 v55, 0xff000000, v55
	v_and_b32_e32 v45, 0xff00, v48
	;; [unrolled: 1-line block ×3, first 2 shown]
	v_or3_b32 v39, v43, v41, v42
	v_or3_b32 v12, v13, v12, v47
	;; [unrolled: 1-line block ×3, first 2 shown]
	v_perm_b32 v34, v34, v36, s15
	v_and_b32_e32 v33, 0xff000000, v33
	v_and_b32_e32 v35, 0xff00, v35
	v_or3_b32 v40, v46, v44, v45
	v_or3_b32 v30, v32, v55, v48
	v_and_b32_e32 v54, 0xff000000, v54
	v_perm_b32 v37, v60, v37, s15
	v_and_b32_e32 v49, 0xff00, v61
	v_or3_b32 v31, v34, v33, v35
	v_or3_b32 v32, v37, v54, v49
	v_lshrrev_b16_e32 v36, 4, v29
	v_and_b32_e32 v29, 15, v29
	v_cvt_f32_ubyte0_e32 v36, v36
	v_cvt_f32_ubyte0_e32 v29, v29
	v_add_f32_e32 v36, 0.5, v36
	v_add_f32_e32 v29, 0.5, v29
	v_cmp_le_u32_e32 vcc, s2, v16
	v_add_u32_e32 v19, 64, v19
	s_or_b64 s[10:11], vcc, s[10:11]
	s_waitcnt vmcnt(2)
	v_dot4c_i32_i8_e32 v53, v13, v9
	v_dot4c_i32_i8_e32 v53, v30, v10
	;; [unrolled: 1-line block ×3, first 2 shown]
	v_cvt_f32_f16_e32 v8, v8
	s_waitcnt vmcnt(1)
	v_dot4c_i32_i8_e32 v52, v38, v25
	v_dot4c_i32_i8_e32 v52, v39, v26
	;; [unrolled: 1-line block ×3, first 2 shown]
	s_waitcnt vmcnt(0)
	v_dot4c_i32_i8_e32 v52, v12, v58
	v_dot4c_i32_i8_e32 v53, v32, v24
	v_mul_f32_e32 v8, v28, v8
	v_mul_f32_e32 v8, 0x3e800000, v8
	v_cvt_f32_i32_e32 v9, v52
	v_cvt_f32_i32_e32 v10, v53
	v_mul_f32_e32 v9, v36, v9
	v_fmac_f32_e32 v9, v29, v10
	v_fmac_f32_e32 v17, v8, v9
	s_andn2_b64 exec, exec, s[10:11]
	s_cbranch_execnz .LBB74_3
; %bb.4:
	s_or_b64 exec, exec, s[10:11]
.LBB74_5:
	s_or_b64 exec, exec, s[8:9]
	v_mbcnt_lo_u32_b32 v0, -1, 0
	v_mbcnt_hi_u32_b32 v1, -1, v0
	v_and_b32_e32 v0, 64, v1
	v_add_u32_e32 v2, 64, v0
	v_xor_b32_e32 v0, 32, v1
	v_cmp_lt_i32_e32 vcc, v0, v2
	v_xor_b32_e32 v3, 16, v1
	v_xor_b32_e32 v4, 8, v1
	v_cndmask_b32_e32 v0, v1, v0, vcc
	v_lshlrev_b32_e32 v0, 2, v0
	ds_bpermute_b32 v0, v0, v17
	v_cmp_lt_i32_e32 vcc, v3, v2
	s_waitcnt lgkmcnt(0)
	v_add_f32_e32 v0, v17, v0
	v_cndmask_b32_e32 v3, v1, v3, vcc
	v_lshlrev_b32_e32 v3, 2, v3
	ds_bpermute_b32 v3, v3, v0
	v_cmp_lt_i32_e32 vcc, v4, v2
	s_waitcnt lgkmcnt(0)
	v_add_f32_e32 v0, v0, v3
	v_cndmask_b32_e32 v3, v1, v4, vcc
	v_lshlrev_b32_e32 v3, 2, v3
	ds_bpermute_b32 v3, v3, v0
	v_xor_b32_e32 v4, 4, v1
	v_cmp_lt_i32_e32 vcc, v4, v2
	s_waitcnt lgkmcnt(0)
	v_add_f32_e32 v0, v0, v3
	v_cndmask_b32_e32 v3, v1, v4, vcc
	v_lshlrev_b32_e32 v3, 2, v3
	ds_bpermute_b32 v3, v3, v0
	v_xor_b32_e32 v4, 2, v1
	;; [unrolled: 7-line block ×3, first 2 shown]
	v_cmp_lt_i32_e32 vcc, v4, v2
	s_waitcnt lgkmcnt(0)
	v_add_f32_e32 v0, v0, v3
	v_cndmask_b32_e32 v1, v1, v4, vcc
	v_lshlrev_b32_e32 v1, 2, v1
	ds_bpermute_b32 v1, v1, v0
	v_cmp_eq_u32_e32 vcc, 0, v15
	s_and_b64 exec, exec, vcc
	s_cbranch_execz .LBB74_7
; %bb.6:
	s_mul_i32 s3, s3, s5
	s_waitcnt lgkmcnt(0)
	v_add_f32_e32 v2, v0, v1
	v_add_u32_e32 v0, s3, v14
	v_mov_b32_e32 v1, 0
	v_lshl_add_u64 v[0:1], v[0:1], 2, s[6:7]
	global_store_dword v[0:1], v2, off
.LBB74_7:
	s_endpgm
	.section	.rodata,"a",@progbits
	.p2align	6, 0x0
	.amdhsa_kernel _ZL13mul_mat_vec_qIfLi256ELi8E11block_iq2_sLi1EXadL_ZL18vec_dot_iq2_s_q8_1PKvPK10block_q8_1RKiEEEvS2_S2_PT_iii
		.amdhsa_group_segment_fixed_size 0
		.amdhsa_private_segment_fixed_size 0
		.amdhsa_kernarg_size 296
		.amdhsa_user_sgpr_count 2
		.amdhsa_user_sgpr_dispatch_ptr 0
		.amdhsa_user_sgpr_queue_ptr 0
		.amdhsa_user_sgpr_kernarg_segment_ptr 1
		.amdhsa_user_sgpr_dispatch_id 0
		.amdhsa_user_sgpr_kernarg_preload_length 0
		.amdhsa_user_sgpr_kernarg_preload_offset 0
		.amdhsa_user_sgpr_private_segment_size 0
		.amdhsa_uses_dynamic_stack 0
		.amdhsa_enable_private_segment 0
		.amdhsa_system_sgpr_workgroup_id_x 1
		.amdhsa_system_sgpr_workgroup_id_y 1
		.amdhsa_system_sgpr_workgroup_id_z 0
		.amdhsa_system_sgpr_workgroup_info 0
		.amdhsa_system_vgpr_workitem_id 1
		.amdhsa_next_free_vgpr 65
		.amdhsa_next_free_sgpr 18
		.amdhsa_accum_offset 68
		.amdhsa_reserve_vcc 1
		.amdhsa_float_round_mode_32 0
		.amdhsa_float_round_mode_16_64 0
		.amdhsa_float_denorm_mode_32 3
		.amdhsa_float_denorm_mode_16_64 3
		.amdhsa_dx10_clamp 1
		.amdhsa_ieee_mode 1
		.amdhsa_fp16_overflow 0
		.amdhsa_tg_split 0
		.amdhsa_exception_fp_ieee_invalid_op 0
		.amdhsa_exception_fp_denorm_src 0
		.amdhsa_exception_fp_ieee_div_zero 0
		.amdhsa_exception_fp_ieee_overflow 0
		.amdhsa_exception_fp_ieee_underflow 0
		.amdhsa_exception_fp_ieee_inexact 0
		.amdhsa_exception_int_div_zero 0
	.end_amdhsa_kernel
	.section	.text._ZL13mul_mat_vec_qIfLi256ELi8E11block_iq2_sLi1EXadL_ZL18vec_dot_iq2_s_q8_1PKvPK10block_q8_1RKiEEEvS2_S2_PT_iii,"axG",@progbits,_ZL13mul_mat_vec_qIfLi256ELi8E11block_iq2_sLi1EXadL_ZL18vec_dot_iq2_s_q8_1PKvPK10block_q8_1RKiEEEvS2_S2_PT_iii,comdat
.Lfunc_end74:
	.size	_ZL13mul_mat_vec_qIfLi256ELi8E11block_iq2_sLi1EXadL_ZL18vec_dot_iq2_s_q8_1PKvPK10block_q8_1RKiEEEvS2_S2_PT_iii, .Lfunc_end74-_ZL13mul_mat_vec_qIfLi256ELi8E11block_iq2_sLi1EXadL_ZL18vec_dot_iq2_s_q8_1PKvPK10block_q8_1RKiEEEvS2_S2_PT_iii
                                        ; -- End function
	.section	.AMDGPU.csdata,"",@progbits
; Kernel info:
; codeLenInByte = 2220
; NumSgprs: 24
; NumVgprs: 65
; NumAgprs: 0
; TotalNumVgprs: 65
; ScratchSize: 0
; MemoryBound: 0
; FloatMode: 240
; IeeeMode: 1
; LDSByteSize: 0 bytes/workgroup (compile time only)
; SGPRBlocks: 2
; VGPRBlocks: 8
; NumSGPRsForWavesPerEU: 24
; NumVGPRsForWavesPerEU: 65
; AccumOffset: 68
; Occupancy: 7
; WaveLimiterHint : 0
; COMPUTE_PGM_RSRC2:SCRATCH_EN: 0
; COMPUTE_PGM_RSRC2:USER_SGPR: 2
; COMPUTE_PGM_RSRC2:TRAP_HANDLER: 0
; COMPUTE_PGM_RSRC2:TGID_X_EN: 1
; COMPUTE_PGM_RSRC2:TGID_Y_EN: 1
; COMPUTE_PGM_RSRC2:TGID_Z_EN: 0
; COMPUTE_PGM_RSRC2:TIDIG_COMP_CNT: 1
; COMPUTE_PGM_RSRC3_GFX90A:ACCUM_OFFSET: 16
; COMPUTE_PGM_RSRC3_GFX90A:TG_SPLIT: 0
	.section	.text._ZL13mul_mat_vec_qIfLi256ELi8E12block_iq4_xsLi1EXadL_ZL19vec_dot_iq4_xs_q8_1PKvPK10block_q8_1RKiEEEvS2_S2_PT_iii,"axG",@progbits,_ZL13mul_mat_vec_qIfLi256ELi8E12block_iq4_xsLi1EXadL_ZL19vec_dot_iq4_xs_q8_1PKvPK10block_q8_1RKiEEEvS2_S2_PT_iii,comdat
	.globl	_ZL13mul_mat_vec_qIfLi256ELi8E12block_iq4_xsLi1EXadL_ZL19vec_dot_iq4_xs_q8_1PKvPK10block_q8_1RKiEEEvS2_S2_PT_iii ; -- Begin function _ZL13mul_mat_vec_qIfLi256ELi8E12block_iq4_xsLi1EXadL_ZL19vec_dot_iq4_xs_q8_1PKvPK10block_q8_1RKiEEEvS2_S2_PT_iii
	.p2align	8
	.type	_ZL13mul_mat_vec_qIfLi256ELi8E12block_iq4_xsLi1EXadL_ZL19vec_dot_iq4_xs_q8_1PKvPK10block_q8_1RKiEEEvS2_S2_PT_iii,@function
_ZL13mul_mat_vec_qIfLi256ELi8E12block_iq4_xsLi1EXadL_ZL19vec_dot_iq4_xs_q8_1PKvPK10block_q8_1RKiEEEvS2_S2_PT_iii: ; @_ZL13mul_mat_vec_qIfLi256ELi8E12block_iq4_xsLi1EXadL_ZL19vec_dot_iq4_xs_q8_1PKvPK10block_q8_1RKiEEEvS2_S2_PT_iii
; %bb.0:
	s_load_dword s8, s[0:1], 0x34
	s_load_dwordx4 s[4:7], s[0:1], 0x18
	v_bfe_u32 v1, v0, 10, 10
	s_waitcnt lgkmcnt(0)
	s_lshr_b32 s7, s8, 16
	s_mul_i32 s2, s2, s7
	v_add_u32_e32 v18, s2, v1
	s_cmp_lt_u32 s3, s6
	v_cmp_gt_u32_e32 vcc, s5, v18
	s_cselect_b64 s[6:7], -1, 0
	s_and_b64 s[6:7], s[6:7], vcc
	s_and_saveexec_b64 s[8:9], s[6:7]
	s_cbranch_execz .LBB75_7
; %bb.1:
	s_load_dwordx2 s[6:7], s[0:1], 0x10
	s_ashr_i32 s2, s4, 31
	s_lshr_b32 s2, s2, 24
	s_add_i32 s2, s4, s2
	v_and_b32_e32 v19, 0x3ff, v0
	s_ashr_i32 s2, s2, 8
	v_lshrrev_b32_e32 v20, 3, v19
	v_cmp_gt_u32_e32 vcc, s2, v20
	v_mov_b32_e32 v21, 0
	s_and_saveexec_b64 s[8:9], vcc
	s_cbranch_execz .LBB75_5
; %bb.2:
	s_load_dwordx4 s[12:15], s[0:1], 0x0
	s_add_i32 s0, s4, 0x1ff
	s_ashr_i32 s1, s0, 31
	s_lshr_b32 s1, s1, 23
	s_add_i32 s0, s0, s1
	s_ashr_i32 s0, s0, 9
	v_and_b32_e32 v1, 7, v19
	s_mul_i32 s4, s3, s0
	s_waitcnt lgkmcnt(0)
	v_mad_u64_u32 v[8:9], s[0:1], v1, 36, s[14:15]
	v_lshlrev_b32_e32 v0, 2, v1
	v_mov_b32_e32 v11, 0
	v_lshlrev_b32_e32 v2, 2, v19
	v_lshlrev_b32_e32 v24, 1, v1
	;; [unrolled: 1-line block ×3, first 2 shown]
	v_mul_lo_u32 v22, v18, s2
	v_bfe_u32 v10, v19, 1, 2
	v_and_b32_e32 v23, 4, v2
	v_lshl_add_u32 v25, s4, 4, v1
	s_mov_b64 s[0:1], 0
	s_movk_i32 s4, 0x88
	v_mov_b64_e32 v[12:13], s[12:13]
	v_lshlrev_b32_e32 v14, 2, v0
	v_mov_b32_e32 v15, v11
	v_mov_b32_e32 v21, v11
.LBB75_3:                               ; =>This Inner Loop Header: Depth=1
	v_add_u32_e32 v0, v22, v20
	v_mad_i64_i32 v[26:27], s[12:13], v0, s4, v[12:13]
	v_lshl_add_u64 v[28:29], v[26:27], 0, v[14:15]
	v_mad_i64_i32 v[16:17], s[10:11], v25, 36, v[8:9]
	v_lshl_add_u64 v[30:31], v[26:27], 0, v[10:11]
	global_load_dwordx4 v[4:7], v[28:29], off offset:8
	global_load_ubyte v32, v[30:31], off offset:4
	global_load_dwordx4 v[0:3], v[16:17], off
	s_getpc_b64 s[10:11]
	s_add_u32 s10, s10, _ZL13kvalues_iq4nl@rel32@lo+4
	s_addc_u32 s11, s11, _ZL13kvalues_iq4nl@rel32@hi+12
	v_add_u32_e32 v20, 8, v20
	v_cmp_le_u32_e32 vcc, s2, v20
	v_add_u32_e32 v25, 64, v25
	s_or_b64 s[0:1], vcc, s[0:1]
	s_waitcnt vmcnt(2)
	v_bfe_u32 v28, v4, 24, 4
	v_and_b32_e32 v29, 15, v4
	v_bfe_u32 v30, v4, 8, 4
	v_bfe_u32 v31, v4, 16, 4
	v_bfe_u32 v33, v4, 20, 4
	v_lshrrev_b32_e32 v34, 28, v4
	v_bfe_u32 v35, v4, 4, 4
	v_bfe_u32 v36, v4, 12, 4
	v_bfe_u32 v37, v5, 24, 4
	v_and_b32_e32 v38, 15, v5
	v_bfe_u32 v39, v5, 8, 4
	v_bfe_u32 v40, v5, 16, 4
	v_bfe_u32 v41, v5, 20, 4
	v_lshrrev_b32_e32 v42, 28, v5
	v_bfe_u32 v43, v5, 4, 4
	v_bfe_u32 v44, v5, 12, 4
	v_bfe_u32 v45, v6, 24, 4
	v_and_b32_e32 v46, 15, v6
	v_bfe_u32 v47, v6, 8, 4
	v_bfe_u32 v48, v6, 16, 4
	v_bfe_u32 v49, v6, 20, 4
	v_lshrrev_b32_e32 v50, 28, v6
	v_bfe_u32 v51, v6, 4, 4
	v_bfe_u32 v52, v6, 12, 4
	v_bfe_u32 v53, v7, 24, 4
	v_bfe_u32 v55, v7, 8, 4
	;; [unrolled: 1-line block ×5, first 2 shown]
	v_and_b32_e32 v54, 15, v7
	v_lshrrev_b32_e32 v58, 28, v7
	v_bfe_u32 v59, v7, 4, 4
	global_load_dwordx4 v[4:7], v[16:17], off offset:16
	global_load_dword v61, v[26:27], off
	global_load_ubyte v62, v36, s[10:11]
	global_load_ubyte v63, v30, s[10:11]
                                        ; kill: killed $vgpr30
                                        ; kill: killed $vgpr26_vgpr27
                                        ; kill: killed $vgpr36
	s_nop 0
	global_load_ubyte v26, v31, s[10:11]
	global_load_ubyte v27, v33, s[10:11]
	global_load_ubyte v30, v35, s[10:11]
	global_load_ubyte v36, v34, s[10:11]
                                        ; kill: killed $vgpr35
                                        ; kill: killed $vgpr34
                                        ; kill: killed $vgpr33
                                        ; kill: killed $vgpr31
	s_nop 0
	global_load_ubyte v31, v29, s[10:11]
	global_load_ubyte v33, v28, s[10:11]
	;; [unrolled: 1-line block ×4, first 2 shown]
                                        ; kill: killed $vgpr44
                                        ; kill: killed $vgpr39
                                        ; kill: killed $vgpr29
                                        ; kill: killed $vgpr28
	s_nop 0
	global_load_ubyte v28, v40, s[10:11]
	global_load_ubyte v29, v41, s[10:11]
	;; [unrolled: 1-line block ×4, first 2 shown]
                                        ; kill: killed $vgpr43
                                        ; kill: killed $vgpr41
                                        ; kill: killed $vgpr40
                                        ; kill: killed $vgpr42
	s_nop 0
	global_load_ubyte v40, v38, s[10:11]
	global_load_ubyte v41, v37, s[10:11]
	;; [unrolled: 1-line block ×4, first 2 shown]
                                        ; kill: killed $vgpr52
                                        ; kill: killed $vgpr37
                                        ; kill: killed $vgpr47
                                        ; kill: killed $vgpr38
	s_nop 0
	global_load_ubyte v37, v48, s[10:11]
	global_load_ubyte v38, v49, s[10:11]
	;; [unrolled: 1-line block ×4, first 2 shown]
                                        ; kill: killed $vgpr51
                                        ; kill: killed $vgpr49
                                        ; kill: killed $vgpr48
                                        ; kill: killed $vgpr50
	s_nop 0
	global_load_ubyte v48, v46, s[10:11]
	global_load_ubyte v49, v45, s[10:11]
	;; [unrolled: 1-line block ×4, first 2 shown]
                                        ; kill: killed $vgpr60
                                        ; kill: killed $vgpr45
                                        ; kill: killed $vgpr55
                                        ; kill: killed $vgpr46
	s_nop 0
	global_load_ubyte v45, v56, s[10:11]
	global_load_ubyte v46, v57, s[10:11]
	global_load_ubyte v55, v58, s[10:11]
	global_load_ubyte v60, v53, s[10:11]
                                        ; kill: killed $vgpr53
                                        ; kill: killed $vgpr57
                                        ; kill: killed $vgpr56
                                        ; kill: killed $vgpr58
	s_nop 0
	global_load_ubyte v53, v54, s[10:11]
	global_load_ubyte v56, v59, s[10:11]
	global_load_dword v57, v[16:17], off offset:32
	v_mov_b32_e32 v16, 0
	v_mov_b32_e32 v17, 0
	s_waitcnt vmcnt(36)
	v_bfe_u32 v32, v32, v23, 4
	s_waitcnt vmcnt(35)
	v_cvt_f32_f16_e32 v0, v0
	s_waitcnt vmcnt(33)
	v_lshrrev_b32_sdwa v54, v24, v61 dst_sel:DWORD dst_unused:UNUSED_PAD src0_sel:DWORD src1_sel:WORD_1
	v_lshlrev_b32_e32 v54, 4, v54
	v_and_or_b32 v32, v54, 48, v32
	v_subrev_u32_e32 v32, 32, v32
	v_cvt_f32_f16_e32 v54, v61
	v_cvt_f32_i32_e32 v32, v32
	s_waitcnt vmcnt(30)
	v_lshlrev_b32_e32 v26, 16, v26
	s_waitcnt vmcnt(29)
	v_lshlrev_b32_e32 v27, 16, v27
	s_waitcnt vmcnt(28)
	v_lshl_or_b32 v30, v62, 8, v30
	s_waitcnt vmcnt(27)
	v_lshlrev_b32_e32 v36, 24, v36
	v_or3_b32 v27, v30, v27, v36
	v_dot4c_i32_i8_e32 v17, v27, v5
	s_waitcnt vmcnt(26)
	v_lshl_or_b32 v31, v63, 8, v31
	s_waitcnt vmcnt(25)
	v_lshlrev_b32_e32 v33, 24, v33
	v_or3_b32 v26, v31, v26, v33
	v_dot4c_i32_i8_e32 v16, v26, v1
	s_waitcnt vmcnt(22)
	v_lshlrev_b32_e32 v28, 16, v28
	s_waitcnt vmcnt(21)
	v_lshlrev_b32_e32 v29, 16, v29
	s_waitcnt vmcnt(20)
	v_lshl_or_b32 v34, v34, 8, v39
	s_waitcnt vmcnt(18)
	v_lshl_or_b32 v35, v35, 8, v40
	s_waitcnt vmcnt(17)
	v_lshlrev_b32_e32 v41, 24, v41
	v_lshlrev_b32_e32 v40, 24, v44
	v_or3_b32 v28, v35, v28, v41
	v_or3_b32 v29, v34, v29, v40
	v_dot4c_i32_i8_e32 v16, v28, v2
	v_dot4c_i32_i8_e32 v17, v29, v6
	v_mul_f32_e32 v2, v54, v32
	s_waitcnt vmcnt(14)
	v_lshlrev_b32_e32 v37, 16, v37
	s_waitcnt vmcnt(13)
	v_lshlrev_b32_e32 v38, 16, v38
	s_waitcnt vmcnt(12)
	v_lshl_or_b32 v42, v42, 8, v47
	s_waitcnt vmcnt(11)
	v_lshlrev_b32_e32 v44, 24, v52
	v_or3_b32 v31, v42, v38, v44
	v_dot4c_i32_i8_e32 v17, v31, v7
	v_mul_f32_e32 v0, v2, v0
	s_waitcnt vmcnt(10)
	v_lshl_or_b32 v43, v43, 8, v48
	s_waitcnt vmcnt(9)
	v_lshlrev_b32_e32 v39, 24, v49
	v_or3_b32 v30, v43, v37, v39
	v_dot4c_i32_i8_e32 v16, v30, v3
	s_waitcnt vmcnt(6)
	v_lshlrev_b32_e32 v45, 16, v45
	s_waitcnt vmcnt(5)
	v_lshlrev_b32_e32 v46, 16, v46
	;; [unrolled: 2-line block ×4, first 2 shown]
	s_waitcnt vmcnt(2)
	v_lshl_or_b32 v48, v51, 8, v53
	s_waitcnt vmcnt(1)
	v_lshl_or_b32 v50, v50, 8, v56
	v_or3_b32 v33, v48, v45, v47
	v_or3_b32 v34, v50, v46, v49
	v_dot4c_i32_i8_e32 v16, v33, v4
	s_waitcnt vmcnt(0)
	v_dot4c_i32_i8_e32 v17, v34, v57
	s_nop 2
	v_add_u32_e32 v1, v17, v16
	v_cvt_f32_i32_e32 v1, v1
	v_fmac_f32_e32 v21, v0, v1
	s_andn2_b64 exec, exec, s[0:1]
	s_cbranch_execnz .LBB75_3
; %bb.4:
	s_or_b64 exec, exec, s[0:1]
.LBB75_5:
	s_or_b64 exec, exec, s[8:9]
	v_mbcnt_lo_u32_b32 v0, -1, 0
	v_mbcnt_hi_u32_b32 v1, -1, v0
	v_and_b32_e32 v0, 64, v1
	v_add_u32_e32 v2, 64, v0
	v_xor_b32_e32 v0, 32, v1
	v_cmp_lt_i32_e32 vcc, v0, v2
	v_xor_b32_e32 v3, 16, v1
	v_xor_b32_e32 v4, 8, v1
	v_cndmask_b32_e32 v0, v1, v0, vcc
	v_lshlrev_b32_e32 v0, 2, v0
	ds_bpermute_b32 v0, v0, v21
	v_cmp_lt_i32_e32 vcc, v3, v2
	s_waitcnt lgkmcnt(0)
	v_add_f32_e32 v0, v21, v0
	v_cndmask_b32_e32 v3, v1, v3, vcc
	v_lshlrev_b32_e32 v3, 2, v3
	ds_bpermute_b32 v3, v3, v0
	v_cmp_lt_i32_e32 vcc, v4, v2
	s_waitcnt lgkmcnt(0)
	v_add_f32_e32 v0, v0, v3
	v_cndmask_b32_e32 v3, v1, v4, vcc
	v_lshlrev_b32_e32 v3, 2, v3
	ds_bpermute_b32 v3, v3, v0
	v_xor_b32_e32 v4, 4, v1
	v_cmp_lt_i32_e32 vcc, v4, v2
	s_waitcnt lgkmcnt(0)
	v_add_f32_e32 v0, v0, v3
	v_cndmask_b32_e32 v3, v1, v4, vcc
	v_lshlrev_b32_e32 v3, 2, v3
	ds_bpermute_b32 v3, v3, v0
	v_xor_b32_e32 v4, 2, v1
	;; [unrolled: 7-line block ×3, first 2 shown]
	v_cmp_lt_i32_e32 vcc, v4, v2
	s_waitcnt lgkmcnt(0)
	v_add_f32_e32 v0, v0, v3
	v_cndmask_b32_e32 v1, v1, v4, vcc
	v_lshlrev_b32_e32 v1, 2, v1
	ds_bpermute_b32 v1, v1, v0
	v_cmp_eq_u32_e32 vcc, 0, v19
	s_and_b64 exec, exec, vcc
	s_cbranch_execz .LBB75_7
; %bb.6:
	s_mul_i32 s3, s3, s5
	s_waitcnt lgkmcnt(0)
	v_add_f32_e32 v2, v0, v1
	v_add_u32_e32 v0, s3, v18
	v_mov_b32_e32 v1, 0
	v_lshl_add_u64 v[0:1], v[0:1], 2, s[6:7]
	global_store_dword v[0:1], v2, off
.LBB75_7:
	s_endpgm
	.section	.rodata,"a",@progbits
	.p2align	6, 0x0
	.amdhsa_kernel _ZL13mul_mat_vec_qIfLi256ELi8E12block_iq4_xsLi1EXadL_ZL19vec_dot_iq4_xs_q8_1PKvPK10block_q8_1RKiEEEvS2_S2_PT_iii
		.amdhsa_group_segment_fixed_size 0
		.amdhsa_private_segment_fixed_size 0
		.amdhsa_kernarg_size 296
		.amdhsa_user_sgpr_count 2
		.amdhsa_user_sgpr_dispatch_ptr 0
		.amdhsa_user_sgpr_queue_ptr 0
		.amdhsa_user_sgpr_kernarg_segment_ptr 1
		.amdhsa_user_sgpr_dispatch_id 0
		.amdhsa_user_sgpr_kernarg_preload_length 0
		.amdhsa_user_sgpr_kernarg_preload_offset 0
		.amdhsa_user_sgpr_private_segment_size 0
		.amdhsa_uses_dynamic_stack 0
		.amdhsa_enable_private_segment 0
		.amdhsa_system_sgpr_workgroup_id_x 1
		.amdhsa_system_sgpr_workgroup_id_y 1
		.amdhsa_system_sgpr_workgroup_id_z 0
		.amdhsa_system_sgpr_workgroup_info 0
		.amdhsa_system_vgpr_workitem_id 1
		.amdhsa_next_free_vgpr 64
		.amdhsa_next_free_sgpr 16
		.amdhsa_accum_offset 64
		.amdhsa_reserve_vcc 1
		.amdhsa_float_round_mode_32 0
		.amdhsa_float_round_mode_16_64 0
		.amdhsa_float_denorm_mode_32 3
		.amdhsa_float_denorm_mode_16_64 3
		.amdhsa_dx10_clamp 1
		.amdhsa_ieee_mode 1
		.amdhsa_fp16_overflow 0
		.amdhsa_tg_split 0
		.amdhsa_exception_fp_ieee_invalid_op 0
		.amdhsa_exception_fp_denorm_src 0
		.amdhsa_exception_fp_ieee_div_zero 0
		.amdhsa_exception_fp_ieee_overflow 0
		.amdhsa_exception_fp_ieee_underflow 0
		.amdhsa_exception_fp_ieee_inexact 0
		.amdhsa_exception_int_div_zero 0
	.end_amdhsa_kernel
	.section	.text._ZL13mul_mat_vec_qIfLi256ELi8E12block_iq4_xsLi1EXadL_ZL19vec_dot_iq4_xs_q8_1PKvPK10block_q8_1RKiEEEvS2_S2_PT_iii,"axG",@progbits,_ZL13mul_mat_vec_qIfLi256ELi8E12block_iq4_xsLi1EXadL_ZL19vec_dot_iq4_xs_q8_1PKvPK10block_q8_1RKiEEEvS2_S2_PT_iii,comdat
.Lfunc_end75:
	.size	_ZL13mul_mat_vec_qIfLi256ELi8E12block_iq4_xsLi1EXadL_ZL19vec_dot_iq4_xs_q8_1PKvPK10block_q8_1RKiEEEvS2_S2_PT_iii, .Lfunc_end75-_ZL13mul_mat_vec_qIfLi256ELi8E12block_iq4_xsLi1EXadL_ZL19vec_dot_iq4_xs_q8_1PKvPK10block_q8_1RKiEEEvS2_S2_PT_iii
                                        ; -- End function
	.section	.AMDGPU.csdata,"",@progbits
; Kernel info:
; codeLenInByte = 1560
; NumSgprs: 22
; NumVgprs: 64
; NumAgprs: 0
; TotalNumVgprs: 64
; ScratchSize: 0
; MemoryBound: 0
; FloatMode: 240
; IeeeMode: 1
; LDSByteSize: 0 bytes/workgroup (compile time only)
; SGPRBlocks: 2
; VGPRBlocks: 7
; NumSGPRsForWavesPerEU: 22
; NumVGPRsForWavesPerEU: 64
; AccumOffset: 64
; Occupancy: 8
; WaveLimiterHint : 0
; COMPUTE_PGM_RSRC2:SCRATCH_EN: 0
; COMPUTE_PGM_RSRC2:USER_SGPR: 2
; COMPUTE_PGM_RSRC2:TRAP_HANDLER: 0
; COMPUTE_PGM_RSRC2:TGID_X_EN: 1
; COMPUTE_PGM_RSRC2:TGID_Y_EN: 1
; COMPUTE_PGM_RSRC2:TGID_Z_EN: 0
; COMPUTE_PGM_RSRC2:TIDIG_COMP_CNT: 1
; COMPUTE_PGM_RSRC3_GFX90A:ACCUM_OFFSET: 15
; COMPUTE_PGM_RSRC3_GFX90A:TG_SPLIT: 0
	.section	.text._ZL13mul_mat_vec_qIfLi256ELi8E11block_iq1_mLi1EXadL_ZL18vec_dot_iq1_m_q8_1PKvPK10block_q8_1RKiEEEvS2_S2_PT_iii,"axG",@progbits,_ZL13mul_mat_vec_qIfLi256ELi8E11block_iq1_mLi1EXadL_ZL18vec_dot_iq1_m_q8_1PKvPK10block_q8_1RKiEEEvS2_S2_PT_iii,comdat
	.globl	_ZL13mul_mat_vec_qIfLi256ELi8E11block_iq1_mLi1EXadL_ZL18vec_dot_iq1_m_q8_1PKvPK10block_q8_1RKiEEEvS2_S2_PT_iii ; -- Begin function _ZL13mul_mat_vec_qIfLi256ELi8E11block_iq1_mLi1EXadL_ZL18vec_dot_iq1_m_q8_1PKvPK10block_q8_1RKiEEEvS2_S2_PT_iii
	.p2align	8
	.type	_ZL13mul_mat_vec_qIfLi256ELi8E11block_iq1_mLi1EXadL_ZL18vec_dot_iq1_m_q8_1PKvPK10block_q8_1RKiEEEvS2_S2_PT_iii,@function
_ZL13mul_mat_vec_qIfLi256ELi8E11block_iq1_mLi1EXadL_ZL18vec_dot_iq1_m_q8_1PKvPK10block_q8_1RKiEEEvS2_S2_PT_iii: ; @_ZL13mul_mat_vec_qIfLi256ELi8E11block_iq1_mLi1EXadL_ZL18vec_dot_iq1_m_q8_1PKvPK10block_q8_1RKiEEEvS2_S2_PT_iii
; %bb.0:
	s_load_dword s8, s[0:1], 0x34
	s_load_dwordx4 s[4:7], s[0:1], 0x18
	v_bfe_u32 v1, v0, 10, 10
	s_waitcnt lgkmcnt(0)
	s_lshr_b32 s7, s8, 16
	s_mul_i32 s2, s2, s7
	v_add_u32_e32 v9, s2, v1
	s_cmp_lt_u32 s3, s6
	v_cmp_gt_u32_e32 vcc, s5, v9
	s_cselect_b64 s[6:7], -1, 0
	s_and_b64 s[6:7], s[6:7], vcc
	s_and_saveexec_b64 s[8:9], s[6:7]
	s_cbranch_execz .LBB76_7
; %bb.1:
	s_load_dwordx2 s[6:7], s[0:1], 0x10
	s_ashr_i32 s2, s4, 31
	s_lshr_b32 s2, s2, 24
	s_add_i32 s2, s4, s2
	v_and_b32_e32 v18, 0x3ff, v0
	s_ashr_i32 s14, s2, 8
	v_lshrrev_b32_e32 v19, 3, v18
	v_cmp_gt_u32_e32 vcc, s14, v19
	v_mov_b32_e32 v21, 0
	s_and_saveexec_b64 s[12:13], vcc
	s_cbranch_execz .LBB76_5
; %bb.2:
	s_load_dwordx4 s[8:11], s[0:1], 0x0
	s_add_i32 s0, s4, 0x1ff
	s_ashr_i32 s1, s0, 31
	s_lshr_b32 s1, s1, 23
	s_add_i32 s0, s0, s1
	s_ashr_i32 s0, s0, 9
	v_and_b32_e32 v1, 1, v18
	s_mul_i32 s0, s3, s0
	v_and_b32_e32 v8, 7, v18
	v_mov_b32_e32 v11, 0
	v_bfe_u32 v0, v18, 1, 2
	v_cmp_eq_u32_e32 vcc, 1, v1
	v_lshlrev_b32_e32 v1, 3, v19
	s_mov_b32 s18, 0xbf600000
	v_mul_lo_u32 v20, v9, s14
	v_lshlrev_b32_e32 v10, 1, v8
	v_cndmask_b32_e64 v22, 0, 6, vcc
	v_lshl_add_u32 v23, s0, 4, v1
	s_mov_b64 s[0:1], 0
	v_lshlrev_b32_e32 v12, 2, v8
	s_mov_b32 s4, 0x40008
	s_movk_i32 s15, 0xf000
	v_lshlrev_b32_e32 v14, 1, v0
	s_movk_i32 s16, 0x700
	s_mov_b32 s2, 0x3d000000
	v_mov_b64_e32 v[16:17], s[18:19]
	v_mov_b32_e32 v13, v11
	v_mov_b32_e32 v15, v11
	;; [unrolled: 1-line block ×4, first 2 shown]
.LBB76_3:                               ; =>This Inner Loop Header: Depth=1
	v_add_u32_e32 v0, v20, v19
	s_waitcnt lgkmcnt(0)
	v_mad_i64_i32 v[26:27], s[18:19], v0, 56, s[8:9]
	v_lshl_add_u64 v[0:1], v[26:27], 0, v[12:13]
	v_lshl_add_u64 v[2:3], v[26:27], 0, v[10:11]
	global_load_dword v25, v[0:1], off
	global_load_ushort v30, v[2:3], off offset:32
	v_mad_i64_i32 v[0:1], s[18:19], v23, 36, s[10:11]
	v_mad_u64_u32 v[28:29], s[20:21], v8, 36, v[0:1]
	s_getpc_b64 s[18:19]
	s_add_u32 s18, s18, _ZL13iq1s_grid_gpu@rel32@lo+4
	s_addc_u32 s19, s19, _ZL13iq1s_grid_gpu@rel32@hi+12
	global_load_dword v36, v[28:29], off offset:32
	global_load_dwordx4 v[4:7], v[28:29], off
	global_load_dwordx4 v[0:3], v[28:29], off offset:16
	v_lshl_add_u64 v[28:29], v[26:27], 0, v[14:15]
	global_load_dwordx2 v[26:27], v[26:27], off offset:48
	v_mov_b32_e32 v42, 0
	v_mov_b32_e32 v43, 0
	v_add_u32_e32 v19, 8, v19
	v_cmp_le_u32_e32 vcc, s14, v19
	v_add_u32_e32 v23, 64, v23
	s_or_b64 s[0:1], vcc, s[0:1]
	s_waitcnt vmcnt(5)
	v_and_b32_e32 v31, 0xff, v25
	s_waitcnt vmcnt(4)
	v_lshlrev_b32_e32 v34, 8, v30
	v_lshrrev_b16_e32 v37, 4, v30
	v_and_or_b32 v31, v34, s16, v31
	v_and_b32_e32 v34, 15, v37
	v_bfe_u32 v32, v25, 8, 8
	v_lshrrev_b16_e32 v35, 12, v30
	v_lshlrev_b32_e32 v34, 8, v34
	v_bfe_u32 v33, v25, 16, 8
	v_lshlrev_b32_sdwa v38, v24, v30 dst_sel:DWORD dst_unused:UNUSED_PAD src0_sel:DWORD src1_sel:BYTE_1
	v_alignbit_b32 v25, v35, v25, 24
	v_lshlrev_b32_e32 v31, 3, v31
	v_and_or_b32 v32, v34, s16, v32
	v_and_or_b32 v33, v38, s16, v33
	v_and_b32_e32 v25, 0x7ff, v25
	global_load_dword v38, v31, s[18:19]
	v_lshlrev_b32_e32 v31, 3, v32
	v_lshlrev_b32_e32 v33, 3, v33
	;; [unrolled: 1-line block ×3, first 2 shown]
	global_load_dword v39, v31, s[18:19]
	global_load_dword v40, v33, s[18:19]
	;; [unrolled: 1-line block ×3, first 2 shown]
	global_load_ushort v32, v[28:29], off offset:48
	v_mov_b32_e32 v25, 0
	v_mov_b32_e32 v28, 0
	s_waitcnt vmcnt(7)
	v_dot4c_i32_i8_e32 v25, 0x1010101, v5
	s_waitcnt vmcnt(6)
	v_dot4c_i32_i8_e32 v28, 0x1010101, v1
	v_dot4c_i32_i8_e32 v25, 0x1010101, v6
	;; [unrolled: 1-line block ×3, first 2 shown]
	s_waitcnt vmcnt(5)
	v_alignbit_b32 v29, v27, v26, 16
	v_lshrrev_b16_e32 v34, 12, v26
	v_and_b32_sdwa v44, v27, s15 dst_sel:DWORD dst_unused:UNUSED_PAD src0_sel:WORD_1 src1_sel:DWORD
	v_and_b32_sdwa v27, v30, v24 dst_sel:DWORD dst_unused:UNUSED_PAD src0_sel:BYTE_1 src1_sel:DWORD
	v_and_b32_e32 v30, 8, v30
	v_cvt_f32_ubyte0_e32 v27, v27
	v_mov_b32_e32 v33, 0
	v_mov_b32_e32 v31, 0
	v_dot4c_i32_i8_e32 v33, 0x1010101, v7
	v_dot4c_i32_i8_e32 v31, 0x1010101, v3
	;; [unrolled: 1-line block ×4, first 2 shown]
	v_and_b32_e32 v35, 8, v35
	v_cvt_f32_f16_e32 v4, v4
	s_waitcnt vmcnt(0)
	v_lshrrev_b32_e32 v26, v22, v32
	v_pk_lshrrev_b16 v32, s4, v29
	v_cvt_f32_i32_e32 v29, v28
	v_cvt_f32_i32_e32 v28, v25
	v_lshlrev_b32_e32 v45, 1, v26
	v_lshrrev_b32_e32 v46, 2, v26
	v_cvt_f32_ubyte0_e32 v26, v30
	v_pk_fma_f32 v[26:27], v[26:27], s[2:3], v[16:17] op_sel_hi:[1,0,0] neg_lo:[1,0,0] neg_hi:[1,0,0]
	v_and_b32_e32 v25, 8, v37
	v_pk_fma_f32 v[26:27], v[26:27], v[28:29], 0 op_sel_hi:[1,1,0]
	v_and_b32_e32 v28, 0xf0f0f0f, v38
	v_lshrrev_b32_e32 v29, 4, v38
	v_and_b32_e32 v29, 0xf0f0f0f, v29
	v_dot4c_i32_i8_e32 v42, v28, v5
	v_and_b32_e32 v37, 0xf0000f0, v32
	v_dot4c_i32_i8_e32 v42, v29, v6
	v_and_b32_e32 v5, 0xf0f0f0f, v39
	v_and_b32_e32 v28, 0xf0f0f0f, v40
	v_lshrrev_b32_e32 v29, 4, v40
	v_cvt_f32_ubyte0_e32 v32, v25
	v_and_or_b32 v25, v45, 14, 1
	v_or_b32_e32 v45, v37, v34
	v_dot4c_i32_i8_e32 v42, v5, v7
	v_and_b32_e32 v5, 0xf0f0f0f, v29
	v_dot4c_i32_i8_e32 v43, v28, v1
	v_cvt_f32_ubyte0_e32 v34, v25
	v_or_b32_sdwa v25, v45, v37 dst_sel:DWORD dst_unused:UNUSED_PAD src0_sel:DWORD src1_sel:WORD_1
	v_lshrrev_b32_e32 v6, 4, v39
	v_and_b32_e32 v37, 0xf0f0f0f, v41
	v_lshrrev_b32_e32 v38, 4, v41
	v_dot4c_i32_i8_e32 v43, v5, v2
	v_and_b32_e32 v6, 0xf0f0f0f, v6
	v_and_b32_e32 v1, 0xf0f0f0f, v38
	v_dot4c_i32_i8_e32 v43, v37, v3
	v_cvt_f32_i32_e32 v31, v31
	v_cvt_f32_i32_e32 v30, v33
	v_dot4c_i32_i8_e32 v42, v6, v0
	v_dot4c_i32_i8_e32 v43, v1, v36
	v_cvt_f32_ubyte0_e32 v33, v35
	v_or_b32_e32 v25, v25, v44
	v_cvt_f32_i32_e32 v0, v42
	v_cvt_f32_i32_e32 v1, v43
	v_pk_fma_f32 v[32:33], v[32:33], s[2:3], v[16:17] op_sel_hi:[1,0,0] neg_lo:[1,0,0] neg_hi:[1,0,0]
	v_cvt_f32_f16_e32 v5, v25
	v_and_or_b32 v35, v46, 14, 1
	v_pk_fma_f32 v[2:3], v[32:33], v[30:31], v[26:27]
	v_cvt_f32_ubyte0_e32 v35, v35
	v_pk_add_f32 v[0:1], v[2:3], v[0:1]
	v_mul_f32_e32 v4, v5, v4
	v_pk_mul_f32 v[0:1], v[0:1], v[34:35]
	s_nop 0
	v_add_f32_e32 v0, v0, v1
	v_fmac_f32_e32 v21, v4, v0
	s_andn2_b64 exec, exec, s[0:1]
	s_cbranch_execnz .LBB76_3
; %bb.4:
	s_or_b64 exec, exec, s[0:1]
.LBB76_5:
	s_or_b64 exec, exec, s[12:13]
	v_mbcnt_lo_u32_b32 v0, -1, 0
	v_mbcnt_hi_u32_b32 v1, -1, v0
	v_and_b32_e32 v0, 64, v1
	v_add_u32_e32 v2, 64, v0
	v_xor_b32_e32 v0, 32, v1
	v_cmp_lt_i32_e32 vcc, v0, v2
	v_xor_b32_e32 v3, 16, v1
	v_xor_b32_e32 v4, 8, v1
	v_cndmask_b32_e32 v0, v1, v0, vcc
	v_lshlrev_b32_e32 v0, 2, v0
	ds_bpermute_b32 v0, v0, v21
	v_cmp_lt_i32_e32 vcc, v3, v2
	s_waitcnt lgkmcnt(0)
	v_add_f32_e32 v0, v21, v0
	v_cndmask_b32_e32 v3, v1, v3, vcc
	v_lshlrev_b32_e32 v3, 2, v3
	ds_bpermute_b32 v3, v3, v0
	v_cmp_lt_i32_e32 vcc, v4, v2
	s_waitcnt lgkmcnt(0)
	v_add_f32_e32 v0, v0, v3
	v_cndmask_b32_e32 v3, v1, v4, vcc
	v_lshlrev_b32_e32 v3, 2, v3
	ds_bpermute_b32 v3, v3, v0
	v_xor_b32_e32 v4, 4, v1
	v_cmp_lt_i32_e32 vcc, v4, v2
	s_waitcnt lgkmcnt(0)
	v_add_f32_e32 v0, v0, v3
	v_cndmask_b32_e32 v3, v1, v4, vcc
	v_lshlrev_b32_e32 v3, 2, v3
	ds_bpermute_b32 v3, v3, v0
	v_xor_b32_e32 v4, 2, v1
	;; [unrolled: 7-line block ×3, first 2 shown]
	v_cmp_lt_i32_e32 vcc, v4, v2
	s_waitcnt lgkmcnt(0)
	v_add_f32_e32 v0, v0, v3
	v_cndmask_b32_e32 v1, v1, v4, vcc
	v_lshlrev_b32_e32 v1, 2, v1
	ds_bpermute_b32 v1, v1, v0
	v_cmp_eq_u32_e32 vcc, 0, v18
	s_and_b64 exec, exec, vcc
	s_cbranch_execz .LBB76_7
; %bb.6:
	s_mul_i32 s3, s3, s5
	s_waitcnt lgkmcnt(0)
	v_add_f32_e32 v2, v0, v1
	v_add_u32_e32 v0, s3, v9
	v_mov_b32_e32 v1, 0
	v_lshl_add_u64 v[0:1], v[0:1], 2, s[6:7]
	global_store_dword v[0:1], v2, off
.LBB76_7:
	s_endpgm
	.section	.rodata,"a",@progbits
	.p2align	6, 0x0
	.amdhsa_kernel _ZL13mul_mat_vec_qIfLi256ELi8E11block_iq1_mLi1EXadL_ZL18vec_dot_iq1_m_q8_1PKvPK10block_q8_1RKiEEEvS2_S2_PT_iii
		.amdhsa_group_segment_fixed_size 0
		.amdhsa_private_segment_fixed_size 0
		.amdhsa_kernarg_size 296
		.amdhsa_user_sgpr_count 2
		.amdhsa_user_sgpr_dispatch_ptr 0
		.amdhsa_user_sgpr_queue_ptr 0
		.amdhsa_user_sgpr_kernarg_segment_ptr 1
		.amdhsa_user_sgpr_dispatch_id 0
		.amdhsa_user_sgpr_kernarg_preload_length 0
		.amdhsa_user_sgpr_kernarg_preload_offset 0
		.amdhsa_user_sgpr_private_segment_size 0
		.amdhsa_uses_dynamic_stack 0
		.amdhsa_enable_private_segment 0
		.amdhsa_system_sgpr_workgroup_id_x 1
		.amdhsa_system_sgpr_workgroup_id_y 1
		.amdhsa_system_sgpr_workgroup_id_z 0
		.amdhsa_system_sgpr_workgroup_info 0
		.amdhsa_system_vgpr_workitem_id 1
		.amdhsa_next_free_vgpr 47
		.amdhsa_next_free_sgpr 22
		.amdhsa_accum_offset 48
		.amdhsa_reserve_vcc 1
		.amdhsa_float_round_mode_32 0
		.amdhsa_float_round_mode_16_64 0
		.amdhsa_float_denorm_mode_32 3
		.amdhsa_float_denorm_mode_16_64 3
		.amdhsa_dx10_clamp 1
		.amdhsa_ieee_mode 1
		.amdhsa_fp16_overflow 0
		.amdhsa_tg_split 0
		.amdhsa_exception_fp_ieee_invalid_op 0
		.amdhsa_exception_fp_denorm_src 0
		.amdhsa_exception_fp_ieee_div_zero 0
		.amdhsa_exception_fp_ieee_overflow 0
		.amdhsa_exception_fp_ieee_underflow 0
		.amdhsa_exception_fp_ieee_inexact 0
		.amdhsa_exception_int_div_zero 0
	.end_amdhsa_kernel
	.section	.text._ZL13mul_mat_vec_qIfLi256ELi8E11block_iq1_mLi1EXadL_ZL18vec_dot_iq1_m_q8_1PKvPK10block_q8_1RKiEEEvS2_S2_PT_iii,"axG",@progbits,_ZL13mul_mat_vec_qIfLi256ELi8E11block_iq1_mLi1EXadL_ZL18vec_dot_iq1_m_q8_1PKvPK10block_q8_1RKiEEEvS2_S2_PT_iii,comdat
.Lfunc_end76:
	.size	_ZL13mul_mat_vec_qIfLi256ELi8E11block_iq1_mLi1EXadL_ZL18vec_dot_iq1_m_q8_1PKvPK10block_q8_1RKiEEEvS2_S2_PT_iii, .Lfunc_end76-_ZL13mul_mat_vec_qIfLi256ELi8E11block_iq1_mLi1EXadL_ZL18vec_dot_iq1_m_q8_1PKvPK10block_q8_1RKiEEEvS2_S2_PT_iii
                                        ; -- End function
	.section	.AMDGPU.csdata,"",@progbits
; Kernel info:
; codeLenInByte = 1280
; NumSgprs: 28
; NumVgprs: 47
; NumAgprs: 0
; TotalNumVgprs: 47
; ScratchSize: 0
; MemoryBound: 0
; FloatMode: 240
; IeeeMode: 1
; LDSByteSize: 0 bytes/workgroup (compile time only)
; SGPRBlocks: 3
; VGPRBlocks: 5
; NumSGPRsForWavesPerEU: 28
; NumVGPRsForWavesPerEU: 47
; AccumOffset: 48
; Occupancy: 8
; WaveLimiterHint : 0
; COMPUTE_PGM_RSRC2:SCRATCH_EN: 0
; COMPUTE_PGM_RSRC2:USER_SGPR: 2
; COMPUTE_PGM_RSRC2:TRAP_HANDLER: 0
; COMPUTE_PGM_RSRC2:TGID_X_EN: 1
; COMPUTE_PGM_RSRC2:TGID_Y_EN: 1
; COMPUTE_PGM_RSRC2:TGID_Z_EN: 0
; COMPUTE_PGM_RSRC2:TIDIG_COMP_CNT: 1
; COMPUTE_PGM_RSRC3_GFX90A:ACCUM_OFFSET: 11
; COMPUTE_PGM_RSRC3_GFX90A:TG_SPLIT: 0
	.section	.text._ZL13quantize_q8_1IN3c104HalfEEvPKT_Pvii,"axG",@progbits,_ZL13quantize_q8_1IN3c104HalfEEvPKT_Pvii,comdat
	.globl	_ZL13quantize_q8_1IN3c104HalfEEvPKT_Pvii ; -- Begin function _ZL13quantize_q8_1IN3c104HalfEEvPKT_Pvii
	.p2align	8
	.type	_ZL13quantize_q8_1IN3c104HalfEEvPKT_Pvii,@function
_ZL13quantize_q8_1IN3c104HalfEEvPKT_Pvii: ; @_ZL13quantize_q8_1IN3c104HalfEEvPKT_Pvii
; %bb.0:
	s_load_dword s6, s[0:1], 0x24
	s_load_dwordx2 s[4:5], s[0:1], 0x10
	s_add_u32 s8, s0, 24
	s_addc_u32 s9, s1, 0
	v_and_b32_e32 v1, 0x3ff, v0
	s_waitcnt lgkmcnt(0)
	s_and_b32 s6, s6, 0xffff
	s_mul_i32 s2, s2, s6
	v_add_u32_e32 v2, s2, v1
	v_cmp_gt_u32_e32 vcc, s5, v2
	s_and_saveexec_b64 s[6:7], vcc
	s_cbranch_execz .LBB77_7
; %bb.1:
	s_load_dword s2, s[8:9], 0xc
	s_load_dwordx2 s[6:7], s[0:1], 0x8
	v_bfe_u32 v0, v0, 10, 10
	v_cmp_gt_u32_e32 vcc, s4, v2
	v_mov_b32_e32 v3, 0
	s_waitcnt lgkmcnt(0)
	s_lshr_b32 s2, s2, 16
	s_mul_i32 s3, s3, s2
	v_add_u32_e32 v0, s3, v0
	v_mov_b32_e32 v1, 0
	s_and_saveexec_b64 s[2:3], vcc
	s_cbranch_execz .LBB77_3
; %bb.2:
	s_load_dwordx2 s[0:1], s[0:1], 0x0
	v_mad_u64_u32 v[4:5], s[8:9], v0, s4, v[2:3]
	v_mov_b32_e32 v5, 0
	s_waitcnt lgkmcnt(0)
	v_lshl_add_u64 v[4:5], v[4:5], 1, s[0:1]
	global_load_ushort v1, v[4:5], off
	s_waitcnt vmcnt(0)
	v_cvt_f32_f16_e32 v1, v1
.LBB77_3:
	s_or_b64 exec, exec, s[2:3]
	v_mbcnt_lo_u32_b32 v5, -1, 0
	v_mbcnt_hi_u32_b32 v5, -1, v5
	v_and_b32_e32 v6, 0x60, v5
	v_add_u32_e32 v6, 32, v6
	v_xor_b32_e32 v7, 16, v5
	v_cmp_lt_i32_e32 vcc, v7, v6
	v_and_b32_e32 v4, 0x7fffffff, v1
	v_max_f32_e64 v8, |v1|, |v1|
	v_cndmask_b32_e32 v7, v5, v7, vcc
	v_lshlrev_b32_e32 v7, 2, v7
	ds_bpermute_b32 v4, v7, v4
	ds_bpermute_b32 v7, v7, v1
	s_mov_b32 s3, 0x42fe0000
	s_brev_b32 s2, -2
	s_waitcnt lgkmcnt(1)
	v_max_f32_e32 v4, v4, v4
	v_max_f32_e32 v4, v8, v4
	v_xor_b32_e32 v8, 8, v5
	v_cmp_lt_i32_e32 vcc, v8, v6
	s_waitcnt lgkmcnt(0)
	v_add_f32_e32 v7, v1, v7
	v_cndmask_b32_e32 v8, v5, v8, vcc
	v_lshlrev_b32_e32 v8, 2, v8
	ds_bpermute_b32 v9, v8, v4
	ds_bpermute_b32 v8, v8, v7
	s_waitcnt lgkmcnt(1)
	v_max_f32_e32 v9, v9, v9
	v_max_f32_e32 v4, v4, v9
	v_xor_b32_e32 v9, 4, v5
	v_cmp_lt_i32_e32 vcc, v9, v6
	s_waitcnt lgkmcnt(0)
	v_add_f32_e32 v7, v7, v8
	v_cndmask_b32_e32 v9, v5, v9, vcc
	v_lshlrev_b32_e32 v9, 2, v9
	ds_bpermute_b32 v10, v9, v4
	ds_bpermute_b32 v8, v9, v7
	;; [unrolled: 11-line block ×3, first 2 shown]
	s_waitcnt lgkmcnt(1)
	v_max_f32_e32 v9, v11, v11
	v_max_f32_e32 v4, v4, v9
	v_xor_b32_e32 v9, 1, v5
	v_cmp_lt_i32_e32 vcc, v9, v6
	s_nop 1
	v_cndmask_b32_e32 v5, v5, v9, vcc
	v_lshlrev_b32_e32 v5, 2, v5
	ds_bpermute_b32 v6, v5, v4
	s_waitcnt lgkmcnt(0)
	v_max_f32_e32 v6, v6, v6
	v_max_f32_e32 v9, v4, v6
	v_div_scale_f32 v6, s[0:1], s3, s3, v9
	v_rcp_f32_e32 v10, v6
	v_add_f32_e32 v4, v7, v8
	ds_bpermute_b32 v5, v5, v4
	v_fma_f32 v7, -v6, v10, 1.0
	v_fmac_f32_e32 v10, v7, v10
	v_div_scale_f32 v7, vcc, v9, s3, v9
	v_mul_f32_e32 v8, v7, v10
	v_fma_f32 v11, -v6, v8, v7
	v_fmac_f32_e32 v8, v11, v10
	v_fma_f32 v6, -v6, v8, v7
	v_div_fmas_f32 v6, v6, v10, v8
	v_div_fixup_f32 v6, v6, s3, v9
	v_cmp_neq_f32_e32 vcc, 0, v9
	s_and_saveexec_b64 s[0:1], vcc
	s_cbranch_execz .LBB77_5
; %bb.4:
	v_div_scale_f32 v3, s[8:9], v6, v6, v1
	v_rcp_f32_e32 v7, v3
	v_div_scale_f32 v8, vcc, v1, v6, v1
	v_fma_f32 v9, -v3, v7, 1.0
	v_fmac_f32_e32 v7, v9, v7
	v_mul_f32_e32 v9, v8, v7
	v_fma_f32 v10, -v3, v9, v8
	v_fmac_f32_e32 v9, v10, v7
	v_fma_f32 v3, -v3, v9, v8
	v_div_fmas_f32 v3, v3, v7, v9
	v_div_fixup_f32 v1, v3, v6, v1
	v_trunc_f32_e32 v3, v1
	v_sub_f32_e32 v7, v1, v3
	v_cmp_ge_f32_e64 s[8:9], |v7|, 0.5
	s_nop 1
	v_cndmask_b32_e64 v7, 0, 1.0, s[8:9]
	v_bfi_b32 v1, s2, v7, v1
	v_add_f32_e32 v1, v3, v1
	v_cvt_i32_f32_e32 v3, v1
.LBB77_5:
	s_or_b64 exec, exec, s[0:1]
	v_mad_u64_u32 v[0:1], s[0:1], v0, s5, v[2:3]
	v_ashrrev_i32_e32 v1, 31, v0
	v_lshrrev_b32_e32 v1, 27, v1
	v_add_u32_e32 v1, v0, v1
	v_ashrrev_i32_e32 v2, 5, v1
	v_and_b32_e32 v1, 0xffffffe0, v1
	v_sub_u32_e32 v8, v0, v1
	v_mad_i64_i32 v[0:1], s[0:1], v2, 36, s[6:7]
	v_ashrrev_i32_e32 v9, 31, v8
	v_lshl_add_u64 v[10:11], v[0:1], 0, v[8:9]
	v_cmp_gt_i32_e32 vcc, 1, v8
	global_store_byte v[10:11], v3, off offset:4
	s_and_b64 exec, exec, vcc
	s_cbranch_execz .LBB77_7
; %bb.6:
	s_waitcnt lgkmcnt(0)
	v_add_f32_e32 v2, v4, v5
	v_cvt_f16_f32_e32 v2, v2
	v_cvt_f16_f32_e32 v3, v6
	v_pack_b32_f16 v2, v3, v2
	global_store_dword v[0:1], v2, off
.LBB77_7:
	s_endpgm
	.section	.rodata,"a",@progbits
	.p2align	6, 0x0
	.amdhsa_kernel _ZL13quantize_q8_1IN3c104HalfEEvPKT_Pvii
		.amdhsa_group_segment_fixed_size 0
		.amdhsa_private_segment_fixed_size 0
		.amdhsa_kernarg_size 280
		.amdhsa_user_sgpr_count 2
		.amdhsa_user_sgpr_dispatch_ptr 0
		.amdhsa_user_sgpr_queue_ptr 0
		.amdhsa_user_sgpr_kernarg_segment_ptr 1
		.amdhsa_user_sgpr_dispatch_id 0
		.amdhsa_user_sgpr_kernarg_preload_length 0
		.amdhsa_user_sgpr_kernarg_preload_offset 0
		.amdhsa_user_sgpr_private_segment_size 0
		.amdhsa_uses_dynamic_stack 0
		.amdhsa_enable_private_segment 0
		.amdhsa_system_sgpr_workgroup_id_x 1
		.amdhsa_system_sgpr_workgroup_id_y 1
		.amdhsa_system_sgpr_workgroup_id_z 0
		.amdhsa_system_sgpr_workgroup_info 0
		.amdhsa_system_vgpr_workitem_id 1
		.amdhsa_next_free_vgpr 12
		.amdhsa_next_free_sgpr 10
		.amdhsa_accum_offset 12
		.amdhsa_reserve_vcc 1
		.amdhsa_float_round_mode_32 0
		.amdhsa_float_round_mode_16_64 0
		.amdhsa_float_denorm_mode_32 3
		.amdhsa_float_denorm_mode_16_64 3
		.amdhsa_dx10_clamp 1
		.amdhsa_ieee_mode 1
		.amdhsa_fp16_overflow 0
		.amdhsa_tg_split 0
		.amdhsa_exception_fp_ieee_invalid_op 0
		.amdhsa_exception_fp_denorm_src 0
		.amdhsa_exception_fp_ieee_div_zero 0
		.amdhsa_exception_fp_ieee_overflow 0
		.amdhsa_exception_fp_ieee_underflow 0
		.amdhsa_exception_fp_ieee_inexact 0
		.amdhsa_exception_int_div_zero 0
	.end_amdhsa_kernel
	.section	.text._ZL13quantize_q8_1IN3c104HalfEEvPKT_Pvii,"axG",@progbits,_ZL13quantize_q8_1IN3c104HalfEEvPKT_Pvii,comdat
.Lfunc_end77:
	.size	_ZL13quantize_q8_1IN3c104HalfEEvPKT_Pvii, .Lfunc_end77-_ZL13quantize_q8_1IN3c104HalfEEvPKT_Pvii
                                        ; -- End function
	.section	.AMDGPU.csdata,"",@progbits
; Kernel info:
; codeLenInByte = 800
; NumSgprs: 16
; NumVgprs: 12
; NumAgprs: 0
; TotalNumVgprs: 12
; ScratchSize: 0
; MemoryBound: 0
; FloatMode: 240
; IeeeMode: 1
; LDSByteSize: 0 bytes/workgroup (compile time only)
; SGPRBlocks: 1
; VGPRBlocks: 1
; NumSGPRsForWavesPerEU: 16
; NumVGPRsForWavesPerEU: 12
; AccumOffset: 12
; Occupancy: 8
; WaveLimiterHint : 0
; COMPUTE_PGM_RSRC2:SCRATCH_EN: 0
; COMPUTE_PGM_RSRC2:USER_SGPR: 2
; COMPUTE_PGM_RSRC2:TRAP_HANDLER: 0
; COMPUTE_PGM_RSRC2:TGID_X_EN: 1
; COMPUTE_PGM_RSRC2:TGID_Y_EN: 1
; COMPUTE_PGM_RSRC2:TGID_Z_EN: 0
; COMPUTE_PGM_RSRC2:TIDIG_COMP_CNT: 1
; COMPUTE_PGM_RSRC3_GFX90A:ACCUM_OFFSET: 2
; COMPUTE_PGM_RSRC3_GFX90A:TG_SPLIT: 0
	.section	.text._ZL13mul_mat_vec_qIN3c104HalfELi32ELi4E10block_q4_0Li2EXadL_ZL17vec_dot_q4_0_q8_1PKvPK10block_q8_1RKiEEEvS4_S4_PT_iii,"axG",@progbits,_ZL13mul_mat_vec_qIN3c104HalfELi32ELi4E10block_q4_0Li2EXadL_ZL17vec_dot_q4_0_q8_1PKvPK10block_q8_1RKiEEEvS4_S4_PT_iii,comdat
	.globl	_ZL13mul_mat_vec_qIN3c104HalfELi32ELi4E10block_q4_0Li2EXadL_ZL17vec_dot_q4_0_q8_1PKvPK10block_q8_1RKiEEEvS4_S4_PT_iii ; -- Begin function _ZL13mul_mat_vec_qIN3c104HalfELi32ELi4E10block_q4_0Li2EXadL_ZL17vec_dot_q4_0_q8_1PKvPK10block_q8_1RKiEEEvS4_S4_PT_iii
	.p2align	8
	.type	_ZL13mul_mat_vec_qIN3c104HalfELi32ELi4E10block_q4_0Li2EXadL_ZL17vec_dot_q4_0_q8_1PKvPK10block_q8_1RKiEEEvS4_S4_PT_iii,@function
_ZL13mul_mat_vec_qIN3c104HalfELi32ELi4E10block_q4_0Li2EXadL_ZL17vec_dot_q4_0_q8_1PKvPK10block_q8_1RKiEEEvS4_S4_PT_iii: ; @_ZL13mul_mat_vec_qIN3c104HalfELi32ELi4E10block_q4_0Li2EXadL_ZL17vec_dot_q4_0_q8_1PKvPK10block_q8_1RKiEEEvS4_S4_PT_iii
; %bb.0:
	s_load_dword s8, s[0:1], 0x34
	s_load_dwordx4 s[4:7], s[0:1], 0x18
	v_bfe_u32 v1, v0, 10, 10
	s_waitcnt lgkmcnt(0)
	s_lshr_b32 s7, s8, 16
	s_mul_i32 s2, s2, s7
	v_add_u32_e32 v4, s2, v1
	s_cmp_lt_u32 s3, s6
	v_cmp_gt_u32_e32 vcc, s5, v4
	s_cselect_b64 s[6:7], -1, 0
	s_and_b64 s[6:7], s[6:7], vcc
	s_and_saveexec_b64 s[8:9], s[6:7]
	s_cbranch_execz .LBB78_7
; %bb.1:
	s_load_dwordx2 s[6:7], s[0:1], 0x10
	s_ashr_i32 s2, s4, 31
	s_lshr_b32 s2, s2, 27
	s_add_i32 s2, s4, s2
	v_and_b32_e32 v5, 0x3ff, v0
	s_ashr_i32 s2, s2, 5
	v_lshrrev_b32_e32 v7, 1, v5
	v_cmp_gt_u32_e32 vcc, s2, v7
	v_mov_b32_e32 v6, 0
	s_and_saveexec_b64 s[12:13], vcc
	s_cbranch_execz .LBB78_5
; %bb.2:
	s_load_dwordx4 s[8:11], s[0:1], 0x0
	s_add_i32 s0, s4, 0x1ff
	s_ashr_i32 s1, s0, 31
	s_lshr_b32 s1, s1, 23
	s_add_i32 s0, s0, s1
	s_ashr_i32 s0, s0, 9
	s_mul_i32 s0, s3, s0
	v_lshlrev_b32_e32 v0, 3, v5
	v_mov_b32_e32 v1, 0
	v_mul_lo_u32 v8, v4, s2
	s_lshl_b32 s4, s0, 4
	v_and_b32_e32 v0, 8, v0
	s_mov_b64 s[0:1], 0
	v_mov_b32_e32 v3, 4.0
	v_mov_b32_e32 v6, v1
.LBB78_3:                               ; =>This Inner Loop Header: Depth=1
	v_add_u32_e32 v9, s4, v7
	v_add_u32_e32 v2, v8, v7
	s_waitcnt lgkmcnt(0)
	v_mad_i64_i32 v[12:13], s[14:15], v9, 36, s[10:11]
	v_mad_i64_i32 v[10:11], s[14:15], v2, 18, s[8:9]
	v_lshl_add_u64 v[16:17], v[12:13], 0, v[0:1]
	v_lshl_add_u64 v[14:15], v[10:11], 0, v[0:1]
	global_load_dwordx2 v[18:19], v[16:17], off offset:4
	global_load_dwordx2 v[20:21], v[16:17], off offset:20
	global_load_dword v2, v[14:15], off offset:2
	global_load_dword v9, v[14:15], off offset:6
	global_load_dword v22, v[12:13], off
	global_load_ushort v23, v[10:11], off
	v_mov_b32_e32 v12, 0
	v_add_u32_e32 v7, 32, v7
	v_cmp_le_u32_e32 vcc, s2, v7
	s_or_b64 s[0:1], vcc, s[0:1]
	s_waitcnt vmcnt(3)
	v_and_b32_e32 v13, 0xf0f0f0f, v2
	v_lshrrev_b32_e32 v2, 4, v2
	v_and_b32_e32 v2, 0xf0f0f0f, v2
	v_dot4c_i32_i8_e32 v12, v13, v18
	s_waitcnt vmcnt(2)
	v_and_b32_e32 v14, 0xf0f0f0f, v9
	v_lshrrev_b32_e32 v9, 4, v9
	v_dot4c_i32_i8_e32 v12, v2, v20
	v_and_b32_e32 v9, 0xf0f0f0f, v9
	v_dot4c_i32_i8_e32 v12, v14, v19
	v_dot4c_i32_i8_e32 v12, v9, v21
	s_waitcnt vmcnt(1)
	v_cvt_f32_f16_e32 v10, v22
	v_cvt_f32_f16_sdwa v11, v22 dst_sel:DWORD dst_unused:UNUSED_PAD src0_sel:WORD_1
	v_cvt_f32_i32_e32 v2, v12
	v_pk_mul_f32 v[10:11], v[2:3], v[10:11]
	s_nop 0
	v_sub_f32_e32 v2, v10, v11
	s_waitcnt vmcnt(0)
	v_fma_mix_f32 v6, v2, v23, v6 op_sel_hi:[0,1,0]
	s_andn2_b64 exec, exec, s[0:1]
	s_cbranch_execnz .LBB78_3
; %bb.4:
	s_or_b64 exec, exec, s[0:1]
.LBB78_5:
	s_or_b64 exec, exec, s[12:13]
	v_mbcnt_lo_u32_b32 v0, -1, 0
	v_mbcnt_hi_u32_b32 v1, -1, v0
	v_and_b32_e32 v0, 64, v1
	v_add_u32_e32 v2, 64, v0
	v_xor_b32_e32 v0, 32, v1
	v_cmp_lt_i32_e32 vcc, v0, v2
	v_xor_b32_e32 v3, 16, v1
	s_nop 0
	v_cndmask_b32_e32 v0, v1, v0, vcc
	v_lshlrev_b32_e32 v0, 2, v0
	ds_bpermute_b32 v0, v0, v6
	v_cmp_lt_i32_e32 vcc, v3, v2
	s_waitcnt lgkmcnt(0)
	v_add_f32_e32 v0, v6, v0
	v_cndmask_b32_e32 v3, v1, v3, vcc
	v_lshlrev_b32_e32 v3, 2, v3
	ds_bpermute_b32 v3, v3, v0
	v_xor_b32_e32 v6, 8, v1
	v_cmp_lt_i32_e32 vcc, v6, v2
	s_waitcnt lgkmcnt(0)
	v_add_f32_e32 v0, v0, v3
	v_cndmask_b32_e32 v3, v1, v6, vcc
	v_lshlrev_b32_e32 v3, 2, v3
	ds_bpermute_b32 v3, v3, v0
	v_xor_b32_e32 v6, 4, v1
	;; [unrolled: 7-line block ×4, first 2 shown]
	v_cmp_lt_i32_e32 vcc, v6, v2
	s_waitcnt lgkmcnt(0)
	v_add_f32_e32 v0, v0, v3
	v_cndmask_b32_e32 v1, v1, v6, vcc
	v_lshlrev_b32_e32 v1, 2, v1
	ds_bpermute_b32 v1, v1, v0
	v_cmp_eq_u32_e32 vcc, 0, v5
	s_and_b64 exec, exec, vcc
	s_cbranch_execz .LBB78_7
; %bb.6:
	s_waitcnt lgkmcnt(0)
	v_add_f32_e32 v0, v0, v1
	v_cvt_f16_f32_e32 v2, v0
	s_mul_i32 s3, s3, s5
	v_add_u32_e32 v0, s3, v4
	v_mov_b32_e32 v1, 0
	v_lshl_add_u64 v[0:1], v[0:1], 1, s[6:7]
	global_store_short v[0:1], v2, off
.LBB78_7:
	s_endpgm
	.section	.rodata,"a",@progbits
	.p2align	6, 0x0
	.amdhsa_kernel _ZL13mul_mat_vec_qIN3c104HalfELi32ELi4E10block_q4_0Li2EXadL_ZL17vec_dot_q4_0_q8_1PKvPK10block_q8_1RKiEEEvS4_S4_PT_iii
		.amdhsa_group_segment_fixed_size 0
		.amdhsa_private_segment_fixed_size 0
		.amdhsa_kernarg_size 296
		.amdhsa_user_sgpr_count 2
		.amdhsa_user_sgpr_dispatch_ptr 0
		.amdhsa_user_sgpr_queue_ptr 0
		.amdhsa_user_sgpr_kernarg_segment_ptr 1
		.amdhsa_user_sgpr_dispatch_id 0
		.amdhsa_user_sgpr_kernarg_preload_length 0
		.amdhsa_user_sgpr_kernarg_preload_offset 0
		.amdhsa_user_sgpr_private_segment_size 0
		.amdhsa_uses_dynamic_stack 0
		.amdhsa_enable_private_segment 0
		.amdhsa_system_sgpr_workgroup_id_x 1
		.amdhsa_system_sgpr_workgroup_id_y 1
		.amdhsa_system_sgpr_workgroup_id_z 0
		.amdhsa_system_sgpr_workgroup_info 0
		.amdhsa_system_vgpr_workitem_id 1
		.amdhsa_next_free_vgpr 24
		.amdhsa_next_free_sgpr 16
		.amdhsa_accum_offset 24
		.amdhsa_reserve_vcc 1
		.amdhsa_float_round_mode_32 0
		.amdhsa_float_round_mode_16_64 0
		.amdhsa_float_denorm_mode_32 3
		.amdhsa_float_denorm_mode_16_64 3
		.amdhsa_dx10_clamp 1
		.amdhsa_ieee_mode 1
		.amdhsa_fp16_overflow 0
		.amdhsa_tg_split 0
		.amdhsa_exception_fp_ieee_invalid_op 0
		.amdhsa_exception_fp_denorm_src 0
		.amdhsa_exception_fp_ieee_div_zero 0
		.amdhsa_exception_fp_ieee_overflow 0
		.amdhsa_exception_fp_ieee_underflow 0
		.amdhsa_exception_fp_ieee_inexact 0
		.amdhsa_exception_int_div_zero 0
	.end_amdhsa_kernel
	.section	.text._ZL13mul_mat_vec_qIN3c104HalfELi32ELi4E10block_q4_0Li2EXadL_ZL17vec_dot_q4_0_q8_1PKvPK10block_q8_1RKiEEEvS4_S4_PT_iii,"axG",@progbits,_ZL13mul_mat_vec_qIN3c104HalfELi32ELi4E10block_q4_0Li2EXadL_ZL17vec_dot_q4_0_q8_1PKvPK10block_q8_1RKiEEEvS4_S4_PT_iii,comdat
.Lfunc_end78:
	.size	_ZL13mul_mat_vec_qIN3c104HalfELi32ELi4E10block_q4_0Li2EXadL_ZL17vec_dot_q4_0_q8_1PKvPK10block_q8_1RKiEEEvS4_S4_PT_iii, .Lfunc_end78-_ZL13mul_mat_vec_qIN3c104HalfELi32ELi4E10block_q4_0Li2EXadL_ZL17vec_dot_q4_0_q8_1PKvPK10block_q8_1RKiEEEvS4_S4_PT_iii
                                        ; -- End function
	.section	.AMDGPU.csdata,"",@progbits
; Kernel info:
; codeLenInByte = 692
; NumSgprs: 22
; NumVgprs: 24
; NumAgprs: 0
; TotalNumVgprs: 24
; ScratchSize: 0
; MemoryBound: 0
; FloatMode: 240
; IeeeMode: 1
; LDSByteSize: 0 bytes/workgroup (compile time only)
; SGPRBlocks: 2
; VGPRBlocks: 2
; NumSGPRsForWavesPerEU: 22
; NumVGPRsForWavesPerEU: 24
; AccumOffset: 24
; Occupancy: 8
; WaveLimiterHint : 0
; COMPUTE_PGM_RSRC2:SCRATCH_EN: 0
; COMPUTE_PGM_RSRC2:USER_SGPR: 2
; COMPUTE_PGM_RSRC2:TRAP_HANDLER: 0
; COMPUTE_PGM_RSRC2:TGID_X_EN: 1
; COMPUTE_PGM_RSRC2:TGID_Y_EN: 1
; COMPUTE_PGM_RSRC2:TGID_Z_EN: 0
; COMPUTE_PGM_RSRC2:TIDIG_COMP_CNT: 1
; COMPUTE_PGM_RSRC3_GFX90A:ACCUM_OFFSET: 5
; COMPUTE_PGM_RSRC3_GFX90A:TG_SPLIT: 0
	.section	.text._ZL13mul_mat_vec_qIN3c104HalfELi32ELi4E10block_q4_1Li2EXadL_ZL17vec_dot_q4_1_q8_1PKvPK10block_q8_1RKiEEEvS4_S4_PT_iii,"axG",@progbits,_ZL13mul_mat_vec_qIN3c104HalfELi32ELi4E10block_q4_1Li2EXadL_ZL17vec_dot_q4_1_q8_1PKvPK10block_q8_1RKiEEEvS4_S4_PT_iii,comdat
	.globl	_ZL13mul_mat_vec_qIN3c104HalfELi32ELi4E10block_q4_1Li2EXadL_ZL17vec_dot_q4_1_q8_1PKvPK10block_q8_1RKiEEEvS4_S4_PT_iii ; -- Begin function _ZL13mul_mat_vec_qIN3c104HalfELi32ELi4E10block_q4_1Li2EXadL_ZL17vec_dot_q4_1_q8_1PKvPK10block_q8_1RKiEEEvS4_S4_PT_iii
	.p2align	8
	.type	_ZL13mul_mat_vec_qIN3c104HalfELi32ELi4E10block_q4_1Li2EXadL_ZL17vec_dot_q4_1_q8_1PKvPK10block_q8_1RKiEEEvS4_S4_PT_iii,@function
_ZL13mul_mat_vec_qIN3c104HalfELi32ELi4E10block_q4_1Li2EXadL_ZL17vec_dot_q4_1_q8_1PKvPK10block_q8_1RKiEEEvS4_S4_PT_iii: ; @_ZL13mul_mat_vec_qIN3c104HalfELi32ELi4E10block_q4_1Li2EXadL_ZL17vec_dot_q4_1_q8_1PKvPK10block_q8_1RKiEEEvS4_S4_PT_iii
; %bb.0:
	s_load_dword s8, s[0:1], 0x34
	s_load_dwordx4 s[4:7], s[0:1], 0x18
	v_bfe_u32 v1, v0, 10, 10
	s_waitcnt lgkmcnt(0)
	s_lshr_b32 s7, s8, 16
	s_mul_i32 s2, s2, s7
	v_add_u32_e32 v2, s2, v1
	s_cmp_lt_u32 s3, s6
	v_cmp_gt_u32_e32 vcc, s5, v2
	s_cselect_b64 s[6:7], -1, 0
	s_and_b64 s[6:7], s[6:7], vcc
	s_and_saveexec_b64 s[8:9], s[6:7]
	s_cbranch_execz .LBB79_7
; %bb.1:
	s_load_dwordx2 s[6:7], s[0:1], 0x10
	s_ashr_i32 s2, s4, 31
	s_lshr_b32 s2, s2, 27
	s_add_i32 s2, s4, s2
	v_and_b32_e32 v3, 0x3ff, v0
	s_ashr_i32 s2, s2, 5
	v_lshrrev_b32_e32 v5, 1, v3
	v_cmp_gt_u32_e32 vcc, s2, v5
	v_mov_b32_e32 v4, 0
	s_and_saveexec_b64 s[12:13], vcc
	s_cbranch_execz .LBB79_5
; %bb.2:
	s_load_dwordx4 s[8:11], s[0:1], 0x0
	s_add_i32 s0, s4, 0x1ff
	s_ashr_i32 s1, s0, 31
	s_lshr_b32 s1, s1, 23
	s_add_i32 s0, s0, s1
	s_ashr_i32 s0, s0, 9
	s_mul_i32 s0, s3, s0
	v_lshlrev_b32_e32 v0, 3, v3
	v_mov_b32_e32 v1, 0
	v_mul_lo_u32 v6, v2, s2
	s_lshl_b32 s4, s0, 4
	v_and_b32_e32 v0, 8, v0
	s_mov_b64 s[0:1], 0
	s_mov_b32 s14, 0.5
	v_mov_b32_e32 v4, v1
.LBB79_3:                               ; =>This Inner Loop Header: Depth=1
	v_add_u32_e32 v7, v6, v5
	v_add_u32_e32 v10, s4, v5
	s_waitcnt lgkmcnt(0)
	v_mad_i64_i32 v[8:9], s[16:17], v7, 20, s[8:9]
	v_mad_i64_i32 v[10:11], s[16:17], v10, 36, s[10:11]
	v_lshl_add_u64 v[12:13], v[8:9], 0, v[0:1]
	v_lshl_add_u64 v[14:15], v[10:11], 0, v[0:1]
	global_load_dword v7, v[8:9], off
	global_load_dwordx2 v[16:17], v[12:13], off offset:4
	global_load_dwordx2 v[18:19], v[14:15], off offset:4
	;; [unrolled: 1-line block ×3, first 2 shown]
	global_load_dword v22, v[10:11], off
	v_mov_b32_e32 v8, 0
	v_add_u32_e32 v5, 32, v5
	v_cmp_le_u32_e32 vcc, s2, v5
	s_or_b64 s[0:1], vcc, s[0:1]
	s_waitcnt vmcnt(3)
	v_and_b32_e32 v9, 0xf0f0f0f, v16
	v_lshrrev_b32_e32 v10, 4, v16
	v_and_b32_e32 v10, 0xf0f0f0f, v10
	s_waitcnt vmcnt(2)
	v_dot4c_i32_i8_e32 v8, v9, v18
	v_and_b32_e32 v11, 0xf0f0f0f, v17
	v_lshrrev_b32_e32 v12, 4, v17
	s_waitcnt vmcnt(1)
	v_dot4c_i32_i8_e32 v8, v10, v20
	v_and_b32_e32 v9, 0xf0f0f0f, v12
	v_dot4c_i32_i8_e32 v8, v11, v19
	s_waitcnt vmcnt(0)
	v_pk_mul_f16 v7, v7, v22
	v_dot4c_i32_i8_e32 v8, v9, v21
	v_cvt_f32_f16_e32 v13, v7
	s_nop 1
	v_cvt_f32_i32_e32 v8, v8
	v_mul_f32_e32 v8, v8, v13
	v_fma_mix_f32 v7, v7, s14, v8 op_sel:[1,0,0] op_sel_hi:[1,0,0]
	s_nop 0
	v_add_f32_e32 v4, v4, v7
	s_andn2_b64 exec, exec, s[0:1]
	s_cbranch_execnz .LBB79_3
; %bb.4:
	s_or_b64 exec, exec, s[0:1]
.LBB79_5:
	s_or_b64 exec, exec, s[12:13]
	v_mbcnt_lo_u32_b32 v0, -1, 0
	v_mbcnt_hi_u32_b32 v1, -1, v0
	v_and_b32_e32 v0, 64, v1
	v_add_u32_e32 v5, 64, v0
	v_xor_b32_e32 v0, 32, v1
	v_cmp_lt_i32_e32 vcc, v0, v5
	v_xor_b32_e32 v6, 16, v1
	s_nop 0
	v_cndmask_b32_e32 v0, v1, v0, vcc
	v_lshlrev_b32_e32 v0, 2, v0
	ds_bpermute_b32 v0, v0, v4
	v_cmp_lt_i32_e32 vcc, v6, v5
	s_waitcnt lgkmcnt(0)
	v_add_f32_e32 v0, v4, v0
	v_cndmask_b32_e32 v4, v1, v6, vcc
	v_lshlrev_b32_e32 v4, 2, v4
	ds_bpermute_b32 v4, v4, v0
	v_xor_b32_e32 v6, 8, v1
	v_cmp_lt_i32_e32 vcc, v6, v5
	s_waitcnt lgkmcnt(0)
	v_add_f32_e32 v0, v0, v4
	v_cndmask_b32_e32 v4, v1, v6, vcc
	v_lshlrev_b32_e32 v4, 2, v4
	ds_bpermute_b32 v4, v4, v0
	v_xor_b32_e32 v6, 4, v1
	;; [unrolled: 7-line block ×4, first 2 shown]
	v_cmp_lt_i32_e32 vcc, v6, v5
	s_waitcnt lgkmcnt(0)
	v_add_f32_e32 v0, v0, v4
	v_cndmask_b32_e32 v1, v1, v6, vcc
	v_lshlrev_b32_e32 v1, 2, v1
	ds_bpermute_b32 v1, v1, v0
	v_cmp_eq_u32_e32 vcc, 0, v3
	s_and_b64 exec, exec, vcc
	s_cbranch_execz .LBB79_7
; %bb.6:
	s_waitcnt lgkmcnt(0)
	v_add_f32_e32 v0, v0, v1
	v_cvt_f16_f32_e32 v3, v0
	s_mul_i32 s3, s3, s5
	v_add_u32_e32 v0, s3, v2
	v_mov_b32_e32 v1, 0
	v_lshl_add_u64 v[0:1], v[0:1], 1, s[6:7]
	global_store_short v[0:1], v3, off
.LBB79_7:
	s_endpgm
	.section	.rodata,"a",@progbits
	.p2align	6, 0x0
	.amdhsa_kernel _ZL13mul_mat_vec_qIN3c104HalfELi32ELi4E10block_q4_1Li2EXadL_ZL17vec_dot_q4_1_q8_1PKvPK10block_q8_1RKiEEEvS4_S4_PT_iii
		.amdhsa_group_segment_fixed_size 0
		.amdhsa_private_segment_fixed_size 0
		.amdhsa_kernarg_size 296
		.amdhsa_user_sgpr_count 2
		.amdhsa_user_sgpr_dispatch_ptr 0
		.amdhsa_user_sgpr_queue_ptr 0
		.amdhsa_user_sgpr_kernarg_segment_ptr 1
		.amdhsa_user_sgpr_dispatch_id 0
		.amdhsa_user_sgpr_kernarg_preload_length 0
		.amdhsa_user_sgpr_kernarg_preload_offset 0
		.amdhsa_user_sgpr_private_segment_size 0
		.amdhsa_uses_dynamic_stack 0
		.amdhsa_enable_private_segment 0
		.amdhsa_system_sgpr_workgroup_id_x 1
		.amdhsa_system_sgpr_workgroup_id_y 1
		.amdhsa_system_sgpr_workgroup_id_z 0
		.amdhsa_system_sgpr_workgroup_info 0
		.amdhsa_system_vgpr_workitem_id 1
		.amdhsa_next_free_vgpr 23
		.amdhsa_next_free_sgpr 18
		.amdhsa_accum_offset 24
		.amdhsa_reserve_vcc 1
		.amdhsa_float_round_mode_32 0
		.amdhsa_float_round_mode_16_64 0
		.amdhsa_float_denorm_mode_32 3
		.amdhsa_float_denorm_mode_16_64 3
		.amdhsa_dx10_clamp 1
		.amdhsa_ieee_mode 1
		.amdhsa_fp16_overflow 0
		.amdhsa_tg_split 0
		.amdhsa_exception_fp_ieee_invalid_op 0
		.amdhsa_exception_fp_denorm_src 0
		.amdhsa_exception_fp_ieee_div_zero 0
		.amdhsa_exception_fp_ieee_overflow 0
		.amdhsa_exception_fp_ieee_underflow 0
		.amdhsa_exception_fp_ieee_inexact 0
		.amdhsa_exception_int_div_zero 0
	.end_amdhsa_kernel
	.section	.text._ZL13mul_mat_vec_qIN3c104HalfELi32ELi4E10block_q4_1Li2EXadL_ZL17vec_dot_q4_1_q8_1PKvPK10block_q8_1RKiEEEvS4_S4_PT_iii,"axG",@progbits,_ZL13mul_mat_vec_qIN3c104HalfELi32ELi4E10block_q4_1Li2EXadL_ZL17vec_dot_q4_1_q8_1PKvPK10block_q8_1RKiEEEvS4_S4_PT_iii,comdat
.Lfunc_end79:
	.size	_ZL13mul_mat_vec_qIN3c104HalfELi32ELi4E10block_q4_1Li2EXadL_ZL17vec_dot_q4_1_q8_1PKvPK10block_q8_1RKiEEEvS4_S4_PT_iii, .Lfunc_end79-_ZL13mul_mat_vec_qIN3c104HalfELi32ELi4E10block_q4_1Li2EXadL_ZL17vec_dot_q4_1_q8_1PKvPK10block_q8_1RKiEEEvS4_S4_PT_iii
                                        ; -- End function
	.section	.AMDGPU.csdata,"",@progbits
; Kernel info:
; codeLenInByte = 684
; NumSgprs: 24
; NumVgprs: 23
; NumAgprs: 0
; TotalNumVgprs: 23
; ScratchSize: 0
; MemoryBound: 0
; FloatMode: 240
; IeeeMode: 1
; LDSByteSize: 0 bytes/workgroup (compile time only)
; SGPRBlocks: 2
; VGPRBlocks: 2
; NumSGPRsForWavesPerEU: 24
; NumVGPRsForWavesPerEU: 23
; AccumOffset: 24
; Occupancy: 8
; WaveLimiterHint : 0
; COMPUTE_PGM_RSRC2:SCRATCH_EN: 0
; COMPUTE_PGM_RSRC2:USER_SGPR: 2
; COMPUTE_PGM_RSRC2:TRAP_HANDLER: 0
; COMPUTE_PGM_RSRC2:TGID_X_EN: 1
; COMPUTE_PGM_RSRC2:TGID_Y_EN: 1
; COMPUTE_PGM_RSRC2:TGID_Z_EN: 0
; COMPUTE_PGM_RSRC2:TIDIG_COMP_CNT: 1
; COMPUTE_PGM_RSRC3_GFX90A:ACCUM_OFFSET: 5
; COMPUTE_PGM_RSRC3_GFX90A:TG_SPLIT: 0
	.section	.text._ZL13mul_mat_vec_qIN3c104HalfELi32ELi4E10block_q5_0Li2EXadL_ZL17vec_dot_q5_0_q8_1PKvPK10block_q8_1RKiEEEvS4_S4_PT_iii,"axG",@progbits,_ZL13mul_mat_vec_qIN3c104HalfELi32ELi4E10block_q5_0Li2EXadL_ZL17vec_dot_q5_0_q8_1PKvPK10block_q8_1RKiEEEvS4_S4_PT_iii,comdat
	.globl	_ZL13mul_mat_vec_qIN3c104HalfELi32ELi4E10block_q5_0Li2EXadL_ZL17vec_dot_q5_0_q8_1PKvPK10block_q8_1RKiEEEvS4_S4_PT_iii ; -- Begin function _ZL13mul_mat_vec_qIN3c104HalfELi32ELi4E10block_q5_0Li2EXadL_ZL17vec_dot_q5_0_q8_1PKvPK10block_q8_1RKiEEEvS4_S4_PT_iii
	.p2align	8
	.type	_ZL13mul_mat_vec_qIN3c104HalfELi32ELi4E10block_q5_0Li2EXadL_ZL17vec_dot_q5_0_q8_1PKvPK10block_q8_1RKiEEEvS4_S4_PT_iii,@function
_ZL13mul_mat_vec_qIN3c104HalfELi32ELi4E10block_q5_0Li2EXadL_ZL17vec_dot_q5_0_q8_1PKvPK10block_q8_1RKiEEEvS4_S4_PT_iii: ; @_ZL13mul_mat_vec_qIN3c104HalfELi32ELi4E10block_q5_0Li2EXadL_ZL17vec_dot_q5_0_q8_1PKvPK10block_q8_1RKiEEEvS4_S4_PT_iii
; %bb.0:
	s_load_dword s8, s[0:1], 0x34
	s_load_dwordx4 s[4:7], s[0:1], 0x18
	v_bfe_u32 v1, v0, 10, 10
	s_waitcnt lgkmcnt(0)
	s_lshr_b32 s7, s8, 16
	s_mul_i32 s2, s2, s7
	v_add_u32_e32 v4, s2, v1
	s_cmp_lt_u32 s3, s6
	v_cmp_gt_u32_e32 vcc, s5, v4
	s_cselect_b64 s[6:7], -1, 0
	s_and_b64 s[6:7], s[6:7], vcc
	s_and_saveexec_b64 s[8:9], s[6:7]
	s_cbranch_execz .LBB80_7
; %bb.1:
	s_load_dwordx2 s[6:7], s[0:1], 0x10
	s_ashr_i32 s2, s4, 31
	s_lshr_b32 s2, s2, 27
	s_add_i32 s2, s4, s2
	v_and_b32_e32 v5, 0x3ff, v0
	s_ashr_i32 s2, s2, 5
	v_lshrrev_b32_e32 v6, 1, v5
	v_cmp_gt_u32_e32 vcc, s2, v6
	v_mov_b32_e32 v7, 0
	s_and_saveexec_b64 s[12:13], vcc
	s_cbranch_execz .LBB80_5
; %bb.2:
	s_load_dwordx4 s[8:11], s[0:1], 0x0
	s_add_i32 s0, s4, 0x1ff
	s_ashr_i32 s1, s0, 31
	s_lshr_b32 s1, s1, 23
	s_add_i32 s0, s0, s1
	s_ashr_i32 s0, s0, 9
	v_lshlrev_b32_e32 v0, 3, v5
	s_mul_i32 s0, s3, s0
	v_and_b32_e32 v0, 8, v0
	v_mov_b32_e32 v1, 0
	v_mul_lo_u32 v8, v4, s2
	s_lshl_b32 s4, s0, 4
	v_or_b32_e32 v9, 4, v0
	s_mov_b64 s[0:1], 0
	s_mov_b32 s14, 0x1000706
	v_mov_b32_e32 v3, 0x41000000
	v_mov_b32_e32 v7, v1
.LBB80_3:                               ; =>This Inner Loop Header: Depth=1
	v_add_u32_e32 v2, v8, v6
	v_add_u32_e32 v12, s4, v6
	s_waitcnt lgkmcnt(0)
	v_mad_i64_i32 v[10:11], s[16:17], v2, 22, s[8:9]
	v_mad_i64_i32 v[12:13], s[16:17], v12, 36, s[10:11]
	global_load_dword v20, v[10:11], off
	global_load_ushort v2, v[10:11], off offset:4
	v_lshl_add_u64 v[14:15], v[12:13], 0, v[0:1]
	v_lshl_add_u64 v[10:11], v[10:11], 0, v[0:1]
	global_load_dwordx2 v[16:17], v[14:15], off offset:4
	global_load_dwordx2 v[18:19], v[14:15], off offset:20
	global_load_dword v21, v[10:11], off offset:6
	global_load_dword v22, v[10:11], off offset:10
	global_load_dword v23, v[12:13], off
	v_mov_b32_e32 v12, 0
	v_add_u32_e32 v6, 32, v6
	v_cmp_le_u32_e32 vcc, s2, v6
	s_or_b64 s[0:1], vcc, s[0:1]
	s_waitcnt vmcnt(5)
	v_perm_b32 v2, v20, v2, s14
	v_ashrrev_i32_e32 v13, v0, v2
	v_lshlrev_b32_e32 v24, 11, v13
	s_waitcnt vmcnt(0)
	v_cvt_f32_f16_e32 v10, v23
	v_cvt_f32_f16_sdwa v11, v23 dst_sel:DWORD dst_unused:UNUSED_PAD src0_sel:WORD_1
	v_lshlrev_b32_e32 v23, 4, v13
	v_ashrrev_i32_e32 v2, v9, v2
	v_and_b32_e32 v14, 0xf0f0f0f, v21
	v_lshlrev_b32_e32 v25, 18, v13
	v_lshlrev_b32_e32 v26, 25, v13
	v_lshrrev_b32_e32 v27, 12, v13
	v_lshrrev_b32_e32 v28, 5, v13
	v_lshlrev_b32_e32 v29, 2, v13
	v_and_b32_e32 v23, 16, v23
	v_and_b32_e32 v24, 0x1000, v24
	v_lshrrev_b32_e32 v15, 4, v21
	v_lshlrev_b32_e32 v13, 9, v13
	v_lshlrev_b32_e32 v30, 4, v2
	;; [unrolled: 1-line block ×4, first 2 shown]
	v_and_b32_e32 v25, 0x100000, v25
	v_and_b32_e32 v26, 0x10000000, v26
	;; [unrolled: 1-line block ×5, first 2 shown]
	v_or3_b32 v14, v23, v14, v24
	v_and_b32_e32 v15, 0xf0f0f0f, v15
	v_lshlrev_b32_e32 v33, 25, v2
	v_lshrrev_b32_e32 v34, 12, v2
	v_lshrrev_b32_e32 v35, 5, v2
	v_lshlrev_b32_e32 v36, 2, v2
	v_and_b32_e32 v13, 0x10000000, v13
	v_and_b32_e32 v30, 16, v30
	;; [unrolled: 1-line block ×4, first 2 shown]
	v_or3_b32 v23, v28, v27, v29
	v_or3_b32 v14, v14, v25, v26
	v_and_b32_e32 v21, 0xf0f0f0f, v22
	v_lshrrev_b32_e32 v22, 4, v22
	v_lshlrev_b32_e32 v2, 9, v2
	v_and_b32_e32 v33, 0x10000000, v33
	v_and_b32_e32 v34, 16, v34
	;; [unrolled: 1-line block ×4, first 2 shown]
	v_or3_b32 v24, v31, v30, v32
	v_or3_b32 v13, v23, v13, v15
	v_dot4c_i32_i8_e32 v12, v14, v16
	v_and_b32_e32 v22, 0xf0f0f0f, v22
	v_and_b32_e32 v2, 0x10000000, v2
	v_or3_b32 v27, v35, v34, v36
	v_or3_b32 v15, v24, v33, v21
	v_dot4c_i32_i8_e32 v12, v13, v18
	v_or3_b32 v2, v27, v2, v22
	v_dot4c_i32_i8_e32 v12, v15, v17
	v_dot4c_i32_i8_e32 v12, v2, v19
	s_nop 2
	v_cvt_f32_i32_e32 v2, v12
	v_pk_mul_f32 v[10:11], v[2:3], v[10:11]
	s_nop 0
	v_sub_f32_e32 v2, v10, v11
	v_fma_mix_f32 v7, v2, v20, v7 op_sel_hi:[0,1,0]
	s_andn2_b64 exec, exec, s[0:1]
	s_cbranch_execnz .LBB80_3
; %bb.4:
	s_or_b64 exec, exec, s[0:1]
.LBB80_5:
	s_or_b64 exec, exec, s[12:13]
	v_mbcnt_lo_u32_b32 v0, -1, 0
	v_mbcnt_hi_u32_b32 v1, -1, v0
	v_and_b32_e32 v0, 64, v1
	v_add_u32_e32 v2, 64, v0
	v_xor_b32_e32 v0, 32, v1
	v_cmp_lt_i32_e32 vcc, v0, v2
	v_xor_b32_e32 v3, 16, v1
	v_xor_b32_e32 v6, 8, v1
	v_cndmask_b32_e32 v0, v1, v0, vcc
	v_lshlrev_b32_e32 v0, 2, v0
	ds_bpermute_b32 v0, v0, v7
	v_cmp_lt_i32_e32 vcc, v3, v2
	s_waitcnt lgkmcnt(0)
	v_add_f32_e32 v0, v7, v0
	v_cndmask_b32_e32 v3, v1, v3, vcc
	v_lshlrev_b32_e32 v3, 2, v3
	ds_bpermute_b32 v3, v3, v0
	v_cmp_lt_i32_e32 vcc, v6, v2
	s_waitcnt lgkmcnt(0)
	v_add_f32_e32 v0, v0, v3
	v_cndmask_b32_e32 v3, v1, v6, vcc
	v_lshlrev_b32_e32 v3, 2, v3
	ds_bpermute_b32 v3, v3, v0
	v_xor_b32_e32 v6, 4, v1
	v_cmp_lt_i32_e32 vcc, v6, v2
	s_waitcnt lgkmcnt(0)
	v_add_f32_e32 v0, v0, v3
	v_cndmask_b32_e32 v3, v1, v6, vcc
	v_lshlrev_b32_e32 v3, 2, v3
	ds_bpermute_b32 v3, v3, v0
	v_xor_b32_e32 v6, 2, v1
	;; [unrolled: 7-line block ×3, first 2 shown]
	v_cmp_lt_i32_e32 vcc, v6, v2
	s_waitcnt lgkmcnt(0)
	v_add_f32_e32 v0, v0, v3
	v_cndmask_b32_e32 v1, v1, v6, vcc
	v_lshlrev_b32_e32 v1, 2, v1
	ds_bpermute_b32 v1, v1, v0
	v_cmp_eq_u32_e32 vcc, 0, v5
	s_and_b64 exec, exec, vcc
	s_cbranch_execz .LBB80_7
; %bb.6:
	s_waitcnt lgkmcnt(0)
	v_add_f32_e32 v0, v0, v1
	v_cvt_f16_f32_e32 v2, v0
	s_mul_i32 s3, s3, s5
	v_add_u32_e32 v0, s3, v4
	v_mov_b32_e32 v1, 0
	v_lshl_add_u64 v[0:1], v[0:1], 1, s[6:7]
	global_store_short v[0:1], v2, off
.LBB80_7:
	s_endpgm
	.section	.rodata,"a",@progbits
	.p2align	6, 0x0
	.amdhsa_kernel _ZL13mul_mat_vec_qIN3c104HalfELi32ELi4E10block_q5_0Li2EXadL_ZL17vec_dot_q5_0_q8_1PKvPK10block_q8_1RKiEEEvS4_S4_PT_iii
		.amdhsa_group_segment_fixed_size 0
		.amdhsa_private_segment_fixed_size 0
		.amdhsa_kernarg_size 296
		.amdhsa_user_sgpr_count 2
		.amdhsa_user_sgpr_dispatch_ptr 0
		.amdhsa_user_sgpr_queue_ptr 0
		.amdhsa_user_sgpr_kernarg_segment_ptr 1
		.amdhsa_user_sgpr_dispatch_id 0
		.amdhsa_user_sgpr_kernarg_preload_length 0
		.amdhsa_user_sgpr_kernarg_preload_offset 0
		.amdhsa_user_sgpr_private_segment_size 0
		.amdhsa_uses_dynamic_stack 0
		.amdhsa_enable_private_segment 0
		.amdhsa_system_sgpr_workgroup_id_x 1
		.amdhsa_system_sgpr_workgroup_id_y 1
		.amdhsa_system_sgpr_workgroup_id_z 0
		.amdhsa_system_sgpr_workgroup_info 0
		.amdhsa_system_vgpr_workitem_id 1
		.amdhsa_next_free_vgpr 37
		.amdhsa_next_free_sgpr 18
		.amdhsa_accum_offset 40
		.amdhsa_reserve_vcc 1
		.amdhsa_float_round_mode_32 0
		.amdhsa_float_round_mode_16_64 0
		.amdhsa_float_denorm_mode_32 3
		.amdhsa_float_denorm_mode_16_64 3
		.amdhsa_dx10_clamp 1
		.amdhsa_ieee_mode 1
		.amdhsa_fp16_overflow 0
		.amdhsa_tg_split 0
		.amdhsa_exception_fp_ieee_invalid_op 0
		.amdhsa_exception_fp_denorm_src 0
		.amdhsa_exception_fp_ieee_div_zero 0
		.amdhsa_exception_fp_ieee_overflow 0
		.amdhsa_exception_fp_ieee_underflow 0
		.amdhsa_exception_fp_ieee_inexact 0
		.amdhsa_exception_int_div_zero 0
	.end_amdhsa_kernel
	.section	.text._ZL13mul_mat_vec_qIN3c104HalfELi32ELi4E10block_q5_0Li2EXadL_ZL17vec_dot_q5_0_q8_1PKvPK10block_q8_1RKiEEEvS4_S4_PT_iii,"axG",@progbits,_ZL13mul_mat_vec_qIN3c104HalfELi32ELi4E10block_q5_0Li2EXadL_ZL17vec_dot_q5_0_q8_1PKvPK10block_q8_1RKiEEEvS4_S4_PT_iii,comdat
.Lfunc_end80:
	.size	_ZL13mul_mat_vec_qIN3c104HalfELi32ELi4E10block_q5_0Li2EXadL_ZL17vec_dot_q5_0_q8_1PKvPK10block_q8_1RKiEEEvS4_S4_PT_iii, .Lfunc_end80-_ZL13mul_mat_vec_qIN3c104HalfELi32ELi4E10block_q5_0Li2EXadL_ZL17vec_dot_q5_0_q8_1PKvPK10block_q8_1RKiEEEvS4_S4_PT_iii
                                        ; -- End function
	.section	.AMDGPU.csdata,"",@progbits
; Kernel info:
; codeLenInByte = 964
; NumSgprs: 24
; NumVgprs: 37
; NumAgprs: 0
; TotalNumVgprs: 37
; ScratchSize: 0
; MemoryBound: 0
; FloatMode: 240
; IeeeMode: 1
; LDSByteSize: 0 bytes/workgroup (compile time only)
; SGPRBlocks: 2
; VGPRBlocks: 4
; NumSGPRsForWavesPerEU: 24
; NumVGPRsForWavesPerEU: 37
; AccumOffset: 40
; Occupancy: 8
; WaveLimiterHint : 0
; COMPUTE_PGM_RSRC2:SCRATCH_EN: 0
; COMPUTE_PGM_RSRC2:USER_SGPR: 2
; COMPUTE_PGM_RSRC2:TRAP_HANDLER: 0
; COMPUTE_PGM_RSRC2:TGID_X_EN: 1
; COMPUTE_PGM_RSRC2:TGID_Y_EN: 1
; COMPUTE_PGM_RSRC2:TGID_Z_EN: 0
; COMPUTE_PGM_RSRC2:TIDIG_COMP_CNT: 1
; COMPUTE_PGM_RSRC3_GFX90A:ACCUM_OFFSET: 9
; COMPUTE_PGM_RSRC3_GFX90A:TG_SPLIT: 0
	.section	.text._ZL13mul_mat_vec_qIN3c104HalfELi32ELi4E10block_q5_1Li2EXadL_ZL17vec_dot_q5_1_q8_1PKvPK10block_q8_1RKiEEEvS4_S4_PT_iii,"axG",@progbits,_ZL13mul_mat_vec_qIN3c104HalfELi32ELi4E10block_q5_1Li2EXadL_ZL17vec_dot_q5_1_q8_1PKvPK10block_q8_1RKiEEEvS4_S4_PT_iii,comdat
	.globl	_ZL13mul_mat_vec_qIN3c104HalfELi32ELi4E10block_q5_1Li2EXadL_ZL17vec_dot_q5_1_q8_1PKvPK10block_q8_1RKiEEEvS4_S4_PT_iii ; -- Begin function _ZL13mul_mat_vec_qIN3c104HalfELi32ELi4E10block_q5_1Li2EXadL_ZL17vec_dot_q5_1_q8_1PKvPK10block_q8_1RKiEEEvS4_S4_PT_iii
	.p2align	8
	.type	_ZL13mul_mat_vec_qIN3c104HalfELi32ELi4E10block_q5_1Li2EXadL_ZL17vec_dot_q5_1_q8_1PKvPK10block_q8_1RKiEEEvS4_S4_PT_iii,@function
_ZL13mul_mat_vec_qIN3c104HalfELi32ELi4E10block_q5_1Li2EXadL_ZL17vec_dot_q5_1_q8_1PKvPK10block_q8_1RKiEEEvS4_S4_PT_iii: ; @_ZL13mul_mat_vec_qIN3c104HalfELi32ELi4E10block_q5_1Li2EXadL_ZL17vec_dot_q5_1_q8_1PKvPK10block_q8_1RKiEEEvS4_S4_PT_iii
; %bb.0:
	s_load_dword s8, s[0:1], 0x34
	s_load_dwordx4 s[4:7], s[0:1], 0x18
	v_bfe_u32 v1, v0, 10, 10
	s_waitcnt lgkmcnt(0)
	s_lshr_b32 s7, s8, 16
	s_mul_i32 s2, s2, s7
	v_add_u32_e32 v2, s2, v1
	s_cmp_lt_u32 s3, s6
	v_cmp_gt_u32_e32 vcc, s5, v2
	s_cselect_b64 s[6:7], -1, 0
	s_and_b64 s[6:7], s[6:7], vcc
	s_and_saveexec_b64 s[8:9], s[6:7]
	s_cbranch_execz .LBB81_7
; %bb.1:
	s_load_dwordx2 s[6:7], s[0:1], 0x10
	s_ashr_i32 s2, s4, 31
	s_lshr_b32 s2, s2, 27
	s_add_i32 s2, s4, s2
	v_and_b32_e32 v3, 0x3ff, v0
	s_ashr_i32 s2, s2, 5
	v_lshrrev_b32_e32 v4, 1, v3
	v_cmp_gt_u32_e32 vcc, s2, v4
	v_mov_b32_e32 v5, 0
	s_and_saveexec_b64 s[12:13], vcc
	s_cbranch_execz .LBB81_5
; %bb.2:
	s_load_dwordx4 s[8:11], s[0:1], 0x0
	s_add_i32 s0, s4, 0x1ff
	s_ashr_i32 s1, s0, 31
	s_lshr_b32 s1, s1, 23
	s_add_i32 s0, s0, s1
	s_ashr_i32 s0, s0, 9
	v_lshlrev_b32_e32 v0, 3, v3
	s_mul_i32 s0, s3, s0
	v_and_b32_e32 v0, 8, v0
	v_mov_b32_e32 v1, 0
	v_mul_lo_u32 v6, v2, s2
	s_lshl_b32 s4, s0, 4
	v_or_b32_e32 v7, 4, v0
	s_mov_b64 s[0:1], 0
	s_mov_b32 s14, 0.5
	v_mov_b32_e32 v5, v1
.LBB81_3:                               ; =>This Inner Loop Header: Depth=1
	v_add_u32_e32 v8, v6, v4
	s_waitcnt lgkmcnt(0)
	v_mad_i64_i32 v[8:9], s[16:17], v8, 24, s[8:9]
	v_add_u32_e32 v10, s4, v4
	global_load_dwordx2 v[12:13], v[8:9], off
	v_mad_i64_i32 v[10:11], s[16:17], v10, 36, s[10:11]
	v_lshl_add_u64 v[8:9], v[8:9], 0, v[0:1]
	v_lshl_add_u64 v[14:15], v[10:11], 0, v[0:1]
	global_load_dwordx2 v[16:17], v[8:9], off offset:8
	global_load_dwordx2 v[18:19], v[14:15], off offset:4
	;; [unrolled: 1-line block ×3, first 2 shown]
	global_load_dword v22, v[10:11], off
	v_mov_b32_e32 v8, 0
	v_add_u32_e32 v4, 32, v4
	v_cmp_le_u32_e32 vcc, s2, v4
	s_or_b64 s[0:1], vcc, s[0:1]
	s_waitcnt vmcnt(4)
	v_ashrrev_i32_e32 v9, v0, v13
	v_ashrrev_i32_e32 v10, v7, v13
	v_lshlrev_b32_e32 v13, 4, v9
	v_lshlrev_b32_e32 v14, 11, v9
	;; [unrolled: 1-line block ×3, first 2 shown]
	s_waitcnt vmcnt(0)
	v_pk_mul_f16 v11, v12, v22
	v_and_b32_e32 v12, 0xf0f0f0f, v16
	v_lshlrev_b32_e32 v22, 25, v9
	v_lshrrev_b32_e32 v23, 12, v9
	v_lshrrev_b32_e32 v24, 5, v9
	v_lshlrev_b32_e32 v25, 2, v9
	v_and_b32_e32 v13, 16, v13
	v_and_b32_e32 v14, 0x1000, v14
	v_lshrrev_b32_e32 v16, 4, v16
	v_lshlrev_b32_e32 v9, 9, v9
	v_lshlrev_b32_e32 v27, 4, v10
	;; [unrolled: 1-line block ×4, first 2 shown]
	v_and_b32_e32 v15, 0x100000, v15
	v_and_b32_e32 v22, 0x10000000, v22
	;; [unrolled: 1-line block ×5, first 2 shown]
	v_or3_b32 v12, v13, v12, v14
	v_lshlrev_b32_e32 v30, 25, v10
	v_lshrrev_b32_e32 v31, 12, v10
	v_lshrrev_b32_e32 v32, 5, v10
	v_lshlrev_b32_e32 v33, 2, v10
	v_and_b32_e32 v16, 0xf0f0f0f, v16
	v_and_b32_e32 v9, 0x10000000, v9
	;; [unrolled: 1-line block ×5, first 2 shown]
	v_or3_b32 v13, v24, v23, v25
	v_or3_b32 v12, v12, v15, v22
	v_and_b32_e32 v26, 0xf0f0f0f, v17
	v_lshrrev_b32_e32 v17, 4, v17
	v_lshlrev_b32_e32 v10, 9, v10
	v_and_b32_e32 v30, 0x10000000, v30
	v_and_b32_e32 v31, 16, v31
	;; [unrolled: 1-line block ×4, first 2 shown]
	v_or3_b32 v14, v28, v27, v29
	v_or3_b32 v9, v13, v9, v16
	v_dot4c_i32_i8_e32 v8, v12, v18
	v_and_b32_e32 v17, 0xf0f0f0f, v17
	v_and_b32_e32 v10, 0x10000000, v10
	v_or3_b32 v23, v32, v31, v33
	v_or3_b32 v13, v14, v30, v26
	v_dot4c_i32_i8_e32 v8, v9, v20
	v_or3_b32 v10, v23, v10, v17
	v_dot4c_i32_i8_e32 v8, v13, v19
	v_dot4c_i32_i8_e32 v8, v10, v21
	v_cvt_f32_f16_e32 v34, v11
	s_nop 1
	v_cvt_f32_i32_e32 v8, v8
	v_mul_f32_e32 v8, v34, v8
	v_fma_mix_f32 v8, v11, s14, v8 op_sel:[1,0,0] op_sel_hi:[1,0,0]
	s_nop 0
	v_add_f32_e32 v5, v5, v8
	s_andn2_b64 exec, exec, s[0:1]
	s_cbranch_execnz .LBB81_3
; %bb.4:
	s_or_b64 exec, exec, s[0:1]
.LBB81_5:
	s_or_b64 exec, exec, s[12:13]
	v_mbcnt_lo_u32_b32 v0, -1, 0
	v_mbcnt_hi_u32_b32 v1, -1, v0
	v_and_b32_e32 v0, 64, v1
	v_add_u32_e32 v4, 64, v0
	v_xor_b32_e32 v0, 32, v1
	v_cmp_lt_i32_e32 vcc, v0, v4
	v_xor_b32_e32 v6, 16, v1
	s_nop 0
	v_cndmask_b32_e32 v0, v1, v0, vcc
	v_lshlrev_b32_e32 v0, 2, v0
	ds_bpermute_b32 v0, v0, v5
	v_cmp_lt_i32_e32 vcc, v6, v4
	s_waitcnt lgkmcnt(0)
	v_add_f32_e32 v0, v5, v0
	v_cndmask_b32_e32 v5, v1, v6, vcc
	v_lshlrev_b32_e32 v5, 2, v5
	ds_bpermute_b32 v5, v5, v0
	v_xor_b32_e32 v6, 8, v1
	v_cmp_lt_i32_e32 vcc, v6, v4
	s_waitcnt lgkmcnt(0)
	v_add_f32_e32 v0, v0, v5
	v_cndmask_b32_e32 v5, v1, v6, vcc
	v_lshlrev_b32_e32 v5, 2, v5
	ds_bpermute_b32 v5, v5, v0
	v_xor_b32_e32 v6, 4, v1
	;; [unrolled: 7-line block ×4, first 2 shown]
	v_cmp_lt_i32_e32 vcc, v6, v4
	s_waitcnt lgkmcnt(0)
	v_add_f32_e32 v0, v0, v5
	v_cndmask_b32_e32 v1, v1, v6, vcc
	v_lshlrev_b32_e32 v1, 2, v1
	ds_bpermute_b32 v1, v1, v0
	v_cmp_eq_u32_e32 vcc, 0, v3
	s_and_b64 exec, exec, vcc
	s_cbranch_execz .LBB81_7
; %bb.6:
	s_waitcnt lgkmcnt(0)
	v_add_f32_e32 v0, v0, v1
	v_cvt_f16_f32_e32 v3, v0
	s_mul_i32 s3, s3, s5
	v_add_u32_e32 v0, s3, v2
	v_mov_b32_e32 v1, 0
	v_lshl_add_u64 v[0:1], v[0:1], 1, s[6:7]
	global_store_short v[0:1], v3, off
.LBB81_7:
	s_endpgm
	.section	.rodata,"a",@progbits
	.p2align	6, 0x0
	.amdhsa_kernel _ZL13mul_mat_vec_qIN3c104HalfELi32ELi4E10block_q5_1Li2EXadL_ZL17vec_dot_q5_1_q8_1PKvPK10block_q8_1RKiEEEvS4_S4_PT_iii
		.amdhsa_group_segment_fixed_size 0
		.amdhsa_private_segment_fixed_size 0
		.amdhsa_kernarg_size 296
		.amdhsa_user_sgpr_count 2
		.amdhsa_user_sgpr_dispatch_ptr 0
		.amdhsa_user_sgpr_queue_ptr 0
		.amdhsa_user_sgpr_kernarg_segment_ptr 1
		.amdhsa_user_sgpr_dispatch_id 0
		.amdhsa_user_sgpr_kernarg_preload_length 0
		.amdhsa_user_sgpr_kernarg_preload_offset 0
		.amdhsa_user_sgpr_private_segment_size 0
		.amdhsa_uses_dynamic_stack 0
		.amdhsa_enable_private_segment 0
		.amdhsa_system_sgpr_workgroup_id_x 1
		.amdhsa_system_sgpr_workgroup_id_y 1
		.amdhsa_system_sgpr_workgroup_id_z 0
		.amdhsa_system_sgpr_workgroup_info 0
		.amdhsa_system_vgpr_workitem_id 1
		.amdhsa_next_free_vgpr 35
		.amdhsa_next_free_sgpr 18
		.amdhsa_accum_offset 36
		.amdhsa_reserve_vcc 1
		.amdhsa_float_round_mode_32 0
		.amdhsa_float_round_mode_16_64 0
		.amdhsa_float_denorm_mode_32 3
		.amdhsa_float_denorm_mode_16_64 3
		.amdhsa_dx10_clamp 1
		.amdhsa_ieee_mode 1
		.amdhsa_fp16_overflow 0
		.amdhsa_tg_split 0
		.amdhsa_exception_fp_ieee_invalid_op 0
		.amdhsa_exception_fp_denorm_src 0
		.amdhsa_exception_fp_ieee_div_zero 0
		.amdhsa_exception_fp_ieee_overflow 0
		.amdhsa_exception_fp_ieee_underflow 0
		.amdhsa_exception_fp_ieee_inexact 0
		.amdhsa_exception_int_div_zero 0
	.end_amdhsa_kernel
	.section	.text._ZL13mul_mat_vec_qIN3c104HalfELi32ELi4E10block_q5_1Li2EXadL_ZL17vec_dot_q5_1_q8_1PKvPK10block_q8_1RKiEEEvS4_S4_PT_iii,"axG",@progbits,_ZL13mul_mat_vec_qIN3c104HalfELi32ELi4E10block_q5_1Li2EXadL_ZL17vec_dot_q5_1_q8_1PKvPK10block_q8_1RKiEEEvS4_S4_PT_iii,comdat
.Lfunc_end81:
	.size	_ZL13mul_mat_vec_qIN3c104HalfELi32ELi4E10block_q5_1Li2EXadL_ZL17vec_dot_q5_1_q8_1PKvPK10block_q8_1RKiEEEvS4_S4_PT_iii, .Lfunc_end81-_ZL13mul_mat_vec_qIN3c104HalfELi32ELi4E10block_q5_1Li2EXadL_ZL17vec_dot_q5_1_q8_1PKvPK10block_q8_1RKiEEEvS4_S4_PT_iii
                                        ; -- End function
	.section	.AMDGPU.csdata,"",@progbits
; Kernel info:
; codeLenInByte = 928
; NumSgprs: 24
; NumVgprs: 35
; NumAgprs: 0
; TotalNumVgprs: 35
; ScratchSize: 0
; MemoryBound: 0
; FloatMode: 240
; IeeeMode: 1
; LDSByteSize: 0 bytes/workgroup (compile time only)
; SGPRBlocks: 2
; VGPRBlocks: 4
; NumSGPRsForWavesPerEU: 24
; NumVGPRsForWavesPerEU: 35
; AccumOffset: 36
; Occupancy: 8
; WaveLimiterHint : 0
; COMPUTE_PGM_RSRC2:SCRATCH_EN: 0
; COMPUTE_PGM_RSRC2:USER_SGPR: 2
; COMPUTE_PGM_RSRC2:TRAP_HANDLER: 0
; COMPUTE_PGM_RSRC2:TGID_X_EN: 1
; COMPUTE_PGM_RSRC2:TGID_Y_EN: 1
; COMPUTE_PGM_RSRC2:TGID_Z_EN: 0
; COMPUTE_PGM_RSRC2:TIDIG_COMP_CNT: 1
; COMPUTE_PGM_RSRC3_GFX90A:ACCUM_OFFSET: 8
; COMPUTE_PGM_RSRC3_GFX90A:TG_SPLIT: 0
	.section	.text._ZL13mul_mat_vec_qIN3c104HalfELi32ELi8E10block_q8_0Li2EXadL_ZL17vec_dot_q8_0_q8_1PKvPK10block_q8_1RKiEEEvS4_S4_PT_iii,"axG",@progbits,_ZL13mul_mat_vec_qIN3c104HalfELi32ELi8E10block_q8_0Li2EXadL_ZL17vec_dot_q8_0_q8_1PKvPK10block_q8_1RKiEEEvS4_S4_PT_iii,comdat
	.globl	_ZL13mul_mat_vec_qIN3c104HalfELi32ELi8E10block_q8_0Li2EXadL_ZL17vec_dot_q8_0_q8_1PKvPK10block_q8_1RKiEEEvS4_S4_PT_iii ; -- Begin function _ZL13mul_mat_vec_qIN3c104HalfELi32ELi8E10block_q8_0Li2EXadL_ZL17vec_dot_q8_0_q8_1PKvPK10block_q8_1RKiEEEvS4_S4_PT_iii
	.p2align	8
	.type	_ZL13mul_mat_vec_qIN3c104HalfELi32ELi8E10block_q8_0Li2EXadL_ZL17vec_dot_q8_0_q8_1PKvPK10block_q8_1RKiEEEvS4_S4_PT_iii,@function
_ZL13mul_mat_vec_qIN3c104HalfELi32ELi8E10block_q8_0Li2EXadL_ZL17vec_dot_q8_0_q8_1PKvPK10block_q8_1RKiEEEvS4_S4_PT_iii: ; @_ZL13mul_mat_vec_qIN3c104HalfELi32ELi8E10block_q8_0Li2EXadL_ZL17vec_dot_q8_0_q8_1PKvPK10block_q8_1RKiEEEvS4_S4_PT_iii
; %bb.0:
	s_load_dword s8, s[0:1], 0x34
	s_load_dwordx4 s[4:7], s[0:1], 0x18
	v_bfe_u32 v1, v0, 10, 10
	s_waitcnt lgkmcnt(0)
	s_lshr_b32 s7, s8, 16
	s_mul_i32 s2, s2, s7
	v_add_u32_e32 v2, s2, v1
	s_cmp_lt_u32 s3, s6
	v_cmp_gt_u32_e32 vcc, s5, v2
	s_cselect_b64 s[6:7], -1, 0
	s_and_b64 s[6:7], s[6:7], vcc
	s_and_saveexec_b64 s[8:9], s[6:7]
	s_cbranch_execz .LBB82_7
; %bb.1:
	s_load_dwordx2 s[6:7], s[0:1], 0x10
	s_ashr_i32 s2, s4, 31
	s_lshr_b32 s2, s2, 27
	s_add_i32 s2, s4, s2
	v_and_b32_e32 v3, 0x3ff, v0
	s_ashr_i32 s2, s2, 5
	v_lshrrev_b32_e32 v5, 2, v3
	v_cmp_gt_u32_e32 vcc, s2, v5
	v_mov_b32_e32 v4, 0
	s_and_saveexec_b64 s[12:13], vcc
	s_cbranch_execz .LBB82_5
; %bb.2:
	s_load_dwordx4 s[8:11], s[0:1], 0x0
	s_add_i32 s0, s4, 0x1ff
	s_ashr_i32 s1, s0, 31
	s_lshr_b32 s1, s1, 23
	s_add_i32 s0, s0, s1
	s_ashr_i32 s0, s0, 9
	s_mul_i32 s0, s3, s0
	v_lshlrev_b32_e32 v0, 3, v3
	v_mov_b32_e32 v1, 0
	v_mul_lo_u32 v6, v2, s2
	s_lshl_b32 s4, s0, 4
	v_and_b32_e32 v0, 24, v0
	s_mov_b64 s[0:1], 0
	v_mov_b32_e32 v4, v1
.LBB82_3:                               ; =>This Inner Loop Header: Depth=1
	v_add_u32_e32 v7, v6, v5
	v_add_u32_e32 v10, s4, v5
	s_waitcnt lgkmcnt(0)
	v_mad_i64_i32 v[8:9], s[14:15], v7, 34, s[8:9]
	v_mad_i64_i32 v[10:11], s[14:15], v10, 36, s[10:11]
	v_lshl_add_u64 v[12:13], v[8:9], 0, v[0:1]
	v_lshl_add_u64 v[14:15], v[10:11], 0, v[0:1]
	global_load_ushort v7, v[8:9], off
	global_load_dwordx2 v[16:17], v[12:13], off offset:2
	global_load_dwordx2 v[18:19], v[14:15], off offset:4
	global_load_dword v20, v[10:11], off
	v_mov_b32_e32 v8, 0
	v_add_u32_e32 v5, 16, v5
	v_cmp_le_u32_e32 vcc, s2, v5
	s_or_b64 s[0:1], vcc, s[0:1]
	s_waitcnt vmcnt(3)
	v_cvt_f32_f16_e32 v7, v7
	s_waitcnt vmcnt(1)
	v_dot4c_i32_i8_e32 v8, v16, v18
	s_waitcnt vmcnt(0)
	v_cvt_f32_f16_e32 v9, v20
	v_dot4c_i32_i8_e32 v8, v17, v19
	v_mul_f32_e32 v7, v7, v9
	s_nop 1
	v_cvt_f32_i32_e32 v8, v8
	v_fmac_f32_e32 v4, v7, v8
	s_andn2_b64 exec, exec, s[0:1]
	s_cbranch_execnz .LBB82_3
; %bb.4:
	s_or_b64 exec, exec, s[0:1]
.LBB82_5:
	s_or_b64 exec, exec, s[12:13]
	v_mbcnt_lo_u32_b32 v0, -1, 0
	v_mbcnt_hi_u32_b32 v1, -1, v0
	v_and_b32_e32 v0, 64, v1
	v_add_u32_e32 v5, 64, v0
	v_xor_b32_e32 v0, 32, v1
	v_cmp_lt_i32_e32 vcc, v0, v5
	v_xor_b32_e32 v6, 16, v1
	s_nop 0
	v_cndmask_b32_e32 v0, v1, v0, vcc
	v_lshlrev_b32_e32 v0, 2, v0
	ds_bpermute_b32 v0, v0, v4
	v_cmp_lt_i32_e32 vcc, v6, v5
	s_waitcnt lgkmcnt(0)
	v_add_f32_e32 v0, v4, v0
	v_cndmask_b32_e32 v4, v1, v6, vcc
	v_lshlrev_b32_e32 v4, 2, v4
	ds_bpermute_b32 v4, v4, v0
	v_xor_b32_e32 v6, 8, v1
	v_cmp_lt_i32_e32 vcc, v6, v5
	s_waitcnt lgkmcnt(0)
	v_add_f32_e32 v0, v0, v4
	v_cndmask_b32_e32 v4, v1, v6, vcc
	v_lshlrev_b32_e32 v4, 2, v4
	ds_bpermute_b32 v4, v4, v0
	v_xor_b32_e32 v6, 4, v1
	;; [unrolled: 7-line block ×4, first 2 shown]
	v_cmp_lt_i32_e32 vcc, v6, v5
	s_waitcnt lgkmcnt(0)
	v_add_f32_e32 v0, v0, v4
	v_cndmask_b32_e32 v1, v1, v6, vcc
	v_lshlrev_b32_e32 v1, 2, v1
	ds_bpermute_b32 v1, v1, v0
	v_cmp_eq_u32_e32 vcc, 0, v3
	s_and_b64 exec, exec, vcc
	s_cbranch_execz .LBB82_7
; %bb.6:
	s_waitcnt lgkmcnt(0)
	v_add_f32_e32 v0, v0, v1
	v_cvt_f16_f32_e32 v3, v0
	s_mul_i32 s3, s3, s5
	v_add_u32_e32 v0, s3, v2
	v_mov_b32_e32 v1, 0
	v_lshl_add_u64 v[0:1], v[0:1], 1, s[6:7]
	global_store_short v[0:1], v3, off
.LBB82_7:
	s_endpgm
	.section	.rodata,"a",@progbits
	.p2align	6, 0x0
	.amdhsa_kernel _ZL13mul_mat_vec_qIN3c104HalfELi32ELi8E10block_q8_0Li2EXadL_ZL17vec_dot_q8_0_q8_1PKvPK10block_q8_1RKiEEEvS4_S4_PT_iii
		.amdhsa_group_segment_fixed_size 0
		.amdhsa_private_segment_fixed_size 0
		.amdhsa_kernarg_size 296
		.amdhsa_user_sgpr_count 2
		.amdhsa_user_sgpr_dispatch_ptr 0
		.amdhsa_user_sgpr_queue_ptr 0
		.amdhsa_user_sgpr_kernarg_segment_ptr 1
		.amdhsa_user_sgpr_dispatch_id 0
		.amdhsa_user_sgpr_kernarg_preload_length 0
		.amdhsa_user_sgpr_kernarg_preload_offset 0
		.amdhsa_user_sgpr_private_segment_size 0
		.amdhsa_uses_dynamic_stack 0
		.amdhsa_enable_private_segment 0
		.amdhsa_system_sgpr_workgroup_id_x 1
		.amdhsa_system_sgpr_workgroup_id_y 1
		.amdhsa_system_sgpr_workgroup_id_z 0
		.amdhsa_system_sgpr_workgroup_info 0
		.amdhsa_system_vgpr_workitem_id 1
		.amdhsa_next_free_vgpr 21
		.amdhsa_next_free_sgpr 16
		.amdhsa_accum_offset 24
		.amdhsa_reserve_vcc 1
		.amdhsa_float_round_mode_32 0
		.amdhsa_float_round_mode_16_64 0
		.amdhsa_float_denorm_mode_32 3
		.amdhsa_float_denorm_mode_16_64 3
		.amdhsa_dx10_clamp 1
		.amdhsa_ieee_mode 1
		.amdhsa_fp16_overflow 0
		.amdhsa_tg_split 0
		.amdhsa_exception_fp_ieee_invalid_op 0
		.amdhsa_exception_fp_denorm_src 0
		.amdhsa_exception_fp_ieee_div_zero 0
		.amdhsa_exception_fp_ieee_overflow 0
		.amdhsa_exception_fp_ieee_underflow 0
		.amdhsa_exception_fp_ieee_inexact 0
		.amdhsa_exception_int_div_zero 0
	.end_amdhsa_kernel
	.section	.text._ZL13mul_mat_vec_qIN3c104HalfELi32ELi8E10block_q8_0Li2EXadL_ZL17vec_dot_q8_0_q8_1PKvPK10block_q8_1RKiEEEvS4_S4_PT_iii,"axG",@progbits,_ZL13mul_mat_vec_qIN3c104HalfELi32ELi8E10block_q8_0Li2EXadL_ZL17vec_dot_q8_0_q8_1PKvPK10block_q8_1RKiEEEvS4_S4_PT_iii,comdat
.Lfunc_end82:
	.size	_ZL13mul_mat_vec_qIN3c104HalfELi32ELi8E10block_q8_0Li2EXadL_ZL17vec_dot_q8_0_q8_1PKvPK10block_q8_1RKiEEEvS4_S4_PT_iii, .Lfunc_end82-_ZL13mul_mat_vec_qIN3c104HalfELi32ELi8E10block_q8_0Li2EXadL_ZL17vec_dot_q8_0_q8_1PKvPK10block_q8_1RKiEEEvS4_S4_PT_iii
                                        ; -- End function
	.section	.AMDGPU.csdata,"",@progbits
; Kernel info:
; codeLenInByte = 604
; NumSgprs: 22
; NumVgprs: 21
; NumAgprs: 0
; TotalNumVgprs: 21
; ScratchSize: 0
; MemoryBound: 0
; FloatMode: 240
; IeeeMode: 1
; LDSByteSize: 0 bytes/workgroup (compile time only)
; SGPRBlocks: 2
; VGPRBlocks: 2
; NumSGPRsForWavesPerEU: 22
; NumVGPRsForWavesPerEU: 21
; AccumOffset: 24
; Occupancy: 8
; WaveLimiterHint : 0
; COMPUTE_PGM_RSRC2:SCRATCH_EN: 0
; COMPUTE_PGM_RSRC2:USER_SGPR: 2
; COMPUTE_PGM_RSRC2:TRAP_HANDLER: 0
; COMPUTE_PGM_RSRC2:TGID_X_EN: 1
; COMPUTE_PGM_RSRC2:TGID_Y_EN: 1
; COMPUTE_PGM_RSRC2:TGID_Z_EN: 0
; COMPUTE_PGM_RSRC2:TIDIG_COMP_CNT: 1
; COMPUTE_PGM_RSRC3_GFX90A:ACCUM_OFFSET: 5
; COMPUTE_PGM_RSRC3_GFX90A:TG_SPLIT: 0
	.section	.text._ZL13mul_mat_vec_qIN3c104HalfELi256ELi16E10block_q2_KLi1EXadL_ZL17vec_dot_q2_K_q8_1PKvPK10block_q8_1RKiEEEvS4_S4_PT_iii,"axG",@progbits,_ZL13mul_mat_vec_qIN3c104HalfELi256ELi16E10block_q2_KLi1EXadL_ZL17vec_dot_q2_K_q8_1PKvPK10block_q8_1RKiEEEvS4_S4_PT_iii,comdat
	.globl	_ZL13mul_mat_vec_qIN3c104HalfELi256ELi16E10block_q2_KLi1EXadL_ZL17vec_dot_q2_K_q8_1PKvPK10block_q8_1RKiEEEvS4_S4_PT_iii ; -- Begin function _ZL13mul_mat_vec_qIN3c104HalfELi256ELi16E10block_q2_KLi1EXadL_ZL17vec_dot_q2_K_q8_1PKvPK10block_q8_1RKiEEEvS4_S4_PT_iii
	.p2align	8
	.type	_ZL13mul_mat_vec_qIN3c104HalfELi256ELi16E10block_q2_KLi1EXadL_ZL17vec_dot_q2_K_q8_1PKvPK10block_q8_1RKiEEEvS4_S4_PT_iii,@function
_ZL13mul_mat_vec_qIN3c104HalfELi256ELi16E10block_q2_KLi1EXadL_ZL17vec_dot_q2_K_q8_1PKvPK10block_q8_1RKiEEEvS4_S4_PT_iii: ; @_ZL13mul_mat_vec_qIN3c104HalfELi256ELi16E10block_q2_KLi1EXadL_ZL17vec_dot_q2_K_q8_1PKvPK10block_q8_1RKiEEEvS4_S4_PT_iii
; %bb.0:
	s_load_dword s8, s[0:1], 0x34
	s_load_dwordx4 s[4:7], s[0:1], 0x18
	v_bfe_u32 v1, v0, 10, 10
	s_waitcnt lgkmcnt(0)
	s_lshr_b32 s7, s8, 16
	s_mul_i32 s2, s2, s7
	v_add_u32_e32 v10, s2, v1
	s_cmp_lt_u32 s3, s6
	v_cmp_gt_u32_e32 vcc, s5, v10
	s_cselect_b64 s[6:7], -1, 0
	s_and_b64 s[6:7], s[6:7], vcc
	s_and_saveexec_b64 s[8:9], s[6:7]
	s_cbranch_execz .LBB83_7
; %bb.1:
	s_load_dwordx2 s[6:7], s[0:1], 0x10
	s_ashr_i32 s2, s4, 31
	s_lshr_b32 s2, s2, 24
	s_add_i32 s2, s4, s2
	v_and_b32_e32 v11, 0x3ff, v0
	s_ashr_i32 s2, s2, 8
	v_lshrrev_b32_e32 v12, 4, v11
	v_cmp_gt_u32_e32 vcc, s2, v12
	v_mov_b32_e32 v14, 0
	s_and_saveexec_b64 s[8:9], vcc
	s_cbranch_execz .LBB83_5
; %bb.2:
	s_load_dwordx4 s[12:15], s[0:1], 0x0
	s_add_i32 s0, s4, 0x1ff
	v_and_b32_e32 v6, 15, v11
	s_ashr_i32 s1, s0, 31
	v_cmp_lt_u32_e32 vcc, 7, v6
	s_lshr_b32 s1, s1, 23
	v_mov_b32_e32 v1, 0
	v_cndmask_b32_e64 v0, 0, 1, vcc
	v_add_u32_e32 v2, -8, v6
	v_cmp_gt_u32_e32 vcc, 8, v6
	s_add_i32 s0, s0, s1
	v_mov_b32_e32 v5, v1
	v_cndmask_b32_e32 v4, v2, v6, vcc
	s_ashr_i32 s0, s0, 9
	v_lshlrev_b32_e32 v7, 2, v0
	v_lshlrev_b64 v[2:3], 2, v[4:5]
	v_sub_u32_e32 v5, v6, v4
	v_cmp_lt_u32_e32 vcc, 3, v4
	s_mul_i32 s4, s3, s0
	v_lshlrev_b32_e32 v0, 2, v6
	v_addc_co_u32_e32 v4, vcc, 0, v5, vcc
	s_waitcnt lgkmcnt(0)
	v_mad_u64_u32 v[6:7], s[0:1], v7, 36, s[14:15]
	v_lshlrev_b32_e32 v8, 3, v12
	v_mul_lo_u32 v13, v10, s2
	v_ashrrev_i32_e32 v5, 31, v4
	v_lshl_add_u32 v15, s4, 4, v8
	s_mov_b64 s[0:1], 0
	s_movk_i32 s4, 0x54
	v_mov_b64_e32 v[8:9], s[12:13]
	s_mov_b64 s[10:11], 0x48
	s_mov_b64 s[12:13], 0x6c
	s_mov_b32 s14, 0x1010101
	v_mov_b32_e32 v14, v1
.LBB83_3:                               ; =>This Inner Loop Header: Depth=1
	v_mad_i64_i32 v[16:17], s[16:17], v15, 36, v[6:7]
	v_add_u32_e32 v18, v13, v12
	global_load_dword v32, v[16:17], off
	global_load_dword v33, v[16:17], off offset:36
	global_load_dword v34, v[16:17], off offset:72
	v_mad_i64_i32 v[18:19], s[16:17], v18, s4, v[8:9]
	v_lshl_add_u64 v[20:21], v[16:17], 0, v[2:3]
	v_lshl_add_u64 v[22:23], v[16:17], 0, 36
	;; [unrolled: 1-line block ×9, first 2 shown]
	global_load_dword v35, v[20:21], off offset:4
	global_load_dword v36, v[22:23], off offset:4
	;; [unrolled: 1-line block ×6, first 2 shown]
	global_load_ubyte v41, v[30:31], off
	global_load_ubyte v42, v[30:31], off offset:2
	global_load_ubyte v43, v[30:31], off offset:4
	;; [unrolled: 1-line block ×3, first 2 shown]
	global_load_dword v45, v[18:19], off offset:80
	v_mov_b32_e32 v17, 0
	v_mov_b32_e32 v19, 0
	;; [unrolled: 1-line block ×8, first 2 shown]
	v_add_u32_e32 v12, 4, v12
	v_cmp_le_u32_e32 vcc, s2, v12
	v_add_u32_e32 v15, 32, v15
	s_or_b64 s[0:1], vcc, s[0:1]
	s_waitcnt vmcnt(13)
	v_cvt_f32_f16_e32 v16, v32
	s_waitcnt vmcnt(12)
	v_cvt_f32_f16_e32 v18, v33
	;; [unrolled: 2-line block ×4, first 2 shown]
	s_waitcnt vmcnt(5)
	v_and_b32_e32 v29, 0x3030303, v40
	s_waitcnt vmcnt(4)
	v_and_b32_e32 v31, 15, v41
	v_lshrrev_b32_e32 v32, 4, v41
	v_lshrrev_b32_e32 v33, 2, v40
	s_waitcnt vmcnt(3)
	v_lshrrev_b32_e32 v39, 4, v42
	v_lshrrev_b32_e32 v41, 4, v40
	;; [unrolled: 1-line block ×3, first 2 shown]
	v_and_b32_e32 v34, 15, v42
	s_waitcnt vmcnt(2)
	v_and_b32_e32 v42, 15, v43
	v_lshrrev_b32_e32 v43, 4, v43
	v_dot4c_i32_i8_e32 v17, v29, v35
	v_mul_lo_u32 v29, v32, s14
	v_and_b32_e32 v32, 0x3030303, v33
	v_mul_lo_u32 v33, v39, s14
	v_and_b32_e32 v39, 0x3030303, v41
	v_and_b32_e32 v40, 0x3030303, v40
	s_waitcnt vmcnt(1)
	v_and_b32_e32 v46, 15, v44
	v_lshrrev_b32_e32 v44, 4, v44
	v_mul_lo_u32 v41, v43, s14
	v_mul_lo_u32 v17, v31, v17
	v_dot4c_i32_i8_e32 v19, v29, v35
	v_dot4c_i32_i8_e32 v21, v32, v36
	;; [unrolled: 1-line block ×4, first 2 shown]
	v_mul_lo_u32 v43, v44, s14
	v_dot4c_i32_i8_e32 v23, v33, v36
	v_dot4c_i32_i8_e32 v28, v41, v37
	v_mul_lo_u32 v21, v34, v21
	v_mul_lo_u32 v32, v42, v26
	;; [unrolled: 1-line block ×3, first 2 shown]
	v_cvt_f32_i32_e32 v27, v19
	v_cvt_f32_i32_e32 v26, v17
	v_dot4c_i32_i8_e32 v30, v43, v38
	v_cvt_f32_i32_e32 v29, v23
	v_cvt_f32_i32_e32 v31, v28
	;; [unrolled: 1-line block ×6, first 2 shown]
	s_waitcnt vmcnt(0)
	v_cvt_f32_f16_e32 v24, v45
	v_cvt_f32_f16_sdwa v25, v45 dst_sel:DWORD dst_unused:UNUSED_PAD src0_sel:WORD_1
	v_pk_fma_f32 v[16:17], v[16:17], v[26:27], 0 op_sel_hi:[0,1,0]
	v_pk_fma_f32 v[16:17], v[18:19], v[28:29], v[16:17] op_sel_hi:[0,1,1]
	;; [unrolled: 1-line block ×4, first 2 shown]
	v_pk_mul_f32 v[16:17], v[16:17], v[24:25]
	s_nop 0
	v_sub_f32_e32 v16, v16, v17
	v_add_f32_e32 v14, v14, v16
	s_andn2_b64 exec, exec, s[0:1]
	s_cbranch_execnz .LBB83_3
; %bb.4:
	s_or_b64 exec, exec, s[0:1]
.LBB83_5:
	s_or_b64 exec, exec, s[8:9]
	v_mbcnt_lo_u32_b32 v0, -1, 0
	v_mbcnt_hi_u32_b32 v1, -1, v0
	v_and_b32_e32 v0, 64, v1
	v_add_u32_e32 v2, 64, v0
	v_xor_b32_e32 v0, 32, v1
	v_cmp_lt_i32_e32 vcc, v0, v2
	v_xor_b32_e32 v3, 16, v1
	v_xor_b32_e32 v4, 8, v1
	v_cndmask_b32_e32 v0, v1, v0, vcc
	v_lshlrev_b32_e32 v0, 2, v0
	ds_bpermute_b32 v0, v0, v14
	v_cmp_lt_i32_e32 vcc, v3, v2
	s_waitcnt lgkmcnt(0)
	v_add_f32_e32 v0, v14, v0
	v_cndmask_b32_e32 v3, v1, v3, vcc
	v_lshlrev_b32_e32 v3, 2, v3
	ds_bpermute_b32 v3, v3, v0
	v_cmp_lt_i32_e32 vcc, v4, v2
	s_waitcnt lgkmcnt(0)
	v_add_f32_e32 v0, v0, v3
	v_cndmask_b32_e32 v3, v1, v4, vcc
	v_lshlrev_b32_e32 v3, 2, v3
	ds_bpermute_b32 v3, v3, v0
	v_xor_b32_e32 v4, 4, v1
	v_cmp_lt_i32_e32 vcc, v4, v2
	s_waitcnt lgkmcnt(0)
	v_add_f32_e32 v0, v0, v3
	v_cndmask_b32_e32 v3, v1, v4, vcc
	v_lshlrev_b32_e32 v3, 2, v3
	ds_bpermute_b32 v3, v3, v0
	v_xor_b32_e32 v4, 2, v1
	;; [unrolled: 7-line block ×3, first 2 shown]
	v_cmp_lt_i32_e32 vcc, v4, v2
	s_waitcnt lgkmcnt(0)
	v_add_f32_e32 v0, v0, v3
	v_cndmask_b32_e32 v1, v1, v4, vcc
	v_lshlrev_b32_e32 v1, 2, v1
	ds_bpermute_b32 v1, v1, v0
	v_cmp_eq_u32_e32 vcc, 0, v11
	s_and_b64 exec, exec, vcc
	s_cbranch_execz .LBB83_7
; %bb.6:
	s_waitcnt lgkmcnt(0)
	v_add_f32_e32 v0, v0, v1
	v_cvt_f16_f32_e32 v2, v0
	s_mul_i32 s3, s3, s5
	v_add_u32_e32 v0, s3, v10
	v_mov_b32_e32 v1, 0
	v_lshl_add_u64 v[0:1], v[0:1], 1, s[6:7]
	global_store_short v[0:1], v2, off
.LBB83_7:
	s_endpgm
	.section	.rodata,"a",@progbits
	.p2align	6, 0x0
	.amdhsa_kernel _ZL13mul_mat_vec_qIN3c104HalfELi256ELi16E10block_q2_KLi1EXadL_ZL17vec_dot_q2_K_q8_1PKvPK10block_q8_1RKiEEEvS4_S4_PT_iii
		.amdhsa_group_segment_fixed_size 0
		.amdhsa_private_segment_fixed_size 0
		.amdhsa_kernarg_size 296
		.amdhsa_user_sgpr_count 2
		.amdhsa_user_sgpr_dispatch_ptr 0
		.amdhsa_user_sgpr_queue_ptr 0
		.amdhsa_user_sgpr_kernarg_segment_ptr 1
		.amdhsa_user_sgpr_dispatch_id 0
		.amdhsa_user_sgpr_kernarg_preload_length 0
		.amdhsa_user_sgpr_kernarg_preload_offset 0
		.amdhsa_user_sgpr_private_segment_size 0
		.amdhsa_uses_dynamic_stack 0
		.amdhsa_enable_private_segment 0
		.amdhsa_system_sgpr_workgroup_id_x 1
		.amdhsa_system_sgpr_workgroup_id_y 1
		.amdhsa_system_sgpr_workgroup_id_z 0
		.amdhsa_system_sgpr_workgroup_info 0
		.amdhsa_system_vgpr_workitem_id 1
		.amdhsa_next_free_vgpr 47
		.amdhsa_next_free_sgpr 18
		.amdhsa_accum_offset 48
		.amdhsa_reserve_vcc 1
		.amdhsa_float_round_mode_32 0
		.amdhsa_float_round_mode_16_64 0
		.amdhsa_float_denorm_mode_32 3
		.amdhsa_float_denorm_mode_16_64 3
		.amdhsa_dx10_clamp 1
		.amdhsa_ieee_mode 1
		.amdhsa_fp16_overflow 0
		.amdhsa_tg_split 0
		.amdhsa_exception_fp_ieee_invalid_op 0
		.amdhsa_exception_fp_denorm_src 0
		.amdhsa_exception_fp_ieee_div_zero 0
		.amdhsa_exception_fp_ieee_overflow 0
		.amdhsa_exception_fp_ieee_underflow 0
		.amdhsa_exception_fp_ieee_inexact 0
		.amdhsa_exception_int_div_zero 0
	.end_amdhsa_kernel
	.section	.text._ZL13mul_mat_vec_qIN3c104HalfELi256ELi16E10block_q2_KLi1EXadL_ZL17vec_dot_q2_K_q8_1PKvPK10block_q8_1RKiEEEvS4_S4_PT_iii,"axG",@progbits,_ZL13mul_mat_vec_qIN3c104HalfELi256ELi16E10block_q2_KLi1EXadL_ZL17vec_dot_q2_K_q8_1PKvPK10block_q8_1RKiEEEvS4_S4_PT_iii,comdat
.Lfunc_end83:
	.size	_ZL13mul_mat_vec_qIN3c104HalfELi256ELi16E10block_q2_KLi1EXadL_ZL17vec_dot_q2_K_q8_1PKvPK10block_q8_1RKiEEEvS4_S4_PT_iii, .Lfunc_end83-_ZL13mul_mat_vec_qIN3c104HalfELi256ELi16E10block_q2_KLi1EXadL_ZL17vec_dot_q2_K_q8_1PKvPK10block_q8_1RKiEEEvS4_S4_PT_iii
                                        ; -- End function
	.section	.AMDGPU.csdata,"",@progbits
; Kernel info:
; codeLenInByte = 1148
; NumSgprs: 24
; NumVgprs: 47
; NumAgprs: 0
; TotalNumVgprs: 47
; ScratchSize: 0
; MemoryBound: 0
; FloatMode: 240
; IeeeMode: 1
; LDSByteSize: 0 bytes/workgroup (compile time only)
; SGPRBlocks: 2
; VGPRBlocks: 5
; NumSGPRsForWavesPerEU: 24
; NumVGPRsForWavesPerEU: 47
; AccumOffset: 48
; Occupancy: 8
; WaveLimiterHint : 0
; COMPUTE_PGM_RSRC2:SCRATCH_EN: 0
; COMPUTE_PGM_RSRC2:USER_SGPR: 2
; COMPUTE_PGM_RSRC2:TRAP_HANDLER: 0
; COMPUTE_PGM_RSRC2:TGID_X_EN: 1
; COMPUTE_PGM_RSRC2:TGID_Y_EN: 1
; COMPUTE_PGM_RSRC2:TGID_Z_EN: 0
; COMPUTE_PGM_RSRC2:TIDIG_COMP_CNT: 1
; COMPUTE_PGM_RSRC3_GFX90A:ACCUM_OFFSET: 11
; COMPUTE_PGM_RSRC3_GFX90A:TG_SPLIT: 0
	.section	.text._ZL13mul_mat_vec_qIN3c104HalfELi256ELi16E10block_q3_KLi1EXadL_ZL17vec_dot_q3_K_q8_1PKvPK10block_q8_1RKiEEEvS4_S4_PT_iii,"axG",@progbits,_ZL13mul_mat_vec_qIN3c104HalfELi256ELi16E10block_q3_KLi1EXadL_ZL17vec_dot_q3_K_q8_1PKvPK10block_q8_1RKiEEEvS4_S4_PT_iii,comdat
	.globl	_ZL13mul_mat_vec_qIN3c104HalfELi256ELi16E10block_q3_KLi1EXadL_ZL17vec_dot_q3_K_q8_1PKvPK10block_q8_1RKiEEEvS4_S4_PT_iii ; -- Begin function _ZL13mul_mat_vec_qIN3c104HalfELi256ELi16E10block_q3_KLi1EXadL_ZL17vec_dot_q3_K_q8_1PKvPK10block_q8_1RKiEEEvS4_S4_PT_iii
	.p2align	8
	.type	_ZL13mul_mat_vec_qIN3c104HalfELi256ELi16E10block_q3_KLi1EXadL_ZL17vec_dot_q3_K_q8_1PKvPK10block_q8_1RKiEEEvS4_S4_PT_iii,@function
_ZL13mul_mat_vec_qIN3c104HalfELi256ELi16E10block_q3_KLi1EXadL_ZL17vec_dot_q3_K_q8_1PKvPK10block_q8_1RKiEEEvS4_S4_PT_iii: ; @_ZL13mul_mat_vec_qIN3c104HalfELi256ELi16E10block_q3_KLi1EXadL_ZL17vec_dot_q3_K_q8_1PKvPK10block_q8_1RKiEEEvS4_S4_PT_iii
; %bb.0:
	s_load_dword s8, s[0:1], 0x34
	s_load_dwordx4 s[4:7], s[0:1], 0x18
	v_bfe_u32 v1, v0, 10, 10
	s_waitcnt lgkmcnt(0)
	s_lshr_b32 s7, s8, 16
	s_mul_i32 s2, s2, s7
	v_add_u32_e32 v24, s2, v1
	s_cmp_lt_u32 s3, s6
	v_cmp_gt_u32_e32 vcc, s5, v24
	s_cselect_b64 s[6:7], -1, 0
	s_and_b64 s[6:7], s[6:7], vcc
	s_and_saveexec_b64 s[8:9], s[6:7]
	s_cbranch_execz .LBB84_7
; %bb.1:
	s_load_dwordx2 s[6:7], s[0:1], 0x10
	s_ashr_i32 s2, s4, 31
	s_lshr_b32 s2, s2, 24
	s_add_i32 s2, s4, s2
	v_and_b32_e32 v25, 0x3ff, v0
	s_ashr_i32 s2, s2, 8
	v_lshrrev_b32_e32 v26, 4, v25
	v_cmp_gt_u32_e32 vcc, s2, v26
	v_mov_b32_e32 v35, 0
	s_and_saveexec_b64 s[12:13], vcc
	s_cbranch_execz .LBB84_5
; %bb.2:
	v_and_b32_e32 v6, 15, v25
	v_cmp_lt_u32_e32 vcc, 7, v6
	v_mov_b32_e32 v1, 0
	v_mov_b32_e32 v5, v1
	v_cndmask_b32_e64 v0, 0, 1, vcc
	v_lshlrev_b32_e32 v28, 2, v0
	v_add_u32_e32 v0, -8, v6
	v_cmp_gt_u32_e32 vcc, 8, v6
	v_mov_b32_e32 v17, 7
	v_mov_b32_e32 v18, 5
	v_cndmask_b32_e32 v4, v0, v6, vcc
	v_lshlrev_b64 v[2:3], 2, v[4:5]
	v_sub_u32_e32 v5, v6, v4
	v_cmp_lt_u32_e32 vcc, 3, v4
	v_mov_b32_e32 v21, 6
	v_mov_b32_e32 v20, 2
	v_addc_co_u32_e32 v16, vcc, 0, v5, vcc
	v_add_u16_e32 v10, 2, v16
	v_lshrrev_b16_sdwa v11, v17, sext(v10) dst_sel:DWORD dst_unused:UNUSED_PAD src0_sel:DWORD src1_sel:BYTE_0
	v_lshrrev_b16_sdwa v8, v18, v11 dst_sel:DWORD dst_unused:UNUSED_PAD src0_sel:DWORD src1_sel:BYTE_0
	v_lshrrev_b16_sdwa v11, v21, v11 dst_sel:DWORD dst_unused:UNUSED_PAD src0_sel:DWORD src1_sel:BYTE_0
	v_add_u16_e32 v11, v10, v11
	v_add_u16_e32 v14, 4, v16
	v_mov_b32_e32 v22, 1
	v_ashrrev_i16_sdwa v12, v20, sext(v11) dst_sel:DWORD dst_unused:UNUSED_PAD src0_sel:DWORD src1_sel:BYTE_0
	v_lshrrev_b16_sdwa v15, v17, sext(v14) dst_sel:DWORD dst_unused:UNUSED_PAD src0_sel:DWORD src1_sel:BYTE_0
	v_lshlrev_b32_sdwa v32, v22, sext(v12) dst_sel:DWORD dst_unused:UNUSED_PAD src0_sel:DWORD src1_sel:WORD_0
	v_lshrrev_b16_sdwa v12, v18, v15 dst_sel:DWORD dst_unused:UNUSED_PAD src0_sel:DWORD src1_sel:BYTE_0
	v_lshrrev_b16_sdwa v15, v21, v15 dst_sel:DWORD dst_unused:UNUSED_PAD src0_sel:DWORD src1_sel:BYTE_0
	v_lshlrev_b32_e32 v0, 2, v6
	v_lshrrev_b16_sdwa v6, v17, sext(v16) dst_sel:DWORD dst_unused:UNUSED_PAD src0_sel:DWORD src1_sel:BYTE_0
	v_add_u16_e32 v15, v14, v15
	v_lshrrev_b16_sdwa v4, v18, v6 dst_sel:DWORD dst_unused:UNUSED_PAD src0_sel:DWORD src1_sel:BYTE_0
	v_lshrrev_b16_sdwa v6, v21, v6 dst_sel:DWORD dst_unused:UNUSED_PAD src0_sel:DWORD src1_sel:BYTE_0
	v_lshrrev_b16_sdwa v23, v20, sext(v15) dst_sel:DWORD dst_unused:UNUSED_PAD src0_sel:DWORD src1_sel:BYTE_0
	v_add_u16_e32 v4, v16, v4
	v_mov_b32_e32 v19, 3
	v_add_u16_e32 v6, v16, v6
	v_lshlrev_b32_sdwa v34, v22, v23 dst_sel:DWORD dst_unused:UNUSED_PAD src0_sel:DWORD src1_sel:BYTE_0
	v_add_u16_e32 v23, 6, v16
	s_load_dwordx4 s[8:11], s[0:1], 0x0
	s_add_i32 s0, s4, 0x1ff
	v_lshrrev_b16_sdwa v5, v19, sext(v4) dst_sel:DWORD dst_unused:UNUSED_PAD src0_sel:DWORD src1_sel:BYTE_0
	v_and_b32_e32 v4, 0xf8, v4
	v_ashrrev_i16_sdwa v7, v20, sext(v6) dst_sel:DWORD dst_unused:UNUSED_PAD src0_sel:DWORD src1_sel:BYTE_0
	v_and_b32_e32 v6, 0xfc, v6
	v_lshrrev_b16_sdwa v35, v17, sext(v23) dst_sel:DWORD dst_unused:UNUSED_PAD src0_sel:DWORD src1_sel:BYTE_0
	s_ashr_i32 s1, s0, 31
	v_sub_u16_e32 v4, v16, v4
	v_sub_u16_e32 v6, v16, v6
	v_lshrrev_b16_sdwa v16, v18, v35 dst_sel:DWORD dst_unused:UNUSED_PAD src0_sel:DWORD src1_sel:BYTE_0
	v_lshrrev_b16_sdwa v18, v21, v35 dst_sel:DWORD dst_unused:UNUSED_PAD src0_sel:DWORD src1_sel:BYTE_0
	s_lshr_b32 s1, s1, 23
	v_add_u16_e32 v8, v10, v8
	v_add_u16_e32 v12, v14, v12
	;; [unrolled: 1-line block ×4, first 2 shown]
	s_add_i32 s0, s0, s1
	v_lshrrev_b16_sdwa v9, v19, sext(v8) dst_sel:DWORD dst_unused:UNUSED_PAD src0_sel:DWORD src1_sel:BYTE_0
	v_and_b32_e32 v8, 0xf8, v8
	v_and_b32_e32 v11, 0xfc, v11
	v_lshrrev_b16_sdwa v13, v19, sext(v12) dst_sel:DWORD dst_unused:UNUSED_PAD src0_sel:DWORD src1_sel:BYTE_0
	v_and_b32_e32 v12, 0xf8, v12
	v_and_b32_e32 v15, 0xfc, v15
	v_lshrrev_b16_sdwa v17, v19, sext(v16) dst_sel:DWORD dst_unused:UNUSED_PAD src0_sel:DWORD src1_sel:BYTE_0
	v_and_b32_e32 v16, 0xf8, v16
	v_lshrrev_b16_sdwa v19, v20, sext(v18) dst_sel:DWORD dst_unused:UNUSED_PAD src0_sel:DWORD src1_sel:BYTE_0
	v_and_b32_e32 v18, 0xfc, v18
	s_ashr_i32 s0, s0, 9
	v_sub_u16_e32 v8, v10, v8
	v_sub_u16_e32 v10, v10, v11
	;; [unrolled: 1-line block ×6, first 2 shown]
	s_mul_i32 s4, s3, s0
	v_lshlrev_b32_sdwa v29, v20, v5 dst_sel:DWORD dst_unused:UNUSED_PAD src0_sel:DWORD src1_sel:BYTE_0
	v_bfe_i32 v4, v4, 0, 8
	v_lshlrev_b32_sdwa v30, v22, sext(v7) dst_sel:DWORD dst_unused:UNUSED_PAD src0_sel:DWORD src1_sel:WORD_0
	v_bfe_i32 v6, v6, 0, 8
	v_lshlrev_b32_sdwa v31, v20, v9 dst_sel:DWORD dst_unused:UNUSED_PAD src0_sel:DWORD src1_sel:BYTE_0
	v_bfe_i32 v8, v8, 0, 8
	v_bfe_i32 v10, v10, 0, 8
	v_lshlrev_b32_sdwa v33, v20, v13 dst_sel:DWORD dst_unused:UNUSED_PAD src0_sel:DWORD src1_sel:BYTE_0
	v_bfe_i32 v12, v12, 0, 8
	;; [unrolled: 3-line block ×3, first 2 shown]
	v_lshlrev_b32_sdwa v37, v22, v19 dst_sel:DWORD dst_unused:UNUSED_PAD src0_sel:DWORD src1_sel:BYTE_0
	v_bfe_i32 v18, v18, 0, 8
	s_waitcnt lgkmcnt(0)
	v_mad_u64_u32 v[20:21], s[0:1], v28, 36, s[10:11]
	v_lshlrev_b32_e32 v22, 3, v26
	v_mul_lo_u32 v27, v24, s2
	v_ashrrev_i32_e32 v5, 31, v4
	v_ashrrev_i32_e32 v7, 31, v6
	;; [unrolled: 1-line block ×8, first 2 shown]
	v_lshl_add_u32 v38, s4, 4, v22
	s_mov_b64 s[0:1], 0
	s_movk_i32 s4, 0x6e
	s_mov_b64 s[10:11], 0x48
	s_mov_b64 s[14:15], 0x6c
	v_mov_b32_e32 v35, v1
.LBB84_3:                               ; =>This Inner Loop Header: Depth=1
	v_add_u32_e32 v39, v27, v26
	v_mov_b64_e32 v[22:23], s[8:9]
	v_mad_i64_i32 v[22:23], s[16:17], v39, s4, v[22:23]
	v_lshl_add_u64 v[42:43], v[22:23], 0, v[2:3]
	global_load_ushort v39, v[22:23], off offset:108
	global_load_dword v46, v[42:43], off
	v_mad_i64_i32 v[42:43], s[16:17], v38, 36, v[20:21]
	v_lshl_add_u64 v[44:45], v[42:43], 0, v[2:3]
	global_load_dword v47, v[44:45], off offset:4
	global_load_dword v48, v[42:43], off
	v_lshl_add_u64 v[44:45], v[42:43], 0, 36
	v_lshl_add_u64 v[44:45], v[44:45], 0, v[2:3]
	global_load_dword v49, v[44:45], off offset:4
	global_load_dword v50, v[42:43], off offset:36
	v_lshl_add_u64 v[44:45], v[42:43], 0, s[10:11]
	v_lshl_add_u64 v[44:45], v[44:45], 0, v[2:3]
	global_load_dword v51, v[44:45], off offset:4
	global_load_dword v52, v[42:43], off offset:72
	v_lshl_add_u64 v[44:45], v[42:43], 0, s[14:15]
	v_lshl_add_u64 v[40:41], v[22:23], 0, v[0:1]
	v_lshl_add_u64 v[44:45], v[44:45], 0, v[2:3]
	global_load_dword v53, v[44:45], off offset:4
	global_load_dword v54, v[42:43], off offset:108
	v_add_u32_e32 v26, 4, v26
	global_load_dword v43, v[40:41], off offset:32
	v_lshl_add_u64 v[40:41], v[22:23], 0, v[4:5]
	global_load_ubyte v40, v[40:41], off offset:96
	v_cmp_le_u32_e32 vcc, s2, v26
	v_add_u32_e32 v38, 32, v38
	s_or_b64 s[0:1], vcc, s[0:1]
	s_waitcnt vmcnt(10)
	v_ashrrev_i32_e32 v42, v28, v46
	v_not_b32_e32 v42, v42
	v_lshlrev_b32_e32 v45, 2, v42
	v_and_b32_e32 v45, 0x4040404, v45
	s_waitcnt vmcnt(0)
	v_bfe_u32 v44, v40, v29, 4
	v_lshl_add_u64 v[40:41], v[22:23], 0, v[6:7]
	global_load_ubyte v40, v[40:41], off offset:104
	v_and_b32_e32 v41, 0x3030303, v43
	v_sub_u16_e32 v46, v41, v45
	v_sub_u16_sdwa v55, v41, v45 dst_sel:BYTE_1 dst_unused:UNUSED_PAD src0_sel:BYTE_1 src1_sel:BYTE_1
	v_sub_u16_sdwa v41, v41, v45 dst_sel:DWORD dst_unused:UNUSED_PAD src0_sel:WORD_1 src1_sel:WORD_1
	v_or_b32_sdwa v46, v46, v55 dst_sel:DWORD dst_unused:UNUSED_PAD src0_sel:BYTE_0 src1_sel:DWORD
	s_waitcnt vmcnt(0)
	v_lshrrev_b32_e32 v40, v30, v40
	v_lshlrev_b32_e32 v40, 4, v40
	v_and_or_b32 v40, v40, 48, v44
	v_bfe_u32 v44, v43, 24, 2
	v_sub_u16_sdwa v44, v44, v45 dst_sel:BYTE_1 dst_unused:UNUSED_PAD src0_sel:DWORD src1_sel:BYTE_3
	v_subrev_u32_e32 v40, 32, v40
	v_or_b32_sdwa v41, v41, v44 dst_sel:WORD_1 dst_unused:UNUSED_PAD src0_sel:BYTE_0 src1_sel:DWORD
	v_mov_b32_e32 v44, 0
	v_or_b32_sdwa v41, v46, v41 dst_sel:DWORD dst_unused:UNUSED_PAD src0_sel:WORD_0 src1_sel:DWORD
	v_dot4c_i32_i8_e32 v44, v41, v47
	v_lshlrev_b32_e32 v46, 1, v42
	v_and_b32_e32 v46, 0x4040404, v46
	s_nop 0
	v_mul_lo_u32 v40, v40, v44
	v_cvt_f32_i32_e32 v40, v40
	v_fma_mix_f32 v44, v48, v40, 0 op_sel_hi:[1,0,0]
	v_lshl_add_u64 v[40:41], v[22:23], 0, v[8:9]
	global_load_ubyte v40, v[40:41], off offset:96
	s_waitcnt vmcnt(0)
	v_bfe_u32 v45, v40, v31, 4
	v_lshl_add_u64 v[40:41], v[22:23], 0, v[10:11]
	global_load_ubyte v40, v[40:41], off offset:104
	v_lshrrev_b32_e32 v41, 2, v43
	s_waitcnt vmcnt(0)
	v_lshrrev_b32_e32 v40, v32, v40
	v_lshlrev_b32_e32 v40, 4, v40
	v_and_or_b32 v40, v40, 48, v45
	v_and_b32_e32 v45, 0x3030303, v41
	v_bfe_u32 v41, v41, 24, 2
	v_sub_u16_e32 v47, v45, v46
	v_sub_u16_sdwa v48, v45, v46 dst_sel:BYTE_1 dst_unused:UNUSED_PAD src0_sel:BYTE_1 src1_sel:BYTE_1
	v_sub_u16_sdwa v41, v41, v46 dst_sel:BYTE_1 dst_unused:UNUSED_PAD src0_sel:DWORD src1_sel:BYTE_3
	v_sub_u16_sdwa v45, v45, v46 dst_sel:DWORD dst_unused:UNUSED_PAD src0_sel:WORD_1 src1_sel:WORD_1
	v_or_b32_sdwa v47, v47, v48 dst_sel:DWORD dst_unused:UNUSED_PAD src0_sel:BYTE_0 src1_sel:DWORD
	v_or_b32_sdwa v41, v45, v41 dst_sel:WORD_1 dst_unused:UNUSED_PAD src0_sel:BYTE_0 src1_sel:DWORD
	v_mov_b32_e32 v45, 0
	v_or_b32_sdwa v41, v47, v41 dst_sel:DWORD dst_unused:UNUSED_PAD src0_sel:WORD_0 src1_sel:DWORD
	v_subrev_u32_e32 v40, 32, v40
	v_dot4c_i32_i8_e32 v45, v41, v49
	v_and_b32_e32 v46, 0x4040404, v42
	s_nop 1
	v_mul_lo_u32 v40, v40, v45
	v_cvt_f32_i32_e32 v40, v40
	v_fma_mix_f32 v44, v50, v40, v44 op_sel_hi:[1,0,0]
	v_lshl_add_u64 v[40:41], v[22:23], 0, v[12:13]
	global_load_ubyte v40, v[40:41], off offset:96
	s_waitcnt vmcnt(0)
	v_bfe_u32 v45, v40, v33, 4
	v_lshl_add_u64 v[40:41], v[22:23], 0, v[14:15]
	global_load_ubyte v40, v[40:41], off offset:104
	v_lshrrev_b32_e32 v41, 4, v43
	s_waitcnt vmcnt(0)
	v_lshrrev_b32_e32 v40, v34, v40
	v_lshlrev_b32_e32 v40, 4, v40
	v_and_or_b32 v40, v40, 48, v45
	v_and_b32_e32 v45, 0x3030303, v41
	v_bfe_u32 v41, v41, 24, 2
	v_sub_u16_e32 v47, v45, v46
	v_sub_u16_sdwa v48, v45, v46 dst_sel:BYTE_1 dst_unused:UNUSED_PAD src0_sel:BYTE_1 src1_sel:BYTE_1
	v_sub_u16_sdwa v41, v41, v46 dst_sel:BYTE_1 dst_unused:UNUSED_PAD src0_sel:DWORD src1_sel:BYTE_3
	v_sub_u16_sdwa v45, v45, v46 dst_sel:DWORD dst_unused:UNUSED_PAD src0_sel:WORD_1 src1_sel:WORD_1
	v_or_b32_sdwa v47, v47, v48 dst_sel:DWORD dst_unused:UNUSED_PAD src0_sel:BYTE_0 src1_sel:DWORD
	v_or_b32_sdwa v41, v45, v41 dst_sel:WORD_1 dst_unused:UNUSED_PAD src0_sel:BYTE_0 src1_sel:DWORD
	v_mov_b32_e32 v45, 0
	v_or_b32_sdwa v41, v47, v41 dst_sel:DWORD dst_unused:UNUSED_PAD src0_sel:WORD_0 src1_sel:DWORD
	v_subrev_u32_e32 v40, 32, v40
	v_dot4c_i32_i8_e32 v45, v41, v51
	s_nop 2
	v_mul_lo_u32 v40, v40, v45
	v_cvt_f32_i32_e32 v40, v40
	v_fma_mix_f32 v44, v52, v40, v44 op_sel_hi:[1,0,0]
	v_lshl_add_u64 v[40:41], v[22:23], 0, v[16:17]
	v_lshl_add_u64 v[22:23], v[22:23], 0, v[18:19]
	global_load_ubyte v40, v[40:41], off offset:96
	s_nop 0
	global_load_ubyte v22, v[22:23], off offset:104
	v_lshrrev_b32_e32 v23, 6, v43
	v_lshrrev_b32_e32 v41, 1, v42
	v_and_b32_e32 v23, 0x3030303, v23
	v_and_b32_e32 v41, 0x4040404, v41
	v_sub_u16_e32 v42, v23, v41
	s_waitcnt vmcnt(1)
	v_bfe_u32 v40, v40, v36, 4
	s_waitcnt vmcnt(0)
	v_lshrrev_b32_e32 v22, v37, v22
	v_lshlrev_b32_e32 v22, 4, v22
	v_and_or_b32 v22, v22, 48, v40
	v_lshrrev_b32_e32 v40, 30, v43
	v_sub_u16_sdwa v43, v23, v41 dst_sel:BYTE_1 dst_unused:UNUSED_PAD src0_sel:BYTE_1 src1_sel:BYTE_1
	v_sub_u16_sdwa v40, v40, v41 dst_sel:BYTE_1 dst_unused:UNUSED_PAD src0_sel:DWORD src1_sel:BYTE_3
	v_sub_u16_sdwa v23, v23, v41 dst_sel:DWORD dst_unused:UNUSED_PAD src0_sel:WORD_1 src1_sel:WORD_1
	v_or_b32_sdwa v42, v42, v43 dst_sel:DWORD dst_unused:UNUSED_PAD src0_sel:BYTE_0 src1_sel:DWORD
	v_or_b32_sdwa v23, v23, v40 dst_sel:WORD_1 dst_unused:UNUSED_PAD src0_sel:BYTE_0 src1_sel:DWORD
	v_mov_b32_e32 v40, 0
	v_or_b32_sdwa v23, v42, v23 dst_sel:DWORD dst_unused:UNUSED_PAD src0_sel:WORD_0 src1_sel:DWORD
	v_subrev_u32_e32 v22, 32, v22
	v_dot4c_i32_i8_e32 v40, v23, v53
	s_nop 2
	v_mul_lo_u32 v22, v22, v40
	v_cvt_f32_i32_e32 v22, v22
	v_fma_mix_f32 v22, v54, v22, v44 op_sel_hi:[1,0,0]
	s_nop 0
	v_fma_mix_f32 v35, v22, v39, v35 op_sel_hi:[0,1,0]
	s_andn2_b64 exec, exec, s[0:1]
	s_cbranch_execnz .LBB84_3
; %bb.4:
	s_or_b64 exec, exec, s[0:1]
.LBB84_5:
	s_or_b64 exec, exec, s[12:13]
	v_mbcnt_lo_u32_b32 v0, -1, 0
	v_mbcnt_hi_u32_b32 v1, -1, v0
	v_and_b32_e32 v0, 64, v1
	v_add_u32_e32 v2, 64, v0
	v_xor_b32_e32 v0, 32, v1
	v_cmp_lt_i32_e32 vcc, v0, v2
	v_xor_b32_e32 v3, 16, v1
	v_xor_b32_e32 v4, 8, v1
	v_cndmask_b32_e32 v0, v1, v0, vcc
	v_lshlrev_b32_e32 v0, 2, v0
	ds_bpermute_b32 v0, v0, v35
	v_cmp_lt_i32_e32 vcc, v3, v2
	s_waitcnt lgkmcnt(0)
	v_add_f32_e32 v0, v35, v0
	v_cndmask_b32_e32 v3, v1, v3, vcc
	v_lshlrev_b32_e32 v3, 2, v3
	ds_bpermute_b32 v3, v3, v0
	v_cmp_lt_i32_e32 vcc, v4, v2
	s_waitcnt lgkmcnt(0)
	v_add_f32_e32 v0, v0, v3
	v_cndmask_b32_e32 v3, v1, v4, vcc
	v_lshlrev_b32_e32 v3, 2, v3
	ds_bpermute_b32 v3, v3, v0
	v_xor_b32_e32 v4, 4, v1
	v_cmp_lt_i32_e32 vcc, v4, v2
	s_waitcnt lgkmcnt(0)
	v_add_f32_e32 v0, v0, v3
	v_cndmask_b32_e32 v3, v1, v4, vcc
	v_lshlrev_b32_e32 v3, 2, v3
	ds_bpermute_b32 v3, v3, v0
	v_xor_b32_e32 v4, 2, v1
	;; [unrolled: 7-line block ×3, first 2 shown]
	v_cmp_lt_i32_e32 vcc, v4, v2
	s_waitcnt lgkmcnt(0)
	v_add_f32_e32 v0, v0, v3
	v_cndmask_b32_e32 v1, v1, v4, vcc
	v_lshlrev_b32_e32 v1, 2, v1
	ds_bpermute_b32 v1, v1, v0
	v_cmp_eq_u32_e32 vcc, 0, v25
	s_and_b64 exec, exec, vcc
	s_cbranch_execz .LBB84_7
; %bb.6:
	s_waitcnt lgkmcnt(0)
	v_add_f32_e32 v0, v0, v1
	v_cvt_f16_f32_e32 v2, v0
	s_mul_i32 s3, s3, s5
	v_add_u32_e32 v0, s3, v24
	v_mov_b32_e32 v1, 0
	v_lshl_add_u64 v[0:1], v[0:1], 1, s[6:7]
	global_store_short v[0:1], v2, off
.LBB84_7:
	s_endpgm
	.section	.rodata,"a",@progbits
	.p2align	6, 0x0
	.amdhsa_kernel _ZL13mul_mat_vec_qIN3c104HalfELi256ELi16E10block_q3_KLi1EXadL_ZL17vec_dot_q3_K_q8_1PKvPK10block_q8_1RKiEEEvS4_S4_PT_iii
		.amdhsa_group_segment_fixed_size 0
		.amdhsa_private_segment_fixed_size 0
		.amdhsa_kernarg_size 296
		.amdhsa_user_sgpr_count 2
		.amdhsa_user_sgpr_dispatch_ptr 0
		.amdhsa_user_sgpr_queue_ptr 0
		.amdhsa_user_sgpr_kernarg_segment_ptr 1
		.amdhsa_user_sgpr_dispatch_id 0
		.amdhsa_user_sgpr_kernarg_preload_length 0
		.amdhsa_user_sgpr_kernarg_preload_offset 0
		.amdhsa_user_sgpr_private_segment_size 0
		.amdhsa_uses_dynamic_stack 0
		.amdhsa_enable_private_segment 0
		.amdhsa_system_sgpr_workgroup_id_x 1
		.amdhsa_system_sgpr_workgroup_id_y 1
		.amdhsa_system_sgpr_workgroup_id_z 0
		.amdhsa_system_sgpr_workgroup_info 0
		.amdhsa_system_vgpr_workitem_id 1
		.amdhsa_next_free_vgpr 56
		.amdhsa_next_free_sgpr 18
		.amdhsa_accum_offset 56
		.amdhsa_reserve_vcc 1
		.amdhsa_float_round_mode_32 0
		.amdhsa_float_round_mode_16_64 0
		.amdhsa_float_denorm_mode_32 3
		.amdhsa_float_denorm_mode_16_64 3
		.amdhsa_dx10_clamp 1
		.amdhsa_ieee_mode 1
		.amdhsa_fp16_overflow 0
		.amdhsa_tg_split 0
		.amdhsa_exception_fp_ieee_invalid_op 0
		.amdhsa_exception_fp_denorm_src 0
		.amdhsa_exception_fp_ieee_div_zero 0
		.amdhsa_exception_fp_ieee_overflow 0
		.amdhsa_exception_fp_ieee_underflow 0
		.amdhsa_exception_fp_ieee_inexact 0
		.amdhsa_exception_int_div_zero 0
	.end_amdhsa_kernel
	.section	.text._ZL13mul_mat_vec_qIN3c104HalfELi256ELi16E10block_q3_KLi1EXadL_ZL17vec_dot_q3_K_q8_1PKvPK10block_q8_1RKiEEEvS4_S4_PT_iii,"axG",@progbits,_ZL13mul_mat_vec_qIN3c104HalfELi256ELi16E10block_q3_KLi1EXadL_ZL17vec_dot_q3_K_q8_1PKvPK10block_q8_1RKiEEEvS4_S4_PT_iii,comdat
.Lfunc_end84:
	.size	_ZL13mul_mat_vec_qIN3c104HalfELi256ELi16E10block_q3_KLi1EXadL_ZL17vec_dot_q3_K_q8_1PKvPK10block_q8_1RKiEEEvS4_S4_PT_iii, .Lfunc_end84-_ZL13mul_mat_vec_qIN3c104HalfELi256ELi16E10block_q3_KLi1EXadL_ZL17vec_dot_q3_K_q8_1PKvPK10block_q8_1RKiEEEvS4_S4_PT_iii
                                        ; -- End function
	.section	.AMDGPU.csdata,"",@progbits
; Kernel info:
; codeLenInByte = 1992
; NumSgprs: 24
; NumVgprs: 56
; NumAgprs: 0
; TotalNumVgprs: 56
; ScratchSize: 0
; MemoryBound: 0
; FloatMode: 240
; IeeeMode: 1
; LDSByteSize: 0 bytes/workgroup (compile time only)
; SGPRBlocks: 2
; VGPRBlocks: 6
; NumSGPRsForWavesPerEU: 24
; NumVGPRsForWavesPerEU: 56
; AccumOffset: 56
; Occupancy: 8
; WaveLimiterHint : 0
; COMPUTE_PGM_RSRC2:SCRATCH_EN: 0
; COMPUTE_PGM_RSRC2:USER_SGPR: 2
; COMPUTE_PGM_RSRC2:TRAP_HANDLER: 0
; COMPUTE_PGM_RSRC2:TGID_X_EN: 1
; COMPUTE_PGM_RSRC2:TGID_Y_EN: 1
; COMPUTE_PGM_RSRC2:TGID_Z_EN: 0
; COMPUTE_PGM_RSRC2:TIDIG_COMP_CNT: 1
; COMPUTE_PGM_RSRC3_GFX90A:ACCUM_OFFSET: 13
; COMPUTE_PGM_RSRC3_GFX90A:TG_SPLIT: 0
	.section	.text._ZL13mul_mat_vec_qIN3c104HalfELi256ELi32E10block_q4_KLi2EXadL_ZL17vec_dot_q4_K_q8_1PKvPK10block_q8_1RKiEEEvS4_S4_PT_iii,"axG",@progbits,_ZL13mul_mat_vec_qIN3c104HalfELi256ELi32E10block_q4_KLi2EXadL_ZL17vec_dot_q4_K_q8_1PKvPK10block_q8_1RKiEEEvS4_S4_PT_iii,comdat
	.globl	_ZL13mul_mat_vec_qIN3c104HalfELi256ELi32E10block_q4_KLi2EXadL_ZL17vec_dot_q4_K_q8_1PKvPK10block_q8_1RKiEEEvS4_S4_PT_iii ; -- Begin function _ZL13mul_mat_vec_qIN3c104HalfELi256ELi32E10block_q4_KLi2EXadL_ZL17vec_dot_q4_K_q8_1PKvPK10block_q8_1RKiEEEvS4_S4_PT_iii
	.p2align	8
	.type	_ZL13mul_mat_vec_qIN3c104HalfELi256ELi32E10block_q4_KLi2EXadL_ZL17vec_dot_q4_K_q8_1PKvPK10block_q8_1RKiEEEvS4_S4_PT_iii,@function
_ZL13mul_mat_vec_qIN3c104HalfELi256ELi32E10block_q4_KLi2EXadL_ZL17vec_dot_q4_K_q8_1PKvPK10block_q8_1RKiEEEvS4_S4_PT_iii: ; @_ZL13mul_mat_vec_qIN3c104HalfELi256ELi32E10block_q4_KLi2EXadL_ZL17vec_dot_q4_K_q8_1PKvPK10block_q8_1RKiEEEvS4_S4_PT_iii
; %bb.0:
	s_load_dword s8, s[0:1], 0x34
	s_load_dwordx4 s[4:7], s[0:1], 0x18
	v_bfe_u32 v1, v0, 10, 10
	s_waitcnt lgkmcnt(0)
	s_lshr_b32 s7, s8, 16
	s_mul_i32 s2, s2, s7
	v_add_u32_e32 v16, s2, v1
	s_cmp_lt_u32 s3, s6
	v_cmp_gt_u32_e32 vcc, s5, v16
	s_cselect_b64 s[6:7], -1, 0
	s_and_b64 s[6:7], s[6:7], vcc
	s_and_saveexec_b64 s[8:9], s[6:7]
	s_cbranch_execz .LBB85_11
; %bb.1:
	s_load_dwordx2 s[6:7], s[0:1], 0x10
	s_ashr_i32 s2, s4, 31
	s_lshr_b32 s2, s2, 24
	s_add_i32 s2, s4, s2
	v_and_b32_e32 v17, 0x3ff, v0
	s_ashr_i32 s2, s2, 8
	v_lshrrev_b32_e32 v18, 4, v17
	v_cmp_gt_u32_e32 vcc, s2, v18
	v_mov_b32_e32 v20, 0
	s_and_saveexec_b64 s[8:9], vcc
	s_cbranch_execz .LBB85_9
; %bb.2:
	s_load_dwordx4 s[12:15], s[0:1], 0x0
	s_add_i32 s0, s4, 0x1ff
	s_ashr_i32 s1, s0, 31
	s_lshr_b32 s1, s1, 23
	s_add_i32 s0, s0, s1
	v_lshlrev_b32_e32 v0, 1, v17
	s_ashr_i32 s0, s0, 9
	v_and_b32_e32 v4, 30, v0
	v_bfe_u32 v8, v0, 3, 2
	s_mul_i32 s4, s3, s0
	v_mov_b32_e32 v1, 0
	v_and_b32_e32 v10, 3, v17
	v_cmp_lt_u32_e32 vcc, 15, v4
	v_lshlrev_b32_e32 v4, 1, v8
	v_lshlrev_b32_e32 v6, 3, v18
	v_mul_lo_u32 v19, v16, s2
	v_lshlrev_b32_e32 v0, 5, v8
	v_lshlrev_b32_e32 v2, 2, v10
	v_mov_b32_e32 v3, v1
	s_waitcnt lgkmcnt(0)
	v_mad_u64_u32 v[4:5], s[0:1], v4, 36, s[14:15]
	v_lshl_add_u32 v21, s4, 4, v6
	s_mov_b64 s[10:11], 0
	s_movk_i32 s4, 0x90
	v_mov_b64_e32 v[6:7], s[12:13]
	v_lshlrev_b32_e32 v8, 1, v8
	v_mov_b32_e32 v9, v1
	s_mov_b32 s12, 0x5040100
	s_mov_b32 s13, 0x30303030
	v_lshlrev_b32_e32 v10, 2, v10
	v_mov_b32_e32 v11, v1
	v_mov_b32_e32 v20, v1
	s_branch .LBB85_4
.LBB85_3:                               ;   in Loop: Header=BB85_4 Depth=1
	s_or_b64 exec, exec, s[0:1]
	v_mad_i64_i32 v[14:15], s[0:1], v21, 36, v[4:5]
	global_load_dword v25, v[14:15], off
	v_lshl_add_u64 v[26:27], v[14:15], 0, v[10:11]
	global_load_dword v28, v[12:13], off
	global_load_dword v29, v[26:27], off offset:20
	global_load_dword v30, v[26:27], off offset:40
	;; [unrolled: 1-line block ×5, first 2 shown]
	s_waitcnt vmcnt(8)
	v_and_b32_e32 v15, 0xf0f0f0f, v23
	v_mov_b32_e32 v27, 0
	v_mov_b32_e32 v34, 0
	v_lshrrev_b32_e32 v14, 4, v23
	v_pk_lshrrev_b16 v12, 8, v24 op_sel_hi:[0,1]
	s_waitcnt vmcnt(7)
	v_and_b32_e32 v26, 0xf0f0f0f, v22
	v_and_b32_e32 v13, 0xff00ff, v24
	v_lshrrev_b32_e32 v22, 4, v22
	v_mov_b32_e32 v23, 0
	v_mov_b32_e32 v24, 0
	v_and_b32_e32 v35, 0xf0f0f0f, v14
	v_and_b32_e32 v36, 0xf0f0f0f, v22
	v_lshrrev_b32_e32 v38, 16, v13
	v_and_b32_e32 v39, 0xff, v13
	v_lshrrev_b32_e32 v37, 16, v12
	v_and_b32_e32 v12, 0xff, v12
	v_add_u32_e32 v18, 4, v18
	v_cmp_le_u32_e64 s[0:1], s2, v18
	s_or_b64 s[10:11], s[0:1], s[10:11]
	v_add_u32_e32 v21, 32, v21
	s_waitcnt vmcnt(5)
	v_cvt_f32_f16_sdwa v13, v28 dst_sel:DWORD dst_unused:UNUSED_PAD src0_sel:WORD_1
	s_waitcnt vmcnt(3)
	v_dot4c_i32_i8_e32 v23, v35, v30
	v_dot4c_i32_i8_e32 v24, 0x1010101, v30
	v_cvt_f32_f16_e32 v14, v25
	s_waitcnt vmcnt(0)
	v_dot4c_i32_i8_e32 v27, v15, v33
	v_dot4c_i32_i8_e32 v34, 0x1010101, v33
	;; [unrolled: 1-line block ×6, first 2 shown]
	v_mul_lo_u32 v15, v27, v39
	v_mul_lo_u32 v25, v34, v38
	v_mul_lo_u32 v12, v23, v12
	v_mul_lo_u32 v23, v24, v37
	v_cvt_f32_i32_e32 v25, v25
	v_cvt_f32_i32_e32 v24, v15
	v_cvt_f32_f16_e32 v22, v32
	v_cvt_f32_i32_e32 v27, v23
	v_cvt_f32_i32_e32 v26, v12
	v_cvt_f32_f16_e32 v12, v28
	v_pk_fma_f32 v[14:15], v[14:15], v[24:25], 0 op_sel_hi:[0,1,0]
	v_pk_fma_f32 v[14:15], v[22:23], v[26:27], v[14:15] op_sel_hi:[0,1,1]
	v_pk_mul_f32 v[12:13], v[14:15], v[12:13]
	s_nop 0
	v_sub_f32_e32 v12, v12, v13
	v_add_f32_e32 v20, v20, v12
	s_andn2_b64 exec, exec, s[10:11]
	s_cbranch_execz .LBB85_8
.LBB85_4:                               ; =>This Inner Loop Header: Depth=1
	v_add_u32_e32 v12, v19, v18
	v_mad_i64_i32 v[12:13], s[0:1], v12, s4, v[6:7]
	v_lshl_add_u64 v[14:15], v[12:13], 0, v[0:1]
	v_lshl_add_u64 v[14:15], v[14:15], 0, v[2:3]
	global_load_dword v23, v[14:15], off offset:16
	global_load_dword v22, v[14:15], off offset:32
	v_lshl_add_u64 v[14:15], v[12:13], 0, v[8:9]
                                        ; implicit-def: $vgpr24
	s_and_saveexec_b64 s[0:1], vcc
	s_xor_b64 s[0:1], exec, s[0:1]
	s_cbranch_execz .LBB85_6
; %bb.5:                                ;   in Loop: Header=BB85_4 Depth=1
	global_load_ushort v24, v[14:15], off
	global_load_ushort v25, v[14:15], off offset:8
	global_load_ushort v26, v[14:15], off offset:4
	s_waitcnt vmcnt(1)
	v_lshrrev_b16_e32 v14, 4, v25
	s_waitcnt vmcnt(0)
	v_perm_b32 v15, v26, v24, s12
	v_perm_b32 v14, v14, v25, s12
	v_and_b32_e32 v14, 0xf0f0f0f, v14
	v_pk_lshrrev_b16 v15, 2, v15 op_sel_hi:[0,1]
	v_and_or_b32 v24, v15, s13, v14
                                        ; implicit-def: $vgpr14_vgpr15
.LBB85_6:                               ;   in Loop: Header=BB85_4 Depth=1
	s_andn2_saveexec_b64 s[0:1], s[0:1]
	s_cbranch_execz .LBB85_3
; %bb.7:                                ;   in Loop: Header=BB85_4 Depth=1
	global_load_ushort v24, v[14:15], off offset:4
	global_load_ushort v25, v[14:15], off offset:8
	s_waitcnt vmcnt(0)
	v_perm_b32 v14, v25, v24, s12
	v_and_b32_e32 v24, 0x3f3f3f3f, v14
	s_branch .LBB85_3
.LBB85_8:
	s_or_b64 exec, exec, s[10:11]
.LBB85_9:
	s_or_b64 exec, exec, s[8:9]
	v_mbcnt_lo_u32_b32 v0, -1, 0
	v_mbcnt_hi_u32_b32 v1, -1, v0
	v_and_b32_e32 v0, 64, v1
	v_add_u32_e32 v2, 64, v0
	v_xor_b32_e32 v0, 32, v1
	v_cmp_lt_i32_e32 vcc, v0, v2
	v_xor_b32_e32 v3, 16, v1
	v_xor_b32_e32 v4, 8, v1
	v_cndmask_b32_e32 v0, v1, v0, vcc
	v_lshlrev_b32_e32 v0, 2, v0
	ds_bpermute_b32 v0, v0, v20
	v_cmp_lt_i32_e32 vcc, v3, v2
	s_waitcnt lgkmcnt(0)
	v_add_f32_e32 v0, v20, v0
	v_cndmask_b32_e32 v3, v1, v3, vcc
	v_lshlrev_b32_e32 v3, 2, v3
	ds_bpermute_b32 v3, v3, v0
	v_cmp_lt_i32_e32 vcc, v4, v2
	s_waitcnt lgkmcnt(0)
	v_add_f32_e32 v0, v0, v3
	v_cndmask_b32_e32 v3, v1, v4, vcc
	v_lshlrev_b32_e32 v3, 2, v3
	ds_bpermute_b32 v3, v3, v0
	v_xor_b32_e32 v4, 4, v1
	v_cmp_lt_i32_e32 vcc, v4, v2
	s_waitcnt lgkmcnt(0)
	v_add_f32_e32 v0, v0, v3
	v_cndmask_b32_e32 v3, v1, v4, vcc
	v_lshlrev_b32_e32 v3, 2, v3
	ds_bpermute_b32 v3, v3, v0
	v_xor_b32_e32 v4, 2, v1
	;; [unrolled: 7-line block ×3, first 2 shown]
	v_cmp_lt_i32_e32 vcc, v4, v2
	s_waitcnt lgkmcnt(0)
	v_add_f32_e32 v0, v0, v3
	v_cndmask_b32_e32 v1, v1, v4, vcc
	v_lshlrev_b32_e32 v1, 2, v1
	ds_bpermute_b32 v1, v1, v0
	v_cmp_eq_u32_e32 vcc, 0, v17
	s_and_b64 exec, exec, vcc
	s_cbranch_execz .LBB85_11
; %bb.10:
	s_waitcnt lgkmcnt(0)
	v_add_f32_e32 v0, v0, v1
	v_cvt_f16_f32_e32 v2, v0
	s_mul_i32 s3, s3, s5
	v_add_u32_e32 v0, s3, v16
	v_mov_b32_e32 v1, 0
	v_lshl_add_u64 v[0:1], v[0:1], 1, s[6:7]
	global_store_short v[0:1], v2, off
.LBB85_11:
	s_endpgm
	.section	.rodata,"a",@progbits
	.p2align	6, 0x0
	.amdhsa_kernel _ZL13mul_mat_vec_qIN3c104HalfELi256ELi32E10block_q4_KLi2EXadL_ZL17vec_dot_q4_K_q8_1PKvPK10block_q8_1RKiEEEvS4_S4_PT_iii
		.amdhsa_group_segment_fixed_size 0
		.amdhsa_private_segment_fixed_size 0
		.amdhsa_kernarg_size 296
		.amdhsa_user_sgpr_count 2
		.amdhsa_user_sgpr_dispatch_ptr 0
		.amdhsa_user_sgpr_queue_ptr 0
		.amdhsa_user_sgpr_kernarg_segment_ptr 1
		.amdhsa_user_sgpr_dispatch_id 0
		.amdhsa_user_sgpr_kernarg_preload_length 0
		.amdhsa_user_sgpr_kernarg_preload_offset 0
		.amdhsa_user_sgpr_private_segment_size 0
		.amdhsa_uses_dynamic_stack 0
		.amdhsa_enable_private_segment 0
		.amdhsa_system_sgpr_workgroup_id_x 1
		.amdhsa_system_sgpr_workgroup_id_y 1
		.amdhsa_system_sgpr_workgroup_id_z 0
		.amdhsa_system_sgpr_workgroup_info 0
		.amdhsa_system_vgpr_workitem_id 1
		.amdhsa_next_free_vgpr 40
		.amdhsa_next_free_sgpr 16
		.amdhsa_accum_offset 40
		.amdhsa_reserve_vcc 1
		.amdhsa_float_round_mode_32 0
		.amdhsa_float_round_mode_16_64 0
		.amdhsa_float_denorm_mode_32 3
		.amdhsa_float_denorm_mode_16_64 3
		.amdhsa_dx10_clamp 1
		.amdhsa_ieee_mode 1
		.amdhsa_fp16_overflow 0
		.amdhsa_tg_split 0
		.amdhsa_exception_fp_ieee_invalid_op 0
		.amdhsa_exception_fp_denorm_src 0
		.amdhsa_exception_fp_ieee_div_zero 0
		.amdhsa_exception_fp_ieee_overflow 0
		.amdhsa_exception_fp_ieee_underflow 0
		.amdhsa_exception_fp_ieee_inexact 0
		.amdhsa_exception_int_div_zero 0
	.end_amdhsa_kernel
	.section	.text._ZL13mul_mat_vec_qIN3c104HalfELi256ELi32E10block_q4_KLi2EXadL_ZL17vec_dot_q4_K_q8_1PKvPK10block_q8_1RKiEEEvS4_S4_PT_iii,"axG",@progbits,_ZL13mul_mat_vec_qIN3c104HalfELi256ELi32E10block_q4_KLi2EXadL_ZL17vec_dot_q4_K_q8_1PKvPK10block_q8_1RKiEEEvS4_S4_PT_iii,comdat
.Lfunc_end85:
	.size	_ZL13mul_mat_vec_qIN3c104HalfELi256ELi32E10block_q4_KLi2EXadL_ZL17vec_dot_q4_K_q8_1PKvPK10block_q8_1RKiEEEvS4_S4_PT_iii, .Lfunc_end85-_ZL13mul_mat_vec_qIN3c104HalfELi256ELi32E10block_q4_KLi2EXadL_ZL17vec_dot_q4_K_q8_1PKvPK10block_q8_1RKiEEEvS4_S4_PT_iii
                                        ; -- End function
	.section	.AMDGPU.csdata,"",@progbits
; Kernel info:
; codeLenInByte = 1112
; NumSgprs: 22
; NumVgprs: 40
; NumAgprs: 0
; TotalNumVgprs: 40
; ScratchSize: 0
; MemoryBound: 0
; FloatMode: 240
; IeeeMode: 1
; LDSByteSize: 0 bytes/workgroup (compile time only)
; SGPRBlocks: 2
; VGPRBlocks: 4
; NumSGPRsForWavesPerEU: 22
; NumVGPRsForWavesPerEU: 40
; AccumOffset: 40
; Occupancy: 8
; WaveLimiterHint : 0
; COMPUTE_PGM_RSRC2:SCRATCH_EN: 0
; COMPUTE_PGM_RSRC2:USER_SGPR: 2
; COMPUTE_PGM_RSRC2:TRAP_HANDLER: 0
; COMPUTE_PGM_RSRC2:TGID_X_EN: 1
; COMPUTE_PGM_RSRC2:TGID_Y_EN: 1
; COMPUTE_PGM_RSRC2:TGID_Z_EN: 0
; COMPUTE_PGM_RSRC2:TIDIG_COMP_CNT: 1
; COMPUTE_PGM_RSRC3_GFX90A:ACCUM_OFFSET: 9
; COMPUTE_PGM_RSRC3_GFX90A:TG_SPLIT: 0
	.section	.text._ZL13mul_mat_vec_qIN3c104HalfELi256ELi32E10block_q5_KLi2EXadL_ZL17vec_dot_q5_K_q8_1PKvPK10block_q8_1RKiEEEvS4_S4_PT_iii,"axG",@progbits,_ZL13mul_mat_vec_qIN3c104HalfELi256ELi32E10block_q5_KLi2EXadL_ZL17vec_dot_q5_K_q8_1PKvPK10block_q8_1RKiEEEvS4_S4_PT_iii,comdat
	.globl	_ZL13mul_mat_vec_qIN3c104HalfELi256ELi32E10block_q5_KLi2EXadL_ZL17vec_dot_q5_K_q8_1PKvPK10block_q8_1RKiEEEvS4_S4_PT_iii ; -- Begin function _ZL13mul_mat_vec_qIN3c104HalfELi256ELi32E10block_q5_KLi2EXadL_ZL17vec_dot_q5_K_q8_1PKvPK10block_q8_1RKiEEEvS4_S4_PT_iii
	.p2align	8
	.type	_ZL13mul_mat_vec_qIN3c104HalfELi256ELi32E10block_q5_KLi2EXadL_ZL17vec_dot_q5_K_q8_1PKvPK10block_q8_1RKiEEEvS4_S4_PT_iii,@function
_ZL13mul_mat_vec_qIN3c104HalfELi256ELi32E10block_q5_KLi2EXadL_ZL17vec_dot_q5_K_q8_1PKvPK10block_q8_1RKiEEEvS4_S4_PT_iii: ; @_ZL13mul_mat_vec_qIN3c104HalfELi256ELi32E10block_q5_KLi2EXadL_ZL17vec_dot_q5_K_q8_1PKvPK10block_q8_1RKiEEEvS4_S4_PT_iii
; %bb.0:
	s_load_dword s8, s[0:1], 0x34
	s_load_dwordx4 s[4:7], s[0:1], 0x18
	v_bfe_u32 v1, v0, 10, 10
	s_waitcnt lgkmcnt(0)
	s_lshr_b32 s7, s8, 16
	s_mul_i32 s2, s2, s7
	v_add_u32_e32 v16, s2, v1
	s_cmp_lt_u32 s3, s6
	v_cmp_gt_u32_e32 vcc, s5, v16
	s_cselect_b64 s[6:7], -1, 0
	s_and_b64 s[6:7], s[6:7], vcc
	s_and_saveexec_b64 s[8:9], s[6:7]
	s_cbranch_execz .LBB86_11
; %bb.1:
	s_load_dwordx2 s[6:7], s[0:1], 0x10
	s_ashr_i32 s2, s4, 31
	s_lshr_b32 s2, s2, 24
	s_add_i32 s2, s4, s2
	v_and_b32_e32 v17, 0x3ff, v0
	s_ashr_i32 s2, s2, 8
	v_lshrrev_b32_e32 v18, 4, v17
	v_cmp_gt_u32_e32 vcc, s2, v18
	v_mov_b32_e32 v20, 0
	s_and_saveexec_b64 s[8:9], vcc
	s_cbranch_execz .LBB86_9
; %bb.2:
	s_load_dwordx4 s[12:15], s[0:1], 0x0
	s_add_i32 s0, s4, 0x1ff
	s_ashr_i32 s1, s0, 31
	s_lshr_b32 s1, s1, 23
	s_add_i32 s0, s0, s1
	v_lshlrev_b32_e32 v0, 1, v17
	s_ashr_i32 s0, s0, 9
	v_bfe_u32 v8, v0, 3, 2
	s_mul_i32 s4, s3, s0
	v_and_b32_e32 v4, 30, v0
	v_mov_b32_e32 v1, 0
	v_and_b32_e32 v10, 3, v17
	v_lshlrev_b32_e32 v21, 1, v8
	v_lshlrev_b32_e32 v6, 3, v18
	v_mul_lo_u32 v19, v16, s2
	v_lshlrev_b32_e32 v0, 5, v8
	v_lshlrev_b32_e32 v2, 2, v10
	v_mov_b32_e32 v3, v1
	v_cmp_lt_u32_e32 vcc, 15, v4
	s_waitcnt lgkmcnt(0)
	v_mad_u64_u32 v[4:5], s[0:1], v21, 36, s[14:15]
	v_lshl_add_u32 v22, s4, 4, v6
	s_mov_b64 s[10:11], 0
	s_movk_i32 s4, 0xb0
	v_mov_b64_e32 v[6:7], s[12:13]
	v_lshlrev_b32_e32 v8, 1, v8
	v_mov_b32_e32 v9, v1
	s_mov_b32 s12, 0x5040100
	s_mov_b32 s13, 0x30303030
	v_lshlrev_b32_e32 v10, 2, v10
	v_mov_b32_e32 v11, v1
	s_mov_b32 s14, 0x10101010
	v_mov_b32_e32 v20, v1
	s_branch .LBB86_4
.LBB86_3:                               ;   in Loop: Header=BB86_4 Depth=1
	s_or_b64 exec, exec, s[0:1]
	v_mad_i64_i32 v[14:15], s[0:1], v22, 36, v[4:5]
	global_load_dword v30, v[14:15], off
	v_lshl_add_u64 v[28:29], v[14:15], 0, v[10:11]
	global_load_dword v31, v[12:13], off
	global_load_dword v32, v[28:29], off offset:20
	global_load_dword v33, v[28:29], off offset:40
	;; [unrolled: 1-line block ×5, first 2 shown]
	s_waitcnt vmcnt(7)
	v_ashrrev_i32_e32 v13, v21, v26
	v_ashrrev_i32_e32 v14, v21, v25
	v_and_b32_e32 v25, 0xf0f0f0f, v23
	v_lshrrev_b32_e32 v23, 4, v23
	v_lshlrev_b32_e32 v39, 4, v13
	v_and_b32_e32 v15, 0xf0f0f0f, v24
	v_mov_b32_e32 v26, 0
	v_mov_b32_e32 v28, 0
	v_lshrrev_b32_e32 v24, 4, v24
	v_lshlrev_b32_e32 v38, 4, v14
	v_and_b32_e32 v23, 0xf0f0f0f, v23
	v_lshlrev_b32_e32 v13, 3, v13
	v_and_or_b32 v25, v39, s14, v25
	v_pk_lshrrev_b16 v12, 8, v27 op_sel_hi:[0,1]
	v_and_b32_e32 v27, 0xff00ff, v27
	v_mov_b32_e32 v29, 0
	v_mov_b32_e32 v37, 0
	v_and_b32_e32 v24, 0xf0f0f0f, v24
	v_lshlrev_b32_e32 v14, 3, v14
	v_and_or_b32 v15, v38, s14, v15
	v_and_or_b32 v23, v13, s14, v23
	v_lshrrev_b32_e32 v41, 16, v27
	v_and_b32_e32 v27, 0xff, v27
	v_and_or_b32 v38, v14, s14, v24
	v_lshrrev_b32_e32 v40, 16, v12
	v_and_b32_e32 v12, 0xff, v12
	v_add_u32_e32 v18, 4, v18
	v_cmp_le_u32_e64 s[0:1], s2, v18
	s_or_b64 s[10:11], s[0:1], s[10:11]
	v_add_u32_e32 v22, 32, v22
	s_waitcnt vmcnt(5)
	v_cvt_f32_f16_sdwa v13, v31 dst_sel:DWORD dst_unused:UNUSED_PAD src0_sel:WORD_1
	s_waitcnt vmcnt(4)
	v_dot4c_i32_i8_e32 v26, v25, v32
	v_dot4c_i32_i8_e32 v28, 0x1010101, v32
	s_waitcnt vmcnt(2)
	v_dot4c_i32_i8_e32 v29, v23, v34
	v_dot4c_i32_i8_e32 v37, 0x1010101, v34
	;; [unrolled: 3-line block ×3, first 2 shown]
	v_dot4c_i32_i8_e32 v29, v38, v33
	v_dot4c_i32_i8_e32 v37, 0x1010101, v33
	v_mul_lo_u32 v15, v26, v27
	v_mul_lo_u32 v23, v28, v41
	v_cvt_f32_f16_e32 v14, v30
	v_mul_lo_u32 v12, v29, v12
	v_mul_lo_u32 v25, v37, v40
	v_cvt_f32_i32_e32 v27, v23
	v_cvt_f32_i32_e32 v26, v15
	v_cvt_f32_f16_e32 v24, v35
	v_cvt_f32_i32_e32 v29, v25
	v_cvt_f32_i32_e32 v28, v12
	v_cvt_f32_f16_e32 v12, v31
	v_pk_fma_f32 v[14:15], v[14:15], v[26:27], 0 op_sel_hi:[0,1,0]
	v_pk_fma_f32 v[14:15], v[24:25], v[28:29], v[14:15] op_sel_hi:[0,1,1]
	v_pk_mul_f32 v[12:13], v[14:15], v[12:13]
	s_nop 0
	v_sub_f32_e32 v12, v12, v13
	v_add_f32_e32 v20, v20, v12
	s_andn2_b64 exec, exec, s[10:11]
	s_cbranch_execz .LBB86_8
.LBB86_4:                               ; =>This Inner Loop Header: Depth=1
	v_add_u32_e32 v12, v19, v18
	v_mad_i64_i32 v[12:13], s[0:1], v12, s4, v[6:7]
	v_lshl_add_u64 v[14:15], v[12:13], 0, v[2:3]
	v_lshl_add_u64 v[28:29], v[14:15], 0, v[0:1]
	global_load_dword v23, v[28:29], off offset:64
	global_load_dword v25, v[14:15], off offset:16
	;; [unrolled: 1-line block ×4, first 2 shown]
	v_lshl_add_u64 v[14:15], v[12:13], 0, v[8:9]
                                        ; implicit-def: $vgpr27
	s_and_saveexec_b64 s[0:1], vcc
	s_xor_b64 s[0:1], exec, s[0:1]
	s_cbranch_execz .LBB86_6
; %bb.5:                                ;   in Loop: Header=BB86_4 Depth=1
	global_load_ushort v27, v[14:15], off
	global_load_ushort v28, v[14:15], off offset:8
	global_load_ushort v29, v[14:15], off offset:4
	s_waitcnt vmcnt(1)
	v_lshrrev_b16_e32 v14, 4, v28
	s_waitcnt vmcnt(0)
	v_perm_b32 v15, v29, v27, s12
	v_perm_b32 v14, v14, v28, s12
	v_and_b32_e32 v14, 0xf0f0f0f, v14
	v_pk_lshrrev_b16 v15, 2, v15 op_sel_hi:[0,1]
	v_and_or_b32 v27, v15, s13, v14
                                        ; implicit-def: $vgpr14_vgpr15
.LBB86_6:                               ;   in Loop: Header=BB86_4 Depth=1
	s_andn2_saveexec_b64 s[0:1], s[0:1]
	s_cbranch_execz .LBB86_3
; %bb.7:                                ;   in Loop: Header=BB86_4 Depth=1
	global_load_ushort v27, v[14:15], off offset:4
	global_load_ushort v28, v[14:15], off offset:8
	s_waitcnt vmcnt(0)
	v_perm_b32 v14, v28, v27, s12
	v_and_b32_e32 v27, 0x3f3f3f3f, v14
	s_branch .LBB86_3
.LBB86_8:
	s_or_b64 exec, exec, s[10:11]
.LBB86_9:
	s_or_b64 exec, exec, s[8:9]
	v_mbcnt_lo_u32_b32 v0, -1, 0
	v_mbcnt_hi_u32_b32 v1, -1, v0
	v_and_b32_e32 v0, 64, v1
	v_add_u32_e32 v2, 64, v0
	v_xor_b32_e32 v0, 32, v1
	v_cmp_lt_i32_e32 vcc, v0, v2
	v_xor_b32_e32 v3, 16, v1
	v_xor_b32_e32 v4, 8, v1
	v_cndmask_b32_e32 v0, v1, v0, vcc
	v_lshlrev_b32_e32 v0, 2, v0
	ds_bpermute_b32 v0, v0, v20
	v_cmp_lt_i32_e32 vcc, v3, v2
	s_waitcnt lgkmcnt(0)
	v_add_f32_e32 v0, v20, v0
	v_cndmask_b32_e32 v3, v1, v3, vcc
	v_lshlrev_b32_e32 v3, 2, v3
	ds_bpermute_b32 v3, v3, v0
	v_cmp_lt_i32_e32 vcc, v4, v2
	s_waitcnt lgkmcnt(0)
	v_add_f32_e32 v0, v0, v3
	v_cndmask_b32_e32 v3, v1, v4, vcc
	v_lshlrev_b32_e32 v3, 2, v3
	ds_bpermute_b32 v3, v3, v0
	v_xor_b32_e32 v4, 4, v1
	v_cmp_lt_i32_e32 vcc, v4, v2
	s_waitcnt lgkmcnt(0)
	v_add_f32_e32 v0, v0, v3
	v_cndmask_b32_e32 v3, v1, v4, vcc
	v_lshlrev_b32_e32 v3, 2, v3
	ds_bpermute_b32 v3, v3, v0
	v_xor_b32_e32 v4, 2, v1
	;; [unrolled: 7-line block ×3, first 2 shown]
	v_cmp_lt_i32_e32 vcc, v4, v2
	s_waitcnt lgkmcnt(0)
	v_add_f32_e32 v0, v0, v3
	v_cndmask_b32_e32 v1, v1, v4, vcc
	v_lshlrev_b32_e32 v1, 2, v1
	ds_bpermute_b32 v1, v1, v0
	v_cmp_eq_u32_e32 vcc, 0, v17
	s_and_b64 exec, exec, vcc
	s_cbranch_execz .LBB86_11
; %bb.10:
	s_waitcnt lgkmcnt(0)
	v_add_f32_e32 v0, v0, v1
	v_cvt_f16_f32_e32 v2, v0
	s_mul_i32 s3, s3, s5
	v_add_u32_e32 v0, s3, v16
	v_mov_b32_e32 v1, 0
	v_lshl_add_u64 v[0:1], v[0:1], 1, s[6:7]
	global_store_short v[0:1], v2, off
.LBB86_11:
	s_endpgm
	.section	.rodata,"a",@progbits
	.p2align	6, 0x0
	.amdhsa_kernel _ZL13mul_mat_vec_qIN3c104HalfELi256ELi32E10block_q5_KLi2EXadL_ZL17vec_dot_q5_K_q8_1PKvPK10block_q8_1RKiEEEvS4_S4_PT_iii
		.amdhsa_group_segment_fixed_size 0
		.amdhsa_private_segment_fixed_size 0
		.amdhsa_kernarg_size 296
		.amdhsa_user_sgpr_count 2
		.amdhsa_user_sgpr_dispatch_ptr 0
		.amdhsa_user_sgpr_queue_ptr 0
		.amdhsa_user_sgpr_kernarg_segment_ptr 1
		.amdhsa_user_sgpr_dispatch_id 0
		.amdhsa_user_sgpr_kernarg_preload_length 0
		.amdhsa_user_sgpr_kernarg_preload_offset 0
		.amdhsa_user_sgpr_private_segment_size 0
		.amdhsa_uses_dynamic_stack 0
		.amdhsa_enable_private_segment 0
		.amdhsa_system_sgpr_workgroup_id_x 1
		.amdhsa_system_sgpr_workgroup_id_y 1
		.amdhsa_system_sgpr_workgroup_id_z 0
		.amdhsa_system_sgpr_workgroup_info 0
		.amdhsa_system_vgpr_workitem_id 1
		.amdhsa_next_free_vgpr 42
		.amdhsa_next_free_sgpr 16
		.amdhsa_accum_offset 44
		.amdhsa_reserve_vcc 1
		.amdhsa_float_round_mode_32 0
		.amdhsa_float_round_mode_16_64 0
		.amdhsa_float_denorm_mode_32 3
		.amdhsa_float_denorm_mode_16_64 3
		.amdhsa_dx10_clamp 1
		.amdhsa_ieee_mode 1
		.amdhsa_fp16_overflow 0
		.amdhsa_tg_split 0
		.amdhsa_exception_fp_ieee_invalid_op 0
		.amdhsa_exception_fp_denorm_src 0
		.amdhsa_exception_fp_ieee_div_zero 0
		.amdhsa_exception_fp_ieee_overflow 0
		.amdhsa_exception_fp_ieee_underflow 0
		.amdhsa_exception_fp_ieee_inexact 0
		.amdhsa_exception_int_div_zero 0
	.end_amdhsa_kernel
	.section	.text._ZL13mul_mat_vec_qIN3c104HalfELi256ELi32E10block_q5_KLi2EXadL_ZL17vec_dot_q5_K_q8_1PKvPK10block_q8_1RKiEEEvS4_S4_PT_iii,"axG",@progbits,_ZL13mul_mat_vec_qIN3c104HalfELi256ELi32E10block_q5_KLi2EXadL_ZL17vec_dot_q5_K_q8_1PKvPK10block_q8_1RKiEEEvS4_S4_PT_iii,comdat
.Lfunc_end86:
	.size	_ZL13mul_mat_vec_qIN3c104HalfELi256ELi32E10block_q5_KLi2EXadL_ZL17vec_dot_q5_K_q8_1PKvPK10block_q8_1RKiEEEvS4_S4_PT_iii, .Lfunc_end86-_ZL13mul_mat_vec_qIN3c104HalfELi256ELi32E10block_q5_KLi2EXadL_ZL17vec_dot_q5_K_q8_1PKvPK10block_q8_1RKiEEEvS4_S4_PT_iii
                                        ; -- End function
	.section	.AMDGPU.csdata,"",@progbits
; Kernel info:
; codeLenInByte = 1192
; NumSgprs: 22
; NumVgprs: 42
; NumAgprs: 0
; TotalNumVgprs: 42
; ScratchSize: 0
; MemoryBound: 0
; FloatMode: 240
; IeeeMode: 1
; LDSByteSize: 0 bytes/workgroup (compile time only)
; SGPRBlocks: 2
; VGPRBlocks: 5
; NumSGPRsForWavesPerEU: 22
; NumVGPRsForWavesPerEU: 42
; AccumOffset: 44
; Occupancy: 8
; WaveLimiterHint : 0
; COMPUTE_PGM_RSRC2:SCRATCH_EN: 0
; COMPUTE_PGM_RSRC2:USER_SGPR: 2
; COMPUTE_PGM_RSRC2:TRAP_HANDLER: 0
; COMPUTE_PGM_RSRC2:TGID_X_EN: 1
; COMPUTE_PGM_RSRC2:TGID_Y_EN: 1
; COMPUTE_PGM_RSRC2:TGID_Z_EN: 0
; COMPUTE_PGM_RSRC2:TIDIG_COMP_CNT: 1
; COMPUTE_PGM_RSRC3_GFX90A:ACCUM_OFFSET: 10
; COMPUTE_PGM_RSRC3_GFX90A:TG_SPLIT: 0
	.section	.text._ZL13mul_mat_vec_qIN3c104HalfELi256ELi32E10block_q6_KLi1EXadL_ZL17vec_dot_q6_K_q8_1PKvPK10block_q8_1RKiEEEvS4_S4_PT_iii,"axG",@progbits,_ZL13mul_mat_vec_qIN3c104HalfELi256ELi32E10block_q6_KLi1EXadL_ZL17vec_dot_q6_K_q8_1PKvPK10block_q8_1RKiEEEvS4_S4_PT_iii,comdat
	.globl	_ZL13mul_mat_vec_qIN3c104HalfELi256ELi32E10block_q6_KLi1EXadL_ZL17vec_dot_q6_K_q8_1PKvPK10block_q8_1RKiEEEvS4_S4_PT_iii ; -- Begin function _ZL13mul_mat_vec_qIN3c104HalfELi256ELi32E10block_q6_KLi1EXadL_ZL17vec_dot_q6_K_q8_1PKvPK10block_q8_1RKiEEEvS4_S4_PT_iii
	.p2align	8
	.type	_ZL13mul_mat_vec_qIN3c104HalfELi256ELi32E10block_q6_KLi1EXadL_ZL17vec_dot_q6_K_q8_1PKvPK10block_q8_1RKiEEEvS4_S4_PT_iii,@function
_ZL13mul_mat_vec_qIN3c104HalfELi256ELi32E10block_q6_KLi1EXadL_ZL17vec_dot_q6_K_q8_1PKvPK10block_q8_1RKiEEEvS4_S4_PT_iii: ; @_ZL13mul_mat_vec_qIN3c104HalfELi256ELi32E10block_q6_KLi1EXadL_ZL17vec_dot_q6_K_q8_1PKvPK10block_q8_1RKiEEEvS4_S4_PT_iii
; %bb.0:
	s_load_dword s8, s[0:1], 0x34
	s_load_dwordx4 s[4:7], s[0:1], 0x18
	v_bfe_u32 v1, v0, 10, 10
	s_waitcnt lgkmcnt(0)
	s_lshr_b32 s7, s8, 16
	s_mul_i32 s2, s2, s7
	v_add_u32_e32 v12, s2, v1
	s_cmp_lt_u32 s3, s6
	v_cmp_gt_u32_e32 vcc, s5, v12
	s_cselect_b64 s[6:7], -1, 0
	s_and_b64 s[6:7], s[6:7], vcc
	s_and_saveexec_b64 s[8:9], s[6:7]
	s_cbranch_execz .LBB87_7
; %bb.1:
	s_load_dwordx2 s[6:7], s[0:1], 0x10
	s_ashr_i32 s2, s4, 31
	s_lshr_b32 s2, s2, 24
	s_add_i32 s2, s4, s2
	v_and_b32_e32 v13, 0x3ff, v0
	s_ashr_i32 s2, s2, 8
	v_lshrrev_b32_e32 v14, 5, v13
	v_cmp_gt_u32_e32 vcc, s2, v14
	v_mov_b32_e32 v16, 0
	s_and_saveexec_b64 s[8:9], vcc
	s_cbranch_execz .LBB87_5
; %bb.2:
	v_and_b32_e32 v0, 31, v13
	v_add_u32_e32 v1, 0xf0, v0
	v_cmp_gt_u32_e32 vcc, 16, v0
	s_load_dwordx4 s[12:15], s[0:1], 0x0
	s_add_i32 s0, s4, 0x1ff
	v_cndmask_b32_e32 v8, v1, v0, vcc
	v_and_b32_e32 v1, 0xf8, v8
	s_ashr_i32 s1, s0, 31
	v_cmp_ne_u32_e32 vcc, 0, v1
	s_lshr_b32 s1, s1, 23
	s_add_i32 s0, s0, s1
	v_cndmask_b32_e64 v9, 0, 1, vcc
	v_cmp_lt_u32_e32 vcc, 15, v0
	s_ashr_i32 s0, s0, 9
	v_and_b32_e32 v4, 7, v13
	v_cndmask_b32_e64 v2, 0, 1, vcc
	v_lshl_or_b32 v6, v2, 2, v9
	v_lshlrev_b32_e32 v10, 3, v2
	v_bfe_u32 v8, v8, 2, 6
	s_mul_i32 s4, s3, s0
	v_mov_b32_e32 v1, 0
	v_or_b32_e32 v2, v10, v4
	s_waitcnt lgkmcnt(0)
	v_mad_u64_u32 v[6:7], s[0:1], v6, 36, s[14:15]
	v_add_u32_e32 v8, v8, v10
	v_lshlrev_b32_e32 v10, 3, v14
	v_mul_lo_u32 v15, v12, s2
	v_lshlrev_b32_e32 v0, 2, v0
	v_lshlrev_b32_e32 v2, 2, v2
	v_mov_b32_e32 v3, v1
	v_lshlrev_b32_e32 v4, 2, v4
	v_mov_b32_e32 v5, v1
	;; [unrolled: 2-line block ×3, first 2 shown]
	v_lshl_add_u32 v18, s4, 4, v10
	s_mov_b64 s[0:1], 0
	s_movk_i32 s4, 0xd2
	v_mov_b64_e32 v[10:11], s[12:13]
	s_mov_b32 s10, 0xf0f0f0f
	s_mov_b32 s11, 0x30303030
	s_movk_i32 s12, 0x3f00
	s_movk_i32 s13, 0xe000
	v_mov_b32_e32 v19, 8
	v_mov_b32_e32 v16, v1
.LBB87_3:                               ; =>This Inner Loop Header: Depth=1
	v_add_u32_e32 v20, v15, v14
	v_mad_i64_i32 v[20:21], s[14:15], v20, s4, v[10:11]
	v_lshl_add_u64 v[24:25], v[20:21], 0, v[2:3]
	v_lshl_add_u64 v[22:23], v[20:21], 0, v[0:1]
	global_load_dword v26, v[24:25], off offset:128
	global_load_dword v27, v[22:23], off
	v_mad_i64_i32 v[22:23], s[14:15], v18, 36, v[6:7]
	v_lshl_add_u64 v[24:25], v[22:23], 0, v[4:5]
	global_load_dword v28, v[24:25], off offset:4
	global_load_dword v29, v[24:25], off offset:76
	v_lshl_add_u64 v[24:25], v[20:21], 0, v[8:9]
	global_load_sbyte v30, v[24:25], off offset:192
	global_load_sbyte v31, v[24:25], off offset:196
	global_load_dword v32, v[22:23], off
	global_load_dword v33, v[22:23], off offset:72
	global_load_ushort v34, v[20:21], off offset:208
	v_mov_b32_e32 v20, 0
	v_mov_b32_e32 v21, 0
	v_add_u32_e32 v14, 2, v14
	v_cmp_le_u32_e32 vcc, s2, v14
	v_add_u32_e32 v18, 16, v18
	s_or_b64 s[0:1], vcc, s[0:1]
	s_waitcnt vmcnt(8)
	v_ashrrev_i32_e32 v22, v17, v26
	s_waitcnt vmcnt(7)
	v_and_b32_e32 v23, 0xf0f0f0f, v27
	v_lshlrev_b32_e32 v25, 4, v22
	v_lshrrev_b32_e32 v24, 4, v27
	v_and_b32_e32 v22, 0x30303030, v22
	v_and_or_b32 v23, v25, s11, v23
	v_and_or_b32 v22, v24, s10, v22
	v_and_b32_e32 v24, 0x3f00, v23
	v_lshlrev_b16_e32 v25, 8, v23
	v_and_b32_sdwa v26, v23, s12 dst_sel:DWORD dst_unused:UNUSED_PAD src0_sel:WORD_1 src1_sel:DWORD
	v_lshlrev_b16_sdwa v23, v19, v23 dst_sel:DWORD dst_unused:UNUSED_PAD src0_sel:DWORD src1_sel:WORD_1
	v_and_b32_e32 v27, 0x3f00, v22
	v_lshlrev_b16_e32 v35, 8, v22
	v_and_b32_sdwa v36, v22, s12 dst_sel:DWORD dst_unused:UNUSED_PAD src0_sel:WORD_1 src1_sel:DWORD
	v_lshlrev_b16_sdwa v22, v19, v22 dst_sel:DWORD dst_unused:UNUSED_PAD src0_sel:DWORD src1_sel:WORD_1
	v_add_u16_e32 v25, 0xe000, v25
	v_add_u16_e32 v23, 0xe000, v23
	;; [unrolled: 1-line block ×4, first 2 shown]
	v_or_b32_sdwa v24, v24, v25 dst_sel:DWORD dst_unused:UNUSED_PAD src0_sel:DWORD src1_sel:BYTE_1
	v_or_b32_sdwa v23, v26, v23 dst_sel:DWORD dst_unused:UNUSED_PAD src0_sel:DWORD src1_sel:BYTE_1
	;; [unrolled: 1-line block ×4, first 2 shown]
	v_add_u16_e32 v24, 0xe000, v24
	v_add_u16_sdwa v23, v23, s13 dst_sel:WORD_1 dst_unused:UNUSED_PAD src0_sel:DWORD src1_sel:DWORD
	v_add_u16_e32 v25, 0xe000, v25
	v_add_u16_sdwa v22, v22, s13 dst_sel:WORD_1 dst_unused:UNUSED_PAD src0_sel:DWORD src1_sel:DWORD
	v_or_b32_e32 v23, v24, v23
	v_or_b32_e32 v22, v25, v22
	s_waitcnt vmcnt(6)
	v_dot4c_i32_i8_e32 v20, v23, v28
	s_waitcnt vmcnt(5)
	v_dot4c_i32_i8_e32 v21, v22, v29
	s_waitcnt vmcnt(4)
	v_mul_lo_u32 v20, v20, v30
	s_waitcnt vmcnt(3)
	v_mul_lo_u32 v21, v21, v31
	v_cvt_f32_i32_e32 v20, v20
	v_cvt_f32_i32_e32 v21, v21
	s_waitcnt vmcnt(2)
	v_fma_mix_f32 v20, v32, v20, 0 op_sel_hi:[1,0,0]
	s_waitcnt vmcnt(1)
	v_fma_mix_f32 v20, v33, v21, v20 op_sel_hi:[1,0,0]
	;; [unrolled: 2-line block ×3, first 2 shown]
	s_andn2_b64 exec, exec, s[0:1]
	s_cbranch_execnz .LBB87_3
; %bb.4:
	s_or_b64 exec, exec, s[0:1]
.LBB87_5:
	s_or_b64 exec, exec, s[8:9]
	v_mbcnt_lo_u32_b32 v0, -1, 0
	v_mbcnt_hi_u32_b32 v1, -1, v0
	v_and_b32_e32 v0, 64, v1
	v_add_u32_e32 v2, 64, v0
	v_xor_b32_e32 v0, 32, v1
	v_cmp_lt_i32_e32 vcc, v0, v2
	v_xor_b32_e32 v3, 16, v1
	v_xor_b32_e32 v4, 8, v1
	v_cndmask_b32_e32 v0, v1, v0, vcc
	v_lshlrev_b32_e32 v0, 2, v0
	ds_bpermute_b32 v0, v0, v16
	v_cmp_lt_i32_e32 vcc, v3, v2
	s_waitcnt lgkmcnt(0)
	v_add_f32_e32 v0, v16, v0
	v_cndmask_b32_e32 v3, v1, v3, vcc
	v_lshlrev_b32_e32 v3, 2, v3
	ds_bpermute_b32 v3, v3, v0
	v_cmp_lt_i32_e32 vcc, v4, v2
	s_waitcnt lgkmcnt(0)
	v_add_f32_e32 v0, v0, v3
	v_cndmask_b32_e32 v3, v1, v4, vcc
	v_lshlrev_b32_e32 v3, 2, v3
	ds_bpermute_b32 v3, v3, v0
	v_xor_b32_e32 v4, 4, v1
	v_cmp_lt_i32_e32 vcc, v4, v2
	s_waitcnt lgkmcnt(0)
	v_add_f32_e32 v0, v0, v3
	v_cndmask_b32_e32 v3, v1, v4, vcc
	v_lshlrev_b32_e32 v3, 2, v3
	ds_bpermute_b32 v3, v3, v0
	v_xor_b32_e32 v4, 2, v1
	;; [unrolled: 7-line block ×3, first 2 shown]
	v_cmp_lt_i32_e32 vcc, v4, v2
	s_waitcnt lgkmcnt(0)
	v_add_f32_e32 v0, v0, v3
	v_cndmask_b32_e32 v1, v1, v4, vcc
	v_lshlrev_b32_e32 v1, 2, v1
	ds_bpermute_b32 v1, v1, v0
	v_cmp_eq_u32_e32 vcc, 0, v13
	s_and_b64 exec, exec, vcc
	s_cbranch_execz .LBB87_7
; %bb.6:
	s_waitcnt lgkmcnt(0)
	v_add_f32_e32 v0, v0, v1
	v_cvt_f16_f32_e32 v2, v0
	s_mul_i32 s3, s3, s5
	v_add_u32_e32 v0, s3, v12
	v_mov_b32_e32 v1, 0
	v_lshl_add_u64 v[0:1], v[0:1], 1, s[6:7]
	global_store_short v[0:1], v2, off
.LBB87_7:
	s_endpgm
	.section	.rodata,"a",@progbits
	.p2align	6, 0x0
	.amdhsa_kernel _ZL13mul_mat_vec_qIN3c104HalfELi256ELi32E10block_q6_KLi1EXadL_ZL17vec_dot_q6_K_q8_1PKvPK10block_q8_1RKiEEEvS4_S4_PT_iii
		.amdhsa_group_segment_fixed_size 0
		.amdhsa_private_segment_fixed_size 0
		.amdhsa_kernarg_size 296
		.amdhsa_user_sgpr_count 2
		.amdhsa_user_sgpr_dispatch_ptr 0
		.amdhsa_user_sgpr_queue_ptr 0
		.amdhsa_user_sgpr_kernarg_segment_ptr 1
		.amdhsa_user_sgpr_dispatch_id 0
		.amdhsa_user_sgpr_kernarg_preload_length 0
		.amdhsa_user_sgpr_kernarg_preload_offset 0
		.amdhsa_user_sgpr_private_segment_size 0
		.amdhsa_uses_dynamic_stack 0
		.amdhsa_enable_private_segment 0
		.amdhsa_system_sgpr_workgroup_id_x 1
		.amdhsa_system_sgpr_workgroup_id_y 1
		.amdhsa_system_sgpr_workgroup_id_z 0
		.amdhsa_system_sgpr_workgroup_info 0
		.amdhsa_system_vgpr_workitem_id 1
		.amdhsa_next_free_vgpr 37
		.amdhsa_next_free_sgpr 16
		.amdhsa_accum_offset 40
		.amdhsa_reserve_vcc 1
		.amdhsa_float_round_mode_32 0
		.amdhsa_float_round_mode_16_64 0
		.amdhsa_float_denorm_mode_32 3
		.amdhsa_float_denorm_mode_16_64 3
		.amdhsa_dx10_clamp 1
		.amdhsa_ieee_mode 1
		.amdhsa_fp16_overflow 0
		.amdhsa_tg_split 0
		.amdhsa_exception_fp_ieee_invalid_op 0
		.amdhsa_exception_fp_denorm_src 0
		.amdhsa_exception_fp_ieee_div_zero 0
		.amdhsa_exception_fp_ieee_overflow 0
		.amdhsa_exception_fp_ieee_underflow 0
		.amdhsa_exception_fp_ieee_inexact 0
		.amdhsa_exception_int_div_zero 0
	.end_amdhsa_kernel
	.section	.text._ZL13mul_mat_vec_qIN3c104HalfELi256ELi32E10block_q6_KLi1EXadL_ZL17vec_dot_q6_K_q8_1PKvPK10block_q8_1RKiEEEvS4_S4_PT_iii,"axG",@progbits,_ZL13mul_mat_vec_qIN3c104HalfELi256ELi32E10block_q6_KLi1EXadL_ZL17vec_dot_q6_K_q8_1PKvPK10block_q8_1RKiEEEvS4_S4_PT_iii,comdat
.Lfunc_end87:
	.size	_ZL13mul_mat_vec_qIN3c104HalfELi256ELi32E10block_q6_KLi1EXadL_ZL17vec_dot_q6_K_q8_1PKvPK10block_q8_1RKiEEEvS4_S4_PT_iii, .Lfunc_end87-_ZL13mul_mat_vec_qIN3c104HalfELi256ELi32E10block_q6_KLi1EXadL_ZL17vec_dot_q6_K_q8_1PKvPK10block_q8_1RKiEEEvS4_S4_PT_iii
                                        ; -- End function
	.section	.AMDGPU.csdata,"",@progbits
; Kernel info:
; codeLenInByte = 1068
; NumSgprs: 22
; NumVgprs: 37
; NumAgprs: 0
; TotalNumVgprs: 37
; ScratchSize: 0
; MemoryBound: 0
; FloatMode: 240
; IeeeMode: 1
; LDSByteSize: 0 bytes/workgroup (compile time only)
; SGPRBlocks: 2
; VGPRBlocks: 4
; NumSGPRsForWavesPerEU: 22
; NumVGPRsForWavesPerEU: 37
; AccumOffset: 40
; Occupancy: 8
; WaveLimiterHint : 0
; COMPUTE_PGM_RSRC2:SCRATCH_EN: 0
; COMPUTE_PGM_RSRC2:USER_SGPR: 2
; COMPUTE_PGM_RSRC2:TRAP_HANDLER: 0
; COMPUTE_PGM_RSRC2:TGID_X_EN: 1
; COMPUTE_PGM_RSRC2:TGID_Y_EN: 1
; COMPUTE_PGM_RSRC2:TGID_Z_EN: 0
; COMPUTE_PGM_RSRC2:TIDIG_COMP_CNT: 1
; COMPUTE_PGM_RSRC3_GFX90A:ACCUM_OFFSET: 9
; COMPUTE_PGM_RSRC3_GFX90A:TG_SPLIT: 0
	.section	.text._ZL13mul_mat_vec_qIN3c104HalfELi256ELi8E13block_iq2_xxsLi1EXadL_ZL20vec_dot_iq2_xxs_q8_1PKvPK10block_q8_1RKiEEEvS4_S4_PT_iii,"axG",@progbits,_ZL13mul_mat_vec_qIN3c104HalfELi256ELi8E13block_iq2_xxsLi1EXadL_ZL20vec_dot_iq2_xxs_q8_1PKvPK10block_q8_1RKiEEEvS4_S4_PT_iii,comdat
	.globl	_ZL13mul_mat_vec_qIN3c104HalfELi256ELi8E13block_iq2_xxsLi1EXadL_ZL20vec_dot_iq2_xxs_q8_1PKvPK10block_q8_1RKiEEEvS4_S4_PT_iii ; -- Begin function _ZL13mul_mat_vec_qIN3c104HalfELi256ELi8E13block_iq2_xxsLi1EXadL_ZL20vec_dot_iq2_xxs_q8_1PKvPK10block_q8_1RKiEEEvS4_S4_PT_iii
	.p2align	8
	.type	_ZL13mul_mat_vec_qIN3c104HalfELi256ELi8E13block_iq2_xxsLi1EXadL_ZL20vec_dot_iq2_xxs_q8_1PKvPK10block_q8_1RKiEEEvS4_S4_PT_iii,@function
_ZL13mul_mat_vec_qIN3c104HalfELi256ELi8E13block_iq2_xxsLi1EXadL_ZL20vec_dot_iq2_xxs_q8_1PKvPK10block_q8_1RKiEEEvS4_S4_PT_iii: ; @_ZL13mul_mat_vec_qIN3c104HalfELi256ELi8E13block_iq2_xxsLi1EXadL_ZL20vec_dot_iq2_xxs_q8_1PKvPK10block_q8_1RKiEEEvS4_S4_PT_iii
; %bb.0:
	s_load_dword s8, s[0:1], 0x34
	s_load_dwordx4 s[4:7], s[0:1], 0x18
	v_bfe_u32 v1, v0, 10, 10
	s_waitcnt lgkmcnt(0)
	s_lshr_b32 s7, s8, 16
	s_mul_i32 s2, s2, s7
	v_add_u32_e32 v10, s2, v1
	s_cmp_lt_u32 s3, s6
	v_cmp_gt_u32_e32 vcc, s5, v10
	s_cselect_b64 s[6:7], -1, 0
	s_and_b64 s[6:7], s[6:7], vcc
	s_and_saveexec_b64 s[8:9], s[6:7]
	s_cbranch_execz .LBB88_7
; %bb.1:
	s_load_dwordx2 s[6:7], s[0:1], 0x10
	s_ashr_i32 s2, s4, 31
	s_lshr_b32 s2, s2, 24
	s_add_i32 s2, s4, s2
	v_and_b32_e32 v11, 0x3ff, v0
	s_ashr_i32 s2, s2, 8
	v_lshrrev_b32_e32 v12, 3, v11
	v_cmp_gt_u32_e32 vcc, s2, v12
	v_mov_b32_e32 v13, 0
	s_and_saveexec_b64 s[8:9], vcc
	s_cbranch_execz .LBB88_5
; %bb.2:
	s_load_dwordx4 s[12:15], s[0:1], 0x0
	s_add_i32 s0, s4, 0x1ff
	s_ashr_i32 s1, s0, 31
	s_lshr_b32 s1, s1, 23
	s_add_i32 s0, s0, s1
	s_ashr_i32 s0, s0, 9
	v_and_b32_e32 v2, 7, v11
	s_mul_i32 s4, s3, s0
	v_lshlrev_b32_e32 v0, 2, v2
	v_mov_b32_e32 v1, 0
	s_waitcnt lgkmcnt(0)
	v_mad_u64_u32 v[2:3], s[0:1], v2, 36, s[14:15]
	v_lshlrev_b32_e32 v4, 3, v12
	v_mul_lo_u32 v14, v10, s2
	v_lshl_add_u32 v15, s4, 4, v4
	s_mov_b64 s[0:1], 0
	s_movk_i32 s4, 0x42
	v_mov_b64_e32 v[4:5], s[12:13]
	v_lshlrev_b32_e32 v0, 1, v0
	s_mov_b32 s14, 0xffff
	v_mov_b32_e32 v16, 3
	v_mov_b32_e32 v13, v1
	s_getpc_b64 s[12:13]
	s_add_u32 s12, s12, _ZL12ksigns_iq2xs@rel32@lo+4
	s_addc_u32 s13, s13, _ZL12ksigns_iq2xs@rel32@hi+12
.LBB88_3:                               ; =>This Inner Loop Header: Depth=1
	v_add_u32_e32 v6, v14, v12
	v_mad_i64_i32 v[8:9], s[10:11], v6, s4, v[4:5]
	v_lshl_add_u64 v[18:19], v[8:9], 0, v[0:1]
	global_load_dword v17, v[18:19], off offset:6
	global_load_dword v25, v[18:19], off offset:2
	v_mad_i64_i32 v[6:7], s[10:11], v15, 36, v[2:3]
	s_getpc_b64 s[10:11]
	s_add_u32 s10, s10, _ZL11iq2xxs_grid@rel32@lo+4
	s_addc_u32 s11, s11, _ZL11iq2xxs_grid@rel32@hi+12
	v_add_u32_e32 v12, 8, v12
	v_add_u32_e32 v15, 64, v15
	s_waitcnt vmcnt(1)
	v_and_b32_e32 v20, 0xffff0000, v17
	v_and_b32_e32 v27, 0x7f, v17
	v_and_or_b32 v24, v17, s14, v20
	s_waitcnt vmcnt(0)
	v_lshlrev_b32_sdwa v26, v16, v25 dst_sel:DWORD dst_unused:UNUSED_PAD src0_sel:DWORD src1_sel:BYTE_0
	global_load_sbyte v28, v27, s[12:13]
	global_load_dwordx4 v[18:21], v[6:7], off offset:4
	global_load_dwordx2 v[22:23], v26, s[10:11]
	v_bfe_u32 v24, v24, 14, 7
	s_waitcnt vmcnt(2)
	v_and_b32_e32 v29, 1, v28
	v_cmp_eq_u16_e32 vcc, 0, v29
	s_waitcnt vmcnt(0)
	v_mul_i32_i24_sdwa v26, v22, sext(v18) dst_sel:DWORD dst_unused:UNUSED_PAD src0_sel:BYTE_0 src1_sel:BYTE_0
	v_sub_u32_e32 v29, 0, v26
	v_cndmask_b32_e32 v26, v29, v26, vcc
	v_mul_i32_i24_sdwa v29, v22, sext(v18) dst_sel:DWORD dst_unused:UNUSED_PAD src0_sel:BYTE_1 src1_sel:BYTE_1
	v_and_b32_e32 v30, 2, v28
	v_cmp_eq_u16_e32 vcc, 0, v30
	v_sub_u32_e32 v30, 0, v29
	s_nop 0
	v_cndmask_b32_e32 v29, v30, v29, vcc
	v_add_u32_e32 v26, v29, v26
	v_mul_i32_i24_sdwa v29, v22, sext(v18) dst_sel:DWORD dst_unused:UNUSED_PAD src0_sel:BYTE_2 src1_sel:BYTE_2
	v_and_b32_e32 v30, 4, v28
	v_cmp_eq_u16_e32 vcc, 0, v30
	v_sub_u32_e32 v30, 0, v29
	v_mul_i32_i24_sdwa v18, v22, sext(v18) dst_sel:DWORD dst_unused:UNUSED_PAD src0_sel:BYTE_3 src1_sel:BYTE_3
	v_and_b32_e32 v22, 8, v28
	v_cndmask_b32_e32 v29, v30, v29, vcc
	v_cmp_eq_u16_e32 vcc, 0, v22
	v_sub_u32_e32 v22, 0, v18
	s_nop 0
	v_cndmask_b32_e32 v18, v22, v18, vcc
	v_add3_u32 v18, v26, v29, v18
	v_mul_i32_i24_sdwa v22, v23, sext(v19) dst_sel:DWORD dst_unused:UNUSED_PAD src0_sel:BYTE_0 src1_sel:BYTE_0
	v_and_b32_e32 v26, 16, v28
	v_cmp_eq_u16_e32 vcc, 0, v26
	v_sub_u32_e32 v26, 0, v22
	v_and_b32_e32 v29, 32, v28
	v_cndmask_b32_e32 v22, v26, v22, vcc
	v_mul_i32_i24_sdwa v26, v23, sext(v19) dst_sel:DWORD dst_unused:UNUSED_PAD src0_sel:BYTE_1 src1_sel:BYTE_1
	v_cmp_eq_u16_e32 vcc, 0, v29
	v_sub_u32_e32 v29, 0, v26
	s_nop 0
	v_cndmask_b32_e32 v26, v29, v26, vcc
	v_add3_u32 v18, v18, v22, v26
	v_mul_i32_i24_sdwa v22, v23, sext(v19) dst_sel:DWORD dst_unused:UNUSED_PAD src0_sel:BYTE_2 src1_sel:BYTE_2
	v_cmp_gt_u32_e32 vcc, 64, v27
	v_sub_u32_e32 v26, 0, v22
	v_mul_i32_i24_sdwa v19, v23, sext(v19) dst_sel:DWORD dst_unused:UNUSED_PAD src0_sel:BYTE_3 src1_sel:BYTE_3
	v_cndmask_b32_e32 v22, v26, v22, vcc
	v_sub_u32_e32 v23, 0, v19
	v_cmp_gt_i16_e32 vcc, 0, v28
	v_bfe_u32 v26, v17, 7, 7
	s_nop 0
	v_cndmask_b32_e32 v19, v19, v23, vcc
	v_add3_u32 v22, v18, v22, v19
	v_lshlrev_b32_sdwa v23, v16, v25 dst_sel:DWORD dst_unused:UNUSED_PAD src0_sel:DWORD src1_sel:BYTE_1
	global_load_sbyte v27, v26, s[12:13]
	global_load_dwordx2 v[18:19], v23, s[10:11]
	s_waitcnt vmcnt(1)
	v_and_b32_e32 v28, 1, v27
	s_waitcnt vmcnt(0)
	v_mul_i32_i24_sdwa v23, v18, sext(v20) dst_sel:DWORD dst_unused:UNUSED_PAD src0_sel:BYTE_0 src1_sel:BYTE_0
	v_cmp_eq_u16_e32 vcc, 0, v28
	v_sub_u32_e32 v28, 0, v23
	v_and_b32_e32 v29, 2, v27
	v_cndmask_b32_e32 v23, v28, v23, vcc
	v_mul_i32_i24_sdwa v28, v18, sext(v20) dst_sel:DWORD dst_unused:UNUSED_PAD src0_sel:BYTE_1 src1_sel:BYTE_1
	v_cmp_eq_u16_e32 vcc, 0, v29
	v_sub_u32_e32 v29, 0, v28
	s_nop 0
	v_cndmask_b32_e32 v28, v29, v28, vcc
	v_add3_u32 v22, v22, v23, v28
	v_mul_i32_i24_sdwa v23, v18, sext(v20) dst_sel:DWORD dst_unused:UNUSED_PAD src0_sel:BYTE_2 src1_sel:BYTE_2
	v_and_b32_e32 v28, 4, v27
	v_cmp_eq_u16_e32 vcc, 0, v28
	v_sub_u32_e32 v28, 0, v23
	v_mul_i32_i24_sdwa v18, v18, sext(v20) dst_sel:DWORD dst_unused:UNUSED_PAD src0_sel:BYTE_3 src1_sel:BYTE_3
	v_and_b32_e32 v20, 8, v27
	v_cndmask_b32_e32 v23, v28, v23, vcc
	v_cmp_eq_u16_e32 vcc, 0, v20
	v_sub_u32_e32 v20, 0, v18
	s_nop 0
	v_cndmask_b32_e32 v18, v20, v18, vcc
	v_add3_u32 v18, v22, v23, v18
	v_mul_i32_i24_sdwa v20, v19, sext(v21) dst_sel:DWORD dst_unused:UNUSED_PAD src0_sel:BYTE_0 src1_sel:BYTE_0
	v_and_b32_e32 v22, 16, v27
	v_cmp_eq_u16_e32 vcc, 0, v22
	v_sub_u32_e32 v22, 0, v20
	v_and_b32_e32 v23, 32, v27
	v_cndmask_b32_e32 v20, v22, v20, vcc
	v_mul_i32_i24_sdwa v22, v19, sext(v21) dst_sel:DWORD dst_unused:UNUSED_PAD src0_sel:BYTE_1 src1_sel:BYTE_1
	v_cmp_eq_u16_e32 vcc, 0, v23
	v_sub_u32_e32 v23, 0, v22
	s_nop 0
	v_cndmask_b32_e32 v22, v23, v22, vcc
	v_add3_u32 v18, v18, v20, v22
	v_mul_i32_i24_sdwa v20, v19, sext(v21) dst_sel:DWORD dst_unused:UNUSED_PAD src0_sel:BYTE_2 src1_sel:BYTE_2
	v_cmp_gt_u32_e32 vcc, 64, v26
	v_sub_u32_e32 v22, 0, v20
	v_mul_i32_i24_sdwa v19, v19, sext(v21) dst_sel:DWORD dst_unused:UNUSED_PAD src0_sel:BYTE_3 src1_sel:BYTE_3
	v_cndmask_b32_e32 v20, v22, v20, vcc
	v_sub_u32_e32 v21, 0, v19
	v_cmp_gt_i16_e32 vcc, 0, v27
	v_lshlrev_b32_sdwa v27, v16, v25 dst_sel:DWORD dst_unused:UNUSED_PAD src0_sel:DWORD src1_sel:BYTE_2
	s_nop 0
	v_cndmask_b32_e32 v19, v19, v21, vcc
	v_add3_u32 v26, v18, v20, v19
	global_load_sbyte v28, v24, s[12:13]
	global_load_dwordx4 v[18:21], v[6:7], off offset:20
	global_load_dwordx2 v[22:23], v27, s[10:11]
	s_waitcnt vmcnt(2)
	v_and_b32_e32 v29, 1, v28
	v_cmp_eq_u16_e32 vcc, 0, v29
	s_waitcnt vmcnt(0)
	v_mul_i32_i24_sdwa v27, v22, sext(v18) dst_sel:DWORD dst_unused:UNUSED_PAD src0_sel:BYTE_0 src1_sel:BYTE_0
	v_sub_u32_e32 v29, 0, v27
	v_cndmask_b32_e32 v27, v29, v27, vcc
	v_mul_i32_i24_sdwa v29, v22, sext(v18) dst_sel:DWORD dst_unused:UNUSED_PAD src0_sel:BYTE_1 src1_sel:BYTE_1
	v_and_b32_e32 v30, 2, v28
	v_cmp_eq_u16_e32 vcc, 0, v30
	v_sub_u32_e32 v30, 0, v29
	s_nop 0
	v_cndmask_b32_e32 v29, v30, v29, vcc
	v_add3_u32 v26, v26, v27, v29
	v_mul_i32_i24_sdwa v27, v22, sext(v18) dst_sel:DWORD dst_unused:UNUSED_PAD src0_sel:BYTE_2 src1_sel:BYTE_2
	v_and_b32_e32 v29, 4, v28
	v_cmp_eq_u16_e32 vcc, 0, v29
	v_sub_u32_e32 v29, 0, v27
	v_mul_i32_i24_sdwa v18, v22, sext(v18) dst_sel:DWORD dst_unused:UNUSED_PAD src0_sel:BYTE_3 src1_sel:BYTE_3
	v_and_b32_e32 v22, 8, v28
	v_cndmask_b32_e32 v27, v29, v27, vcc
	v_cmp_eq_u16_e32 vcc, 0, v22
	v_sub_u32_e32 v22, 0, v18
	s_nop 0
	v_cndmask_b32_e32 v18, v22, v18, vcc
	v_add3_u32 v18, v26, v27, v18
	v_mul_i32_i24_sdwa v22, v23, sext(v19) dst_sel:DWORD dst_unused:UNUSED_PAD src0_sel:BYTE_0 src1_sel:BYTE_0
	v_and_b32_e32 v26, 16, v28
	v_cmp_eq_u16_e32 vcc, 0, v26
	v_sub_u32_e32 v26, 0, v22
	v_and_b32_e32 v27, 32, v28
	v_cndmask_b32_e32 v22, v26, v22, vcc
	v_mul_i32_i24_sdwa v26, v23, sext(v19) dst_sel:DWORD dst_unused:UNUSED_PAD src0_sel:BYTE_1 src1_sel:BYTE_1
	v_cmp_eq_u16_e32 vcc, 0, v27
	v_sub_u32_e32 v27, 0, v26
	s_nop 0
	v_cndmask_b32_e32 v26, v27, v26, vcc
	v_add3_u32 v18, v18, v22, v26
	v_mul_i32_i24_sdwa v22, v23, sext(v19) dst_sel:DWORD dst_unused:UNUSED_PAD src0_sel:BYTE_2 src1_sel:BYTE_2
	v_cmp_gt_u32_e32 vcc, 64, v24
	v_sub_u32_e32 v24, 0, v22
	v_mul_i32_i24_sdwa v19, v23, sext(v19) dst_sel:DWORD dst_unused:UNUSED_PAD src0_sel:BYTE_3 src1_sel:BYTE_3
	v_cndmask_b32_e32 v22, v24, v22, vcc
	v_sub_u32_e32 v23, 0, v19
	v_cmp_gt_i16_e32 vcc, 0, v28
	v_bfe_u32 v24, v17, 21, 7
	v_lshrrev_b32_e32 v17, 28, v17
	v_cndmask_b32_e32 v19, v19, v23, vcc
	v_add3_u32 v22, v18, v22, v19
	v_lshlrev_b32_sdwa v23, v16, v25 dst_sel:DWORD dst_unused:UNUSED_PAD src0_sel:DWORD src1_sel:BYTE_3
	global_load_sbyte v25, v24, s[12:13]
	global_load_dwordx2 v[18:19], v23, s[10:11]
	s_waitcnt vmcnt(1)
	v_and_b32_e32 v26, 1, v25
	global_load_ushort v8, v[8:9], off
	s_waitcnt vmcnt(1)
	v_mul_i32_i24_sdwa v23, v18, sext(v20) dst_sel:DWORD dst_unused:UNUSED_PAD src0_sel:BYTE_0 src1_sel:BYTE_0
	global_load_ushort v6, v[6:7], off
	v_cmp_eq_u16_e32 vcc, 0, v26
	v_sub_u32_e32 v26, 0, v23
	v_and_b32_e32 v27, 2, v25
	v_cndmask_b32_e32 v23, v26, v23, vcc
	v_mul_i32_i24_sdwa v26, v18, sext(v20) dst_sel:DWORD dst_unused:UNUSED_PAD src0_sel:BYTE_1 src1_sel:BYTE_1
	v_cmp_eq_u16_e32 vcc, 0, v27
	v_sub_u32_e32 v27, 0, v26
	v_cvt_f32_ubyte0_e32 v9, v17
	v_cndmask_b32_e32 v26, v27, v26, vcc
	v_add3_u32 v22, v22, v23, v26
	v_mul_i32_i24_sdwa v23, v18, sext(v20) dst_sel:DWORD dst_unused:UNUSED_PAD src0_sel:BYTE_2 src1_sel:BYTE_2
	v_and_b32_e32 v26, 4, v25
	v_cmp_eq_u16_e32 vcc, 0, v26
	v_sub_u32_e32 v26, 0, v23
	v_mul_i32_i24_sdwa v18, v18, sext(v20) dst_sel:DWORD dst_unused:UNUSED_PAD src0_sel:BYTE_3 src1_sel:BYTE_3
	v_and_b32_e32 v20, 8, v25
	v_cndmask_b32_e32 v23, v26, v23, vcc
	v_cmp_eq_u16_e32 vcc, 0, v20
	v_sub_u32_e32 v20, 0, v18
	v_add_f32_e32 v9, 0.5, v9
	v_cndmask_b32_e32 v18, v20, v18, vcc
	v_add3_u32 v18, v22, v23, v18
	v_mul_i32_i24_sdwa v20, v19, sext(v21) dst_sel:DWORD dst_unused:UNUSED_PAD src0_sel:BYTE_0 src1_sel:BYTE_0
	v_and_b32_e32 v22, 16, v25
	v_cmp_eq_u16_e32 vcc, 0, v22
	v_sub_u32_e32 v22, 0, v20
	v_and_b32_e32 v23, 32, v25
	v_cndmask_b32_e32 v20, v22, v20, vcc
	v_mul_i32_i24_sdwa v22, v19, sext(v21) dst_sel:DWORD dst_unused:UNUSED_PAD src0_sel:BYTE_1 src1_sel:BYTE_1
	v_cmp_eq_u16_e32 vcc, 0, v23
	v_sub_u32_e32 v23, 0, v22
	s_waitcnt vmcnt(1)
	v_cvt_f32_f16_e32 v8, v8
	v_cndmask_b32_e32 v22, v23, v22, vcc
	v_add3_u32 v18, v18, v20, v22
	v_mul_i32_i24_sdwa v20, v19, sext(v21) dst_sel:DWORD dst_unused:UNUSED_PAD src0_sel:BYTE_2 src1_sel:BYTE_2
	v_cmp_gt_u32_e32 vcc, 64, v24
	v_sub_u32_e32 v22, 0, v20
	v_mul_i32_i24_sdwa v19, v19, sext(v21) dst_sel:DWORD dst_unused:UNUSED_PAD src0_sel:BYTE_3 src1_sel:BYTE_3
	v_cndmask_b32_e32 v20, v22, v20, vcc
	v_sub_u32_e32 v21, 0, v19
	v_cmp_gt_i16_e32 vcc, 0, v25
	s_waitcnt vmcnt(0)
	v_cvt_f32_f16_e32 v6, v6
	v_mul_f32_e32 v8, v9, v8
	v_cndmask_b32_e32 v19, v19, v21, vcc
	v_add3_u32 v18, v18, v20, v19
	v_cvt_f32_i32_e32 v7, v18
	v_mul_f32_e32 v6, v8, v6
	v_mul_f32_e32 v6, 0x3e800000, v6
	v_cmp_le_u32_e32 vcc, s2, v12
	v_fmac_f32_e32 v13, v6, v7
	s_or_b64 s[0:1], vcc, s[0:1]
	s_andn2_b64 exec, exec, s[0:1]
	s_cbranch_execnz .LBB88_3
; %bb.4:
	s_or_b64 exec, exec, s[0:1]
.LBB88_5:
	s_or_b64 exec, exec, s[8:9]
	v_mbcnt_lo_u32_b32 v0, -1, 0
	v_mbcnt_hi_u32_b32 v1, -1, v0
	v_and_b32_e32 v0, 64, v1
	v_add_u32_e32 v2, 64, v0
	v_xor_b32_e32 v0, 32, v1
	v_cmp_lt_i32_e32 vcc, v0, v2
	v_xor_b32_e32 v3, 16, v1
	v_xor_b32_e32 v4, 8, v1
	v_cndmask_b32_e32 v0, v1, v0, vcc
	v_lshlrev_b32_e32 v0, 2, v0
	ds_bpermute_b32 v0, v0, v13
	v_cmp_lt_i32_e32 vcc, v3, v2
	s_waitcnt lgkmcnt(0)
	v_add_f32_e32 v0, v13, v0
	v_cndmask_b32_e32 v3, v1, v3, vcc
	v_lshlrev_b32_e32 v3, 2, v3
	ds_bpermute_b32 v3, v3, v0
	v_cmp_lt_i32_e32 vcc, v4, v2
	s_waitcnt lgkmcnt(0)
	v_add_f32_e32 v0, v0, v3
	v_cndmask_b32_e32 v3, v1, v4, vcc
	v_lshlrev_b32_e32 v3, 2, v3
	ds_bpermute_b32 v3, v3, v0
	v_xor_b32_e32 v4, 4, v1
	v_cmp_lt_i32_e32 vcc, v4, v2
	s_waitcnt lgkmcnt(0)
	v_add_f32_e32 v0, v0, v3
	v_cndmask_b32_e32 v3, v1, v4, vcc
	v_lshlrev_b32_e32 v3, 2, v3
	ds_bpermute_b32 v3, v3, v0
	v_xor_b32_e32 v4, 2, v1
	v_cmp_lt_i32_e32 vcc, v4, v2
	s_waitcnt lgkmcnt(0)
	v_add_f32_e32 v0, v0, v3
	v_cndmask_b32_e32 v3, v1, v4, vcc
	v_lshlrev_b32_e32 v3, 2, v3
	ds_bpermute_b32 v3, v3, v0
	v_xor_b32_e32 v4, 1, v1
	v_cmp_lt_i32_e32 vcc, v4, v2
	s_waitcnt lgkmcnt(0)
	v_add_f32_e32 v0, v0, v3
	v_cndmask_b32_e32 v1, v1, v4, vcc
	v_lshlrev_b32_e32 v1, 2, v1
	ds_bpermute_b32 v1, v1, v0
	v_cmp_eq_u32_e32 vcc, 0, v11
	s_and_b64 exec, exec, vcc
	s_cbranch_execz .LBB88_7
; %bb.6:
	s_waitcnt lgkmcnt(0)
	v_add_f32_e32 v0, v0, v1
	v_cvt_f16_f32_e32 v2, v0
	s_mul_i32 s3, s3, s5
	v_add_u32_e32 v0, s3, v10
	v_mov_b32_e32 v1, 0
	v_lshl_add_u64 v[0:1], v[0:1], 1, s[6:7]
	global_store_short v[0:1], v2, off
.LBB88_7:
	s_endpgm
	.section	.rodata,"a",@progbits
	.p2align	6, 0x0
	.amdhsa_kernel _ZL13mul_mat_vec_qIN3c104HalfELi256ELi8E13block_iq2_xxsLi1EXadL_ZL20vec_dot_iq2_xxs_q8_1PKvPK10block_q8_1RKiEEEvS4_S4_PT_iii
		.amdhsa_group_segment_fixed_size 0
		.amdhsa_private_segment_fixed_size 0
		.amdhsa_kernarg_size 296
		.amdhsa_user_sgpr_count 2
		.amdhsa_user_sgpr_dispatch_ptr 0
		.amdhsa_user_sgpr_queue_ptr 0
		.amdhsa_user_sgpr_kernarg_segment_ptr 1
		.amdhsa_user_sgpr_dispatch_id 0
		.amdhsa_user_sgpr_kernarg_preload_length 0
		.amdhsa_user_sgpr_kernarg_preload_offset 0
		.amdhsa_user_sgpr_private_segment_size 0
		.amdhsa_uses_dynamic_stack 0
		.amdhsa_enable_private_segment 0
		.amdhsa_system_sgpr_workgroup_id_x 1
		.amdhsa_system_sgpr_workgroup_id_y 1
		.amdhsa_system_sgpr_workgroup_id_z 0
		.amdhsa_system_sgpr_workgroup_info 0
		.amdhsa_system_vgpr_workitem_id 1
		.amdhsa_next_free_vgpr 31
		.amdhsa_next_free_sgpr 16
		.amdhsa_accum_offset 32
		.amdhsa_reserve_vcc 1
		.amdhsa_float_round_mode_32 0
		.amdhsa_float_round_mode_16_64 0
		.amdhsa_float_denorm_mode_32 3
		.amdhsa_float_denorm_mode_16_64 3
		.amdhsa_dx10_clamp 1
		.amdhsa_ieee_mode 1
		.amdhsa_fp16_overflow 0
		.amdhsa_tg_split 0
		.amdhsa_exception_fp_ieee_invalid_op 0
		.amdhsa_exception_fp_denorm_src 0
		.amdhsa_exception_fp_ieee_div_zero 0
		.amdhsa_exception_fp_ieee_overflow 0
		.amdhsa_exception_fp_ieee_underflow 0
		.amdhsa_exception_fp_ieee_inexact 0
		.amdhsa_exception_int_div_zero 0
	.end_amdhsa_kernel
	.section	.text._ZL13mul_mat_vec_qIN3c104HalfELi256ELi8E13block_iq2_xxsLi1EXadL_ZL20vec_dot_iq2_xxs_q8_1PKvPK10block_q8_1RKiEEEvS4_S4_PT_iii,"axG",@progbits,_ZL13mul_mat_vec_qIN3c104HalfELi256ELi8E13block_iq2_xxsLi1EXadL_ZL20vec_dot_iq2_xxs_q8_1PKvPK10block_q8_1RKiEEEvS4_S4_PT_iii,comdat
.Lfunc_end88:
	.size	_ZL13mul_mat_vec_qIN3c104HalfELi256ELi8E13block_iq2_xxsLi1EXadL_ZL20vec_dot_iq2_xxs_q8_1PKvPK10block_q8_1RKiEEEvS4_S4_PT_iii, .Lfunc_end88-_ZL13mul_mat_vec_qIN3c104HalfELi256ELi8E13block_iq2_xxsLi1EXadL_ZL20vec_dot_iq2_xxs_q8_1PKvPK10block_q8_1RKiEEEvS4_S4_PT_iii
                                        ; -- End function
	.section	.AMDGPU.csdata,"",@progbits
; Kernel info:
; codeLenInByte = 1780
; NumSgprs: 22
; NumVgprs: 31
; NumAgprs: 0
; TotalNumVgprs: 31
; ScratchSize: 0
; MemoryBound: 0
; FloatMode: 240
; IeeeMode: 1
; LDSByteSize: 0 bytes/workgroup (compile time only)
; SGPRBlocks: 2
; VGPRBlocks: 3
; NumSGPRsForWavesPerEU: 22
; NumVGPRsForWavesPerEU: 31
; AccumOffset: 32
; Occupancy: 8
; WaveLimiterHint : 0
; COMPUTE_PGM_RSRC2:SCRATCH_EN: 0
; COMPUTE_PGM_RSRC2:USER_SGPR: 2
; COMPUTE_PGM_RSRC2:TRAP_HANDLER: 0
; COMPUTE_PGM_RSRC2:TGID_X_EN: 1
; COMPUTE_PGM_RSRC2:TGID_Y_EN: 1
; COMPUTE_PGM_RSRC2:TGID_Z_EN: 0
; COMPUTE_PGM_RSRC2:TIDIG_COMP_CNT: 1
; COMPUTE_PGM_RSRC3_GFX90A:ACCUM_OFFSET: 7
; COMPUTE_PGM_RSRC3_GFX90A:TG_SPLIT: 0
	.section	.text._ZL13mul_mat_vec_qIN3c104HalfELi256ELi8E12block_iq2_xsLi1EXadL_ZL19vec_dot_iq2_xs_q8_1PKvPK10block_q8_1RKiEEEvS4_S4_PT_iii,"axG",@progbits,_ZL13mul_mat_vec_qIN3c104HalfELi256ELi8E12block_iq2_xsLi1EXadL_ZL19vec_dot_iq2_xs_q8_1PKvPK10block_q8_1RKiEEEvS4_S4_PT_iii,comdat
	.globl	_ZL13mul_mat_vec_qIN3c104HalfELi256ELi8E12block_iq2_xsLi1EXadL_ZL19vec_dot_iq2_xs_q8_1PKvPK10block_q8_1RKiEEEvS4_S4_PT_iii ; -- Begin function _ZL13mul_mat_vec_qIN3c104HalfELi256ELi8E12block_iq2_xsLi1EXadL_ZL19vec_dot_iq2_xs_q8_1PKvPK10block_q8_1RKiEEEvS4_S4_PT_iii
	.p2align	8
	.type	_ZL13mul_mat_vec_qIN3c104HalfELi256ELi8E12block_iq2_xsLi1EXadL_ZL19vec_dot_iq2_xs_q8_1PKvPK10block_q8_1RKiEEEvS4_S4_PT_iii,@function
_ZL13mul_mat_vec_qIN3c104HalfELi256ELi8E12block_iq2_xsLi1EXadL_ZL19vec_dot_iq2_xs_q8_1PKvPK10block_q8_1RKiEEEvS4_S4_PT_iii: ; @_ZL13mul_mat_vec_qIN3c104HalfELi256ELi8E12block_iq2_xsLi1EXadL_ZL19vec_dot_iq2_xs_q8_1PKvPK10block_q8_1RKiEEEvS4_S4_PT_iii
; %bb.0:
	s_load_dword s8, s[0:1], 0x34
	s_load_dwordx4 s[4:7], s[0:1], 0x18
	v_bfe_u32 v1, v0, 10, 10
	s_waitcnt lgkmcnt(0)
	s_lshr_b32 s7, s8, 16
	s_mul_i32 s2, s2, s7
	v_add_u32_e32 v14, s2, v1
	s_cmp_lt_u32 s3, s6
	v_cmp_gt_u32_e32 vcc, s5, v14
	s_cselect_b64 s[6:7], -1, 0
	s_and_b64 s[6:7], s[6:7], vcc
	s_and_saveexec_b64 s[8:9], s[6:7]
	s_cbranch_execz .LBB89_7
; %bb.1:
	s_load_dwordx2 s[6:7], s[0:1], 0x10
	s_ashr_i32 s2, s4, 31
	s_lshr_b32 s2, s2, 24
	s_add_i32 s2, s4, s2
	v_and_b32_e32 v15, 0x3ff, v0
	s_ashr_i32 s2, s2, 8
	v_lshrrev_b32_e32 v16, 3, v15
	v_cmp_gt_u32_e32 vcc, s2, v16
	v_mov_b32_e32 v17, 0
	s_and_saveexec_b64 s[8:9], vcc
	s_cbranch_execz .LBB89_5
; %bb.2:
	s_load_dwordx4 s[12:15], s[0:1], 0x0
	s_add_i32 s0, s4, 0x1ff
	s_ashr_i32 s1, s0, 31
	s_lshr_b32 s1, s1, 23
	s_add_i32 s0, s0, s1
	s_ashr_i32 s0, s0, 9
	v_and_b32_e32 v0, 7, v15
	s_mul_i32 s4, s3, s0
	v_lshlrev_b32_e32 v6, 2, v0
	v_mov_b32_e32 v1, 0
	s_waitcnt lgkmcnt(0)
	v_mad_u64_u32 v[2:3], s[0:1], v0, 36, s[14:15]
	v_lshlrev_b32_e32 v4, 3, v16
	v_mul_lo_u32 v18, v14, s2
	v_lshl_add_u32 v19, s4, 4, v4
	s_mov_b64 s[0:1], 0
	s_movk_i32 s4, 0x4a
	v_mov_b64_e32 v[4:5], s[12:13]
	v_lshlrev_b32_e32 v6, 1, v6
	v_mov_b32_e32 v7, v1
	v_mov_b32_e32 v17, v1
	s_getpc_b64 s[12:13]
	s_add_u32 s12, s12, _ZL12ksigns_iq2xs@rel32@lo+4
	s_addc_u32 s13, s13, _ZL12ksigns_iq2xs@rel32@hi+12
.LBB89_3:                               ; =>This Inner Loop Header: Depth=1
	v_add_u32_e32 v8, v18, v16
	v_mad_i64_i32 v[10:11], s[10:11], v8, s4, v[4:5]
	v_lshl_add_u64 v[24:25], v[10:11], 0, v[0:1]
	v_lshl_add_u64 v[22:23], v[10:11], 0, v[6:7]
	global_load_ubyte v20, v[24:25], off offset:66
	global_load_dwordx2 v[12:13], v[22:23], off offset:2
	v_mad_i64_i32 v[8:9], s[10:11], v19, 36, v[2:3]
	s_getpc_b64 s[10:11]
	s_add_u32 s10, s10, _ZL10iq2xs_grid@rel32@lo+4
	s_addc_u32 s11, s11, _ZL10iq2xs_grid@rel32@hi+12
	v_add_u32_e32 v16, 8, v16
	v_add_u32_e32 v19, 64, v19
	s_waitcnt vmcnt(0)
	v_and_b32_e32 v21, 0x1ff, v12
	v_bfe_u32 v28, v12, 9, 7
	v_lshlrev_b32_e32 v21, 3, v21
	global_load_sbyte v29, v28, s[12:13]
	global_load_dwordx4 v[22:25], v[8:9], off offset:4
	global_load_dwordx2 v[26:27], v21, s[10:11]
	v_bfe_u32 v36, v13, 9, 7
	s_waitcnt vmcnt(2)
	v_and_b32_e32 v28, 1, v29
	v_cmp_eq_u16_e32 vcc, 0, v28
	s_waitcnt vmcnt(0)
	v_mul_i32_i24_sdwa v21, v26, sext(v22) dst_sel:DWORD dst_unused:UNUSED_PAD src0_sel:BYTE_0 src1_sel:BYTE_0
	v_sub_u32_e32 v28, 0, v21
	v_cndmask_b32_e32 v21, v28, v21, vcc
	v_mul_i32_i24_sdwa v28, v26, sext(v22) dst_sel:DWORD dst_unused:UNUSED_PAD src0_sel:BYTE_1 src1_sel:BYTE_1
	v_and_b32_e32 v30, 2, v29
	v_cmp_eq_u16_e32 vcc, 0, v30
	v_sub_u32_e32 v30, 0, v28
	s_nop 0
	v_cndmask_b32_e32 v28, v30, v28, vcc
	v_add_u32_e32 v21, v28, v21
	v_mul_i32_i24_sdwa v28, v26, sext(v22) dst_sel:DWORD dst_unused:UNUSED_PAD src0_sel:BYTE_2 src1_sel:BYTE_2
	v_and_b32_e32 v30, 4, v29
	v_cmp_eq_u16_e32 vcc, 0, v30
	v_sub_u32_e32 v30, 0, v28
	v_mul_i32_i24_sdwa v22, v26, sext(v22) dst_sel:DWORD dst_unused:UNUSED_PAD src0_sel:BYTE_3 src1_sel:BYTE_3
	v_and_b32_e32 v26, 8, v29
	v_cndmask_b32_e32 v28, v30, v28, vcc
	v_cmp_eq_u16_e32 vcc, 0, v26
	v_sub_u32_e32 v26, 0, v22
	s_nop 0
	v_cndmask_b32_e32 v22, v26, v22, vcc
	v_add3_u32 v21, v21, v28, v22
	v_mul_i32_i24_sdwa v22, v27, sext(v23) dst_sel:DWORD dst_unused:UNUSED_PAD src0_sel:BYTE_0 src1_sel:BYTE_0
	v_and_b32_e32 v26, 16, v29
	v_cmp_eq_u16_e32 vcc, 0, v26
	v_sub_u32_e32 v26, 0, v22
	v_and_b32_e32 v28, 32, v29
	v_cndmask_b32_e32 v22, v26, v22, vcc
	v_mul_i32_i24_sdwa v26, v27, sext(v23) dst_sel:DWORD dst_unused:UNUSED_PAD src0_sel:BYTE_1 src1_sel:BYTE_1
	v_cmp_eq_u16_e32 vcc, 0, v28
	v_sub_u32_e32 v28, 0, v26
	s_nop 0
	v_cndmask_b32_e32 v26, v28, v26, vcc
	v_add3_u32 v21, v21, v22, v26
	v_mul_i32_i24_sdwa v22, v27, sext(v23) dst_sel:DWORD dst_unused:UNUSED_PAD src0_sel:BYTE_2 src1_sel:BYTE_2
	v_sub_u32_e32 v26, 0, v22
	v_cmp_gt_i16_e32 vcc, 0, v12
	v_mul_i32_i24_sdwa v23, v27, sext(v23) dst_sel:DWORD dst_unused:UNUSED_PAD src0_sel:BYTE_3 src1_sel:BYTE_3
	v_lshrrev_b32_e32 v27, 25, v12
	v_cndmask_b32_e32 v22, v22, v26, vcc
	v_sub_u32_e32 v26, 0, v23
	v_cmp_gt_i16_e32 vcc, 0, v29
	s_nop 1
	v_cndmask_b32_e32 v23, v23, v26, vcc
	v_add3_u32 v21, v21, v22, v23
	v_lshrrev_b32_e32 v22, 13, v12
	v_and_b32_e32 v26, 0xff8, v22
	global_load_sbyte v28, v27, s[12:13]
	global_load_dwordx2 v[22:23], v26, s[10:11]
	s_waitcnt vmcnt(1)
	v_and_b32_e32 v27, 1, v28
	s_waitcnt vmcnt(0)
	v_mul_i32_i24_sdwa v26, v22, sext(v24) dst_sel:DWORD dst_unused:UNUSED_PAD src0_sel:BYTE_0 src1_sel:BYTE_0
	v_cmp_eq_u16_e32 vcc, 0, v27
	v_sub_u32_e32 v27, 0, v26
	s_nop 0
	v_cndmask_b32_e32 v29, v27, v26, vcc
	v_mul_i32_i24_sdwa v26, v22, sext(v24) dst_sel:DWORD dst_unused:UNUSED_PAD src0_sel:BYTE_1 src1_sel:BYTE_1
	v_and_b32_e32 v27, 2, v28
	v_cmp_eq_u16_e32 vcc, 0, v27
	v_sub_u32_e32 v27, 0, v26
	s_nop 0
	v_cndmask_b32_e32 v30, v27, v26, vcc
	v_mul_i32_i24_sdwa v26, v22, sext(v24) dst_sel:DWORD dst_unused:UNUSED_PAD src0_sel:BYTE_2 src1_sel:BYTE_2
	v_and_b32_e32 v27, 4, v28
	v_cmp_eq_u16_e32 vcc, 0, v27
	v_sub_u32_e32 v27, 0, v26
	v_mul_i32_i24_sdwa v22, v22, sext(v24) dst_sel:DWORD dst_unused:UNUSED_PAD src0_sel:BYTE_3 src1_sel:BYTE_3
	v_and_b32_e32 v24, 8, v28
	v_cndmask_b32_e32 v31, v27, v26, vcc
	v_cmp_eq_u16_e32 vcc, 0, v24
	v_sub_u32_e32 v24, 0, v22
	v_add3_u32 v21, v21, v29, v30
	v_cndmask_b32_e32 v32, v24, v22, vcc
	v_mul_i32_i24_sdwa v22, v23, sext(v25) dst_sel:DWORD dst_unused:UNUSED_PAD src0_sel:BYTE_0 src1_sel:BYTE_0
	v_and_b32_e32 v24, 16, v28
	v_cmp_eq_u16_e32 vcc, 0, v24
	v_sub_u32_e32 v24, 0, v22
	v_add3_u32 v21, v21, v31, v32
	v_cndmask_b32_e32 v33, v24, v22, vcc
	v_mul_i32_i24_sdwa v22, v23, sext(v25) dst_sel:DWORD dst_unused:UNUSED_PAD src0_sel:BYTE_1 src1_sel:BYTE_1
	v_and_b32_e32 v24, 32, v28
	v_cmp_eq_u16_e32 vcc, 0, v24
	v_sub_u32_e32 v24, 0, v22
	s_nop 0
	v_cndmask_b32_e32 v34, v24, v22, vcc
	v_mul_i32_i24_sdwa v22, v23, sext(v25) dst_sel:DWORD dst_unused:UNUSED_PAD src0_sel:BYTE_2 src1_sel:BYTE_2
	v_sub_u32_e32 v24, 0, v22
	v_cmp_lt_i16_sdwa vcc, v12, v1 src0_sel:WORD_1 src1_sel:DWORD
	v_add3_u32 v21, v21, v33, v34
	s_nop 0
	v_cndmask_b32_e32 v12, v22, v24, vcc
	v_mul_i32_i24_sdwa v22, v23, sext(v25) dst_sel:DWORD dst_unused:UNUSED_PAD src0_sel:BYTE_3 src1_sel:BYTE_3
	v_sub_u32_e32 v23, 0, v22
	v_cmp_gt_i16_e32 vcc, 0, v28
	s_nop 1
	v_cndmask_b32_e32 v28, v22, v23, vcc
	v_and_b32_e32 v22, 0x1ff, v13
	v_lshlrev_b32_e32 v35, 3, v22
	global_load_sbyte v37, v36, s[12:13]
	global_load_dwordx4 v[22:25], v[8:9], off offset:20
	global_load_dwordx2 v[26:27], v35, s[10:11]
	v_add3_u32 v12, v21, v12, v28
	v_lshrrev_b16_e32 v21, 4, v20
	v_and_b32_e32 v20, 15, v20
	s_waitcnt vmcnt(2)
	v_and_b32_e32 v36, 1, v37
	v_cmp_eq_u16_e32 vcc, 0, v36
	s_waitcnt vmcnt(0)
	v_mul_i32_i24_sdwa v35, v26, sext(v22) dst_sel:DWORD dst_unused:UNUSED_PAD src0_sel:BYTE_0 src1_sel:BYTE_0
	v_sub_u32_e32 v36, 0, v35
	v_cndmask_b32_e32 v35, v36, v35, vcc
	v_mul_i32_i24_sdwa v36, v26, sext(v22) dst_sel:DWORD dst_unused:UNUSED_PAD src0_sel:BYTE_1 src1_sel:BYTE_1
	v_and_b32_e32 v38, 2, v37
	v_cmp_eq_u16_e32 vcc, 0, v38
	v_sub_u32_e32 v38, 0, v36
	s_nop 0
	v_cndmask_b32_e32 v36, v38, v36, vcc
	v_add_u32_e32 v35, v36, v35
	v_mul_i32_i24_sdwa v36, v26, sext(v22) dst_sel:DWORD dst_unused:UNUSED_PAD src0_sel:BYTE_2 src1_sel:BYTE_2
	v_and_b32_e32 v38, 4, v37
	v_cmp_eq_u16_e32 vcc, 0, v38
	v_sub_u32_e32 v38, 0, v36
	v_mul_i32_i24_sdwa v22, v26, sext(v22) dst_sel:DWORD dst_unused:UNUSED_PAD src0_sel:BYTE_3 src1_sel:BYTE_3
	v_and_b32_e32 v26, 8, v37
	v_cndmask_b32_e32 v36, v38, v36, vcc
	v_cmp_eq_u16_e32 vcc, 0, v26
	v_sub_u32_e32 v26, 0, v22
	s_nop 0
	v_cndmask_b32_e32 v22, v26, v22, vcc
	v_add3_u32 v22, v35, v36, v22
	v_mul_i32_i24_sdwa v26, v27, sext(v23) dst_sel:DWORD dst_unused:UNUSED_PAD src0_sel:BYTE_0 src1_sel:BYTE_0
	v_and_b32_e32 v35, 16, v37
	v_cmp_eq_u16_e32 vcc, 0, v35
	v_sub_u32_e32 v35, 0, v26
	v_and_b32_e32 v36, 32, v37
	v_cndmask_b32_e32 v26, v35, v26, vcc
	v_mul_i32_i24_sdwa v35, v27, sext(v23) dst_sel:DWORD dst_unused:UNUSED_PAD src0_sel:BYTE_1 src1_sel:BYTE_1
	v_cmp_eq_u16_e32 vcc, 0, v36
	v_sub_u32_e32 v36, 0, v35
	s_nop 0
	v_cndmask_b32_e32 v35, v36, v35, vcc
	v_add3_u32 v22, v22, v26, v35
	v_mul_i32_i24_sdwa v26, v27, sext(v23) dst_sel:DWORD dst_unused:UNUSED_PAD src0_sel:BYTE_2 src1_sel:BYTE_2
	v_sub_u32_e32 v35, 0, v26
	v_cmp_gt_i16_e32 vcc, 0, v13
	v_mul_i32_i24_sdwa v23, v27, sext(v23) dst_sel:DWORD dst_unused:UNUSED_PAD src0_sel:BYTE_3 src1_sel:BYTE_3
	v_sub_u32_e32 v27, 0, v23
	v_cndmask_b32_e32 v26, v26, v35, vcc
	v_cmp_gt_i16_e32 vcc, 0, v37
	v_lshrrev_b32_e32 v35, 25, v13
	s_nop 0
	v_cndmask_b32_e32 v23, v23, v27, vcc
	v_add3_u32 v26, v22, v26, v23
	v_lshrrev_b32_e32 v22, 13, v13
	v_and_b32_e32 v27, 0xff8, v22
	global_load_sbyte v36, v35, s[12:13]
	global_load_dwordx2 v[22:23], v27, s[10:11]
	s_waitcnt vmcnt(1)
	v_and_b32_e32 v35, 1, v36
	global_load_ushort v10, v[10:11], off
	s_waitcnt vmcnt(1)
	v_mul_i32_i24_sdwa v27, v22, sext(v24) dst_sel:DWORD dst_unused:UNUSED_PAD src0_sel:BYTE_0 src1_sel:BYTE_0
	global_load_ushort v8, v[8:9], off
	v_cmp_eq_u16_e32 vcc, 0, v35
	v_sub_u32_e32 v35, 0, v27
	v_and_b32_e32 v37, 2, v36
	v_cndmask_b32_e32 v27, v35, v27, vcc
	v_mul_i32_i24_sdwa v35, v22, sext(v24) dst_sel:DWORD dst_unused:UNUSED_PAD src0_sel:BYTE_1 src1_sel:BYTE_1
	v_cmp_eq_u16_e32 vcc, 0, v37
	v_sub_u32_e32 v37, 0, v35
	v_cvt_f32_ubyte0_e32 v11, v21
	v_cndmask_b32_e32 v35, v37, v35, vcc
	v_add3_u32 v26, v26, v27, v35
	v_mul_i32_i24_sdwa v27, v22, sext(v24) dst_sel:DWORD dst_unused:UNUSED_PAD src0_sel:BYTE_2 src1_sel:BYTE_2
	v_and_b32_e32 v35, 4, v36
	v_cmp_eq_u16_e32 vcc, 0, v35
	v_sub_u32_e32 v35, 0, v27
	v_mul_i32_i24_sdwa v22, v22, sext(v24) dst_sel:DWORD dst_unused:UNUSED_PAD src0_sel:BYTE_3 src1_sel:BYTE_3
	v_and_b32_e32 v24, 8, v36
	v_cndmask_b32_e32 v27, v35, v27, vcc
	v_cmp_eq_u16_e32 vcc, 0, v24
	v_sub_u32_e32 v24, 0, v22
	v_cvt_f32_ubyte0_e32 v9, v20
	v_cndmask_b32_e32 v22, v24, v22, vcc
	v_add3_u32 v22, v26, v27, v22
	v_mul_i32_i24_sdwa v24, v23, sext(v25) dst_sel:DWORD dst_unused:UNUSED_PAD src0_sel:BYTE_0 src1_sel:BYTE_0
	v_and_b32_e32 v26, 16, v36
	v_cmp_eq_u16_e32 vcc, 0, v26
	v_sub_u32_e32 v26, 0, v24
	v_and_b32_e32 v27, 32, v36
	v_cndmask_b32_e32 v24, v26, v24, vcc
	v_mul_i32_i24_sdwa v26, v23, sext(v25) dst_sel:DWORD dst_unused:UNUSED_PAD src0_sel:BYTE_1 src1_sel:BYTE_1
	v_cmp_eq_u16_e32 vcc, 0, v27
	v_sub_u32_e32 v27, 0, v26
	v_add_f32_e32 v11, 0.5, v11
	v_cndmask_b32_e32 v26, v27, v26, vcc
	v_add3_u32 v22, v22, v24, v26
	v_mul_i32_i24_sdwa v24, v23, sext(v25) dst_sel:DWORD dst_unused:UNUSED_PAD src0_sel:BYTE_2 src1_sel:BYTE_2
	v_sub_u32_e32 v26, 0, v24
	v_cmp_lt_i16_sdwa vcc, v13, v1 src0_sel:WORD_1 src1_sel:DWORD
	v_mul_i32_i24_sdwa v23, v23, sext(v25) dst_sel:DWORD dst_unused:UNUSED_PAD src0_sel:BYTE_3 src1_sel:BYTE_3
	v_add_f32_e32 v9, 0.5, v9
	v_cndmask_b32_e32 v13, v24, v26, vcc
	v_sub_u32_e32 v24, 0, v23
	v_cmp_gt_i16_e32 vcc, 0, v36
	s_waitcnt vmcnt(1)
	v_cvt_f32_f16_e32 v10, v10
	v_cndmask_b32_e32 v23, v23, v24, vcc
	s_waitcnt vmcnt(0)
	v_cvt_f32_f16_e32 v8, v8
	v_add3_u32 v13, v22, v13, v23
	v_cmp_le_u32_e32 vcc, s2, v16
	s_or_b64 s[0:1], vcc, s[0:1]
	v_mul_f32_e32 v8, v10, v8
	v_cvt_f32_i32_e32 v10, v12
	v_cvt_f32_i32_e32 v12, v13
	v_mul_f32_e32 v8, 0x3e800000, v8
	v_mul_f32_e32 v11, v11, v12
	v_fmac_f32_e32 v11, v9, v10
	v_fmac_f32_e32 v17, v8, v11
	s_andn2_b64 exec, exec, s[0:1]
	s_cbranch_execnz .LBB89_3
; %bb.4:
	s_or_b64 exec, exec, s[0:1]
.LBB89_5:
	s_or_b64 exec, exec, s[8:9]
	v_mbcnt_lo_u32_b32 v0, -1, 0
	v_mbcnt_hi_u32_b32 v1, -1, v0
	v_and_b32_e32 v0, 64, v1
	v_add_u32_e32 v2, 64, v0
	v_xor_b32_e32 v0, 32, v1
	v_cmp_lt_i32_e32 vcc, v0, v2
	v_xor_b32_e32 v3, 16, v1
	v_xor_b32_e32 v4, 8, v1
	v_cndmask_b32_e32 v0, v1, v0, vcc
	v_lshlrev_b32_e32 v0, 2, v0
	ds_bpermute_b32 v0, v0, v17
	v_cmp_lt_i32_e32 vcc, v3, v2
	s_waitcnt lgkmcnt(0)
	v_add_f32_e32 v0, v17, v0
	v_cndmask_b32_e32 v3, v1, v3, vcc
	v_lshlrev_b32_e32 v3, 2, v3
	ds_bpermute_b32 v3, v3, v0
	v_cmp_lt_i32_e32 vcc, v4, v2
	s_waitcnt lgkmcnt(0)
	v_add_f32_e32 v0, v0, v3
	v_cndmask_b32_e32 v3, v1, v4, vcc
	v_lshlrev_b32_e32 v3, 2, v3
	ds_bpermute_b32 v3, v3, v0
	v_xor_b32_e32 v4, 4, v1
	v_cmp_lt_i32_e32 vcc, v4, v2
	s_waitcnt lgkmcnt(0)
	v_add_f32_e32 v0, v0, v3
	v_cndmask_b32_e32 v3, v1, v4, vcc
	v_lshlrev_b32_e32 v3, 2, v3
	ds_bpermute_b32 v3, v3, v0
	v_xor_b32_e32 v4, 2, v1
	;; [unrolled: 7-line block ×3, first 2 shown]
	v_cmp_lt_i32_e32 vcc, v4, v2
	s_waitcnt lgkmcnt(0)
	v_add_f32_e32 v0, v0, v3
	v_cndmask_b32_e32 v1, v1, v4, vcc
	v_lshlrev_b32_e32 v1, 2, v1
	ds_bpermute_b32 v1, v1, v0
	v_cmp_eq_u32_e32 vcc, 0, v15
	s_and_b64 exec, exec, vcc
	s_cbranch_execz .LBB89_7
; %bb.6:
	s_waitcnt lgkmcnt(0)
	v_add_f32_e32 v0, v0, v1
	v_cvt_f16_f32_e32 v2, v0
	s_mul_i32 s3, s3, s5
	v_add_u32_e32 v0, s3, v14
	v_mov_b32_e32 v1, 0
	v_lshl_add_u64 v[0:1], v[0:1], 1, s[6:7]
	global_store_short v[0:1], v2, off
.LBB89_7:
	s_endpgm
	.section	.rodata,"a",@progbits
	.p2align	6, 0x0
	.amdhsa_kernel _ZL13mul_mat_vec_qIN3c104HalfELi256ELi8E12block_iq2_xsLi1EXadL_ZL19vec_dot_iq2_xs_q8_1PKvPK10block_q8_1RKiEEEvS4_S4_PT_iii
		.amdhsa_group_segment_fixed_size 0
		.amdhsa_private_segment_fixed_size 0
		.amdhsa_kernarg_size 296
		.amdhsa_user_sgpr_count 2
		.amdhsa_user_sgpr_dispatch_ptr 0
		.amdhsa_user_sgpr_queue_ptr 0
		.amdhsa_user_sgpr_kernarg_segment_ptr 1
		.amdhsa_user_sgpr_dispatch_id 0
		.amdhsa_user_sgpr_kernarg_preload_length 0
		.amdhsa_user_sgpr_kernarg_preload_offset 0
		.amdhsa_user_sgpr_private_segment_size 0
		.amdhsa_uses_dynamic_stack 0
		.amdhsa_enable_private_segment 0
		.amdhsa_system_sgpr_workgroup_id_x 1
		.amdhsa_system_sgpr_workgroup_id_y 1
		.amdhsa_system_sgpr_workgroup_id_z 0
		.amdhsa_system_sgpr_workgroup_info 0
		.amdhsa_system_vgpr_workitem_id 1
		.amdhsa_next_free_vgpr 39
		.amdhsa_next_free_sgpr 16
		.amdhsa_accum_offset 40
		.amdhsa_reserve_vcc 1
		.amdhsa_float_round_mode_32 0
		.amdhsa_float_round_mode_16_64 0
		.amdhsa_float_denorm_mode_32 3
		.amdhsa_float_denorm_mode_16_64 3
		.amdhsa_dx10_clamp 1
		.amdhsa_ieee_mode 1
		.amdhsa_fp16_overflow 0
		.amdhsa_tg_split 0
		.amdhsa_exception_fp_ieee_invalid_op 0
		.amdhsa_exception_fp_denorm_src 0
		.amdhsa_exception_fp_ieee_div_zero 0
		.amdhsa_exception_fp_ieee_overflow 0
		.amdhsa_exception_fp_ieee_underflow 0
		.amdhsa_exception_fp_ieee_inexact 0
		.amdhsa_exception_int_div_zero 0
	.end_amdhsa_kernel
	.section	.text._ZL13mul_mat_vec_qIN3c104HalfELi256ELi8E12block_iq2_xsLi1EXadL_ZL19vec_dot_iq2_xs_q8_1PKvPK10block_q8_1RKiEEEvS4_S4_PT_iii,"axG",@progbits,_ZL13mul_mat_vec_qIN3c104HalfELi256ELi8E12block_iq2_xsLi1EXadL_ZL19vec_dot_iq2_xs_q8_1PKvPK10block_q8_1RKiEEEvS4_S4_PT_iii,comdat
.Lfunc_end89:
	.size	_ZL13mul_mat_vec_qIN3c104HalfELi256ELi8E12block_iq2_xsLi1EXadL_ZL19vec_dot_iq2_xs_q8_1PKvPK10block_q8_1RKiEEEvS4_S4_PT_iii, .Lfunc_end89-_ZL13mul_mat_vec_qIN3c104HalfELi256ELi8E12block_iq2_xsLi1EXadL_ZL19vec_dot_iq2_xs_q8_1PKvPK10block_q8_1RKiEEEvS4_S4_PT_iii
                                        ; -- End function
	.section	.AMDGPU.csdata,"",@progbits
; Kernel info:
; codeLenInByte = 1800
; NumSgprs: 22
; NumVgprs: 39
; NumAgprs: 0
; TotalNumVgprs: 39
; ScratchSize: 0
; MemoryBound: 0
; FloatMode: 240
; IeeeMode: 1
; LDSByteSize: 0 bytes/workgroup (compile time only)
; SGPRBlocks: 2
; VGPRBlocks: 4
; NumSGPRsForWavesPerEU: 22
; NumVGPRsForWavesPerEU: 39
; AccumOffset: 40
; Occupancy: 8
; WaveLimiterHint : 0
; COMPUTE_PGM_RSRC2:SCRATCH_EN: 0
; COMPUTE_PGM_RSRC2:USER_SGPR: 2
; COMPUTE_PGM_RSRC2:TRAP_HANDLER: 0
; COMPUTE_PGM_RSRC2:TGID_X_EN: 1
; COMPUTE_PGM_RSRC2:TGID_Y_EN: 1
; COMPUTE_PGM_RSRC2:TGID_Z_EN: 0
; COMPUTE_PGM_RSRC2:TIDIG_COMP_CNT: 1
; COMPUTE_PGM_RSRC3_GFX90A:ACCUM_OFFSET: 9
; COMPUTE_PGM_RSRC3_GFX90A:TG_SPLIT: 0
	.section	.text._ZL13mul_mat_vec_qIN3c104HalfELi256ELi8E13block_iq3_xxsLi1EXadL_ZL20vec_dot_iq3_xxs_q8_1PKvPK10block_q8_1RKiEEEvS4_S4_PT_iii,"axG",@progbits,_ZL13mul_mat_vec_qIN3c104HalfELi256ELi8E13block_iq3_xxsLi1EXadL_ZL20vec_dot_iq3_xxs_q8_1PKvPK10block_q8_1RKiEEEvS4_S4_PT_iii,comdat
	.globl	_ZL13mul_mat_vec_qIN3c104HalfELi256ELi8E13block_iq3_xxsLi1EXadL_ZL20vec_dot_iq3_xxs_q8_1PKvPK10block_q8_1RKiEEEvS4_S4_PT_iii ; -- Begin function _ZL13mul_mat_vec_qIN3c104HalfELi256ELi8E13block_iq3_xxsLi1EXadL_ZL20vec_dot_iq3_xxs_q8_1PKvPK10block_q8_1RKiEEEvS4_S4_PT_iii
	.p2align	8
	.type	_ZL13mul_mat_vec_qIN3c104HalfELi256ELi8E13block_iq3_xxsLi1EXadL_ZL20vec_dot_iq3_xxs_q8_1PKvPK10block_q8_1RKiEEEvS4_S4_PT_iii,@function
_ZL13mul_mat_vec_qIN3c104HalfELi256ELi8E13block_iq3_xxsLi1EXadL_ZL20vec_dot_iq3_xxs_q8_1PKvPK10block_q8_1RKiEEEvS4_S4_PT_iii: ; @_ZL13mul_mat_vec_qIN3c104HalfELi256ELi8E13block_iq3_xxsLi1EXadL_ZL20vec_dot_iq3_xxs_q8_1PKvPK10block_q8_1RKiEEEvS4_S4_PT_iii
; %bb.0:
	s_load_dword s8, s[0:1], 0x34
	s_load_dwordx4 s[4:7], s[0:1], 0x18
	v_bfe_u32 v1, v0, 10, 10
	s_waitcnt lgkmcnt(0)
	s_lshr_b32 s7, s8, 16
	s_mul_i32 s2, s2, s7
	v_add_u32_e32 v18, s2, v1
	s_cmp_lt_u32 s3, s6
	v_cmp_gt_u32_e32 vcc, s5, v18
	s_cselect_b64 s[6:7], -1, 0
	s_and_b64 s[6:7], s[6:7], vcc
	s_and_saveexec_b64 s[8:9], s[6:7]
	s_cbranch_execz .LBB90_7
; %bb.1:
	s_load_dwordx2 s[6:7], s[0:1], 0x10
	s_ashr_i32 s2, s4, 31
	s_lshr_b32 s2, s2, 24
	s_add_i32 s2, s4, s2
	v_and_b32_e32 v19, 0x3ff, v0
	s_ashr_i32 s2, s2, 8
	v_lshrrev_b32_e32 v20, 3, v19
	v_cmp_gt_u32_e32 vcc, s2, v20
	v_mov_b32_e32 v21, 0
	s_and_saveexec_b64 s[8:9], vcc
	s_cbranch_execz .LBB90_5
; %bb.2:
	s_load_dwordx4 s[12:15], s[0:1], 0x0
	s_add_i32 s0, s4, 0x1ff
	s_ashr_i32 s1, s0, 31
	s_lshr_b32 s1, s1, 23
	s_add_i32 s0, s0, s1
	s_ashr_i32 s0, s0, 9
	v_and_b32_e32 v1, 7, v19
	s_mul_i32 s4, s3, s0
	v_lshlrev_b32_e32 v8, 3, v1
	v_mov_b32_e32 v9, 0
	v_lshlrev_b32_e32 v0, 1, v1
	s_waitcnt lgkmcnt(0)
	v_mad_u64_u32 v[10:11], s[0:1], v1, 36, s[14:15]
	v_lshlrev_b32_e32 v1, 3, v20
	v_mul_lo_u32 v22, v18, s2
	v_lshl_add_u32 v23, s4, 4, v1
	s_mov_b64 s[0:1], 0
	s_movk_i32 s4, 0x62
	v_mov_b64_e32 v[12:13], s[12:13]
	v_lshlrev_b32_e32 v14, 1, v0
	v_mov_b32_e32 v15, v9
	s_mov_b32 s14, 0xffff
	s_mov_b32 s15, 0xc060c00
	v_mov_b32_e32 v24, 2
	v_mov_b32_e32 v21, v9
	s_getpc_b64 s[12:13]
	s_add_u32 s12, s12, _ZL11iq3xxs_grid@rel32@lo+4
	s_addc_u32 s13, s13, _ZL11iq3xxs_grid@rel32@hi+12
.LBB90_3:                               ; =>This Inner Loop Header: Depth=1
	v_add_u32_e32 v0, v22, v20
	v_mad_i64_i32 v[26:27], s[16:17], v0, s4, v[12:13]
	v_mad_i64_i32 v[16:17], s[10:11], v23, 36, v[10:11]
	v_lshl_add_u64 v[28:29], v[26:27], 0, v[14:15]
	global_load_dword v32, v[16:17], off offset:32
	global_load_dwordx4 v[4:7], v[16:17], off
	global_load_dwordx4 v[0:3], v[16:17], off offset:16
	v_lshl_add_u64 v[16:17], v[26:27], 0, v[8:9]
	global_load_dword v33, v[28:29], off offset:66
	global_load_dwordx2 v[30:31], v[16:17], off offset:2
	global_load_ushort v34, v[26:27], off
	s_getpc_b64 s[10:11]
	s_add_u32 s10, s10, _ZL8ksigns64@rel32@lo+4
	s_addc_u32 s11, s11, _ZL8ksigns64@rel32@hi+12
	v_mov_b32_e32 v25, 0
	v_add_u32_e32 v20, 8, v20
	v_cmp_le_u32_e32 vcc, s2, v20
	v_add_u32_e32 v23, 64, v23
	s_or_b64 s[0:1], vcc, s[0:1]
	s_waitcnt vmcnt(4)
	v_cvt_f32_f16_e32 v4, v4
	s_waitcnt vmcnt(2)
	v_and_b32_e32 v27, 0x7f, v33
	v_and_b32_e32 v16, 0xffff0000, v33
	s_waitcnt vmcnt(1)
	v_lshlrev_b32_sdwa v17, v24, v30 dst_sel:DWORD dst_unused:UNUSED_PAD src0_sel:DWORD src1_sel:BYTE_0
	v_lshlrev_b32_sdwa v26, v24, v30 dst_sel:DWORD dst_unused:UNUSED_PAD src0_sel:DWORD src1_sel:BYTE_1
	v_lshlrev_b32_sdwa v28, v24, v30 dst_sel:DWORD dst_unused:UNUSED_PAD src0_sel:DWORD src1_sel:BYTE_2
	v_lshlrev_b32_sdwa v29, v24, v30 dst_sel:DWORD dst_unused:UNUSED_PAD src0_sel:DWORD src1_sel:BYTE_3
	v_lshrrev_b32_e32 v30, 4, v33
	v_lshlrev_b32_sdwa v35, v24, v31 dst_sel:DWORD dst_unused:UNUSED_PAD src0_sel:DWORD src1_sel:BYTE_0
	v_lshlrev_b32_sdwa v36, v24, v31 dst_sel:DWORD dst_unused:UNUSED_PAD src0_sel:DWORD src1_sel:BYTE_1
	v_lshlrev_b32_sdwa v37, v24, v31 dst_sel:DWORD dst_unused:UNUSED_PAD src0_sel:DWORD src1_sel:BYTE_2
	v_lshrrev_b32_e32 v38, 18, v33
	v_lshlrev_b32_e32 v40, 3, v27
	v_lshlrev_b32_sdwa v31, v24, v31 dst_sel:DWORD dst_unused:UNUSED_PAD src0_sel:DWORD src1_sel:BYTE_3
	v_lshrrev_b32_e32 v39, 28, v33
	v_and_or_b32 v33, v33, s14, v16
	global_load_dword v41, v17, s[12:13]
	global_load_dword v42, v26, s[12:13]
	v_and_b32_e32 v30, 0x3f8, v30
	global_load_dword v43, v28, s[12:13]
	global_load_dword v44, v29, s[12:13]
	;; [unrolled: 1-line block ×4, first 2 shown]
	v_and_b32_e32 v35, 0x3f8, v38
	global_load_dword v36, v37, s[12:13]
	global_load_dword v38, v31, s[12:13]
	global_load_dwordx2 v[16:17], v40, s[10:11]
	global_load_dwordx2 v[26:27], v30, s[10:11]
	;; [unrolled: 1-line block ×3, first 2 shown]
	v_lshrrev_b32_e32 v30, 11, v33
	v_cvt_f32_ubyte0_e32 v31, v39
	v_and_b32_e32 v30, 0x3f8, v30
	v_add_f32_e32 v33, 0.5, v31
	global_load_dwordx2 v[30:31], v30, s[10:11]
	s_waitcnt vmcnt(12)
	v_cvt_f32_f16_e32 v34, v34
	s_waitcnt vmcnt(3)
	v_and_b32_e32 v37, 0xff000000, v16
	v_xor_b32_e32 v35, v16, v41
	v_and_b32_e32 v39, 0xff0000, v16
	v_and_b32_e32 v40, 0xff00, v16
	v_xor_b32_e32 v41, v17, v42
	v_and_b32_e32 v42, 0xff000000, v17
	v_and_b32_e32 v47, 0xff0000, v17
	;; [unrolled: 1-line block ×3, first 2 shown]
	s_waitcnt vmcnt(2)
	v_xor_b32_e32 v43, v26, v43
	v_and_b32_e32 v49, 0xff000000, v26
	v_and_b32_e32 v50, 0xff0000, v26
	;; [unrolled: 1-line block ×3, first 2 shown]
	v_xor_b32_e32 v44, v27, v44
	v_and_b32_e32 v52, 0xff000000, v27
	v_and_b32_e32 v53, 0xff0000, v27
	;; [unrolled: 1-line block ×3, first 2 shown]
	s_waitcnt vmcnt(1)
	v_xor_b32_e32 v36, v28, v36
	v_and_b32_e32 v55, 0xff000000, v28
	v_and_b32_e32 v56, 0xff0000, v28
	;; [unrolled: 1-line block ×3, first 2 shown]
	v_xor_b32_e32 v38, v29, v38
	v_and_b32_e32 v58, 0xff000000, v29
	v_and_b32_e32 v59, 0xff0000, v29
	;; [unrolled: 1-line block ×3, first 2 shown]
	v_sub_u32_e32 v37, v35, v37
	v_sub_u32_e32 v39, v35, v39
	;; [unrolled: 1-line block ×24, first 2 shown]
	v_and_b32_e32 v37, 0xff000000, v37
	v_and_b32_e32 v38, 0xff00, v40
	v_perm_b32 v16, v39, v16, s15
	v_and_b32_e32 v35, 0xff000000, v35
	v_and_b32_e32 v39, 0xff00, v47
	v_perm_b32 v17, v42, v17, s15
	v_or3_b32 v16, v16, v37, v38
	v_and_b32_e32 v40, 0xff000000, v41
	v_and_b32_e32 v41, 0xff00, v49
	v_perm_b32 v26, v48, v26, s15
	s_waitcnt vmcnt(0)
	v_xor_b32_e32 v45, v30, v45
	v_and_b32_e32 v47, 0xff000000, v30
	v_and_b32_e32 v48, 0xff0000, v30
	;; [unrolled: 1-line block ×3, first 2 shown]
	v_or3_b32 v17, v17, v35, v39
	v_dot4c_i32_i8_e32 v25, v16, v5
	v_and_b32_e32 v42, 0xff000000, v43
	v_and_b32_e32 v43, 0xff00, v51
	v_perm_b32 v27, v50, v27, s15
	v_xor_b32_e32 v46, v31, v46
	v_and_b32_e32 v50, 0xff000000, v31
	v_and_b32_e32 v51, 0xff0000, v31
	v_and_b32_e32 v56, 0xff00, v31
	v_or3_b32 v26, v26, v40, v41
	v_sub_u32_e32 v35, v45, v47
	v_sub_u32_e32 v37, v45, v48
	;; [unrolled: 1-line block ×4, first 2 shown]
	v_dot4c_i32_i8_e32 v25, v17, v6
	v_perm_b32 v28, v52, v28, s15
	v_and_b32_e32 v36, 0xff000000, v36
	v_and_b32_e32 v52, 0xff00, v55
	v_perm_b32 v29, v54, v29, s15
	v_or3_b32 v27, v27, v42, v43
	v_sub_u32_e32 v39, v46, v50
	v_sub_u32_e32 v40, v46, v51
	;; [unrolled: 1-line block ×4, first 2 shown]
	v_and_b32_e32 v5, 0xff000000, v35
	v_and_b32_e32 v16, 0xff00, v38
	v_perm_b32 v30, v37, v30, s15
	v_dot4c_i32_i8_e32 v25, v26, v7
	v_or3_b32 v29, v29, v36, v52
	v_and_b32_e32 v35, 0xff000000, v39
	v_and_b32_e32 v36, 0xff00, v41
	v_perm_b32 v31, v40, v31, s15
	v_or3_b32 v5, v30, v5, v16
	v_dot4c_i32_i8_e32 v25, v27, v0
	v_and_b32_e32 v44, 0xff000000, v44
	v_and_b32_e32 v53, 0xff00, v53
	v_or3_b32 v6, v31, v35, v36
	v_dot4c_i32_i8_e32 v25, v5, v1
	v_or3_b32 v28, v28, v44, v53
	v_dot4c_i32_i8_e32 v25, v6, v2
	v_dot4c_i32_i8_e32 v25, v28, v3
	;; [unrolled: 1-line block ×3, first 2 shown]
	v_mul_f32_e32 v1, v33, v34
	v_mul_f32_e32 v1, v1, v4
	v_mul_f32_e32 v1, 0.5, v1
	v_cvt_f32_i32_e32 v0, v25
	v_fmac_f32_e32 v21, v1, v0
	s_andn2_b64 exec, exec, s[0:1]
	s_cbranch_execnz .LBB90_3
; %bb.4:
	s_or_b64 exec, exec, s[0:1]
.LBB90_5:
	s_or_b64 exec, exec, s[8:9]
	v_mbcnt_lo_u32_b32 v0, -1, 0
	v_mbcnt_hi_u32_b32 v1, -1, v0
	v_and_b32_e32 v0, 64, v1
	v_add_u32_e32 v2, 64, v0
	v_xor_b32_e32 v0, 32, v1
	v_cmp_lt_i32_e32 vcc, v0, v2
	v_xor_b32_e32 v3, 16, v1
	v_xor_b32_e32 v4, 8, v1
	v_cndmask_b32_e32 v0, v1, v0, vcc
	v_lshlrev_b32_e32 v0, 2, v0
	ds_bpermute_b32 v0, v0, v21
	v_cmp_lt_i32_e32 vcc, v3, v2
	s_waitcnt lgkmcnt(0)
	v_add_f32_e32 v0, v21, v0
	v_cndmask_b32_e32 v3, v1, v3, vcc
	v_lshlrev_b32_e32 v3, 2, v3
	ds_bpermute_b32 v3, v3, v0
	v_cmp_lt_i32_e32 vcc, v4, v2
	s_waitcnt lgkmcnt(0)
	v_add_f32_e32 v0, v0, v3
	v_cndmask_b32_e32 v3, v1, v4, vcc
	v_lshlrev_b32_e32 v3, 2, v3
	ds_bpermute_b32 v3, v3, v0
	v_xor_b32_e32 v4, 4, v1
	v_cmp_lt_i32_e32 vcc, v4, v2
	s_waitcnt lgkmcnt(0)
	v_add_f32_e32 v0, v0, v3
	v_cndmask_b32_e32 v3, v1, v4, vcc
	v_lshlrev_b32_e32 v3, 2, v3
	ds_bpermute_b32 v3, v3, v0
	v_xor_b32_e32 v4, 2, v1
	;; [unrolled: 7-line block ×3, first 2 shown]
	v_cmp_lt_i32_e32 vcc, v4, v2
	s_waitcnt lgkmcnt(0)
	v_add_f32_e32 v0, v0, v3
	v_cndmask_b32_e32 v1, v1, v4, vcc
	v_lshlrev_b32_e32 v1, 2, v1
	ds_bpermute_b32 v1, v1, v0
	v_cmp_eq_u32_e32 vcc, 0, v19
	s_and_b64 exec, exec, vcc
	s_cbranch_execz .LBB90_7
; %bb.6:
	s_waitcnt lgkmcnt(0)
	v_add_f32_e32 v0, v0, v1
	v_cvt_f16_f32_e32 v2, v0
	s_mul_i32 s3, s3, s5
	v_add_u32_e32 v0, s3, v18
	v_mov_b32_e32 v1, 0
	v_lshl_add_u64 v[0:1], v[0:1], 1, s[6:7]
	global_store_short v[0:1], v2, off
.LBB90_7:
	s_endpgm
	.section	.rodata,"a",@progbits
	.p2align	6, 0x0
	.amdhsa_kernel _ZL13mul_mat_vec_qIN3c104HalfELi256ELi8E13block_iq3_xxsLi1EXadL_ZL20vec_dot_iq3_xxs_q8_1PKvPK10block_q8_1RKiEEEvS4_S4_PT_iii
		.amdhsa_group_segment_fixed_size 0
		.amdhsa_private_segment_fixed_size 0
		.amdhsa_kernarg_size 296
		.amdhsa_user_sgpr_count 2
		.amdhsa_user_sgpr_dispatch_ptr 0
		.amdhsa_user_sgpr_queue_ptr 0
		.amdhsa_user_sgpr_kernarg_segment_ptr 1
		.amdhsa_user_sgpr_dispatch_id 0
		.amdhsa_user_sgpr_kernarg_preload_length 0
		.amdhsa_user_sgpr_kernarg_preload_offset 0
		.amdhsa_user_sgpr_private_segment_size 0
		.amdhsa_uses_dynamic_stack 0
		.amdhsa_enable_private_segment 0
		.amdhsa_system_sgpr_workgroup_id_x 1
		.amdhsa_system_sgpr_workgroup_id_y 1
		.amdhsa_system_sgpr_workgroup_id_z 0
		.amdhsa_system_sgpr_workgroup_info 0
		.amdhsa_system_vgpr_workitem_id 1
		.amdhsa_next_free_vgpr 61
		.amdhsa_next_free_sgpr 18
		.amdhsa_accum_offset 64
		.amdhsa_reserve_vcc 1
		.amdhsa_float_round_mode_32 0
		.amdhsa_float_round_mode_16_64 0
		.amdhsa_float_denorm_mode_32 3
		.amdhsa_float_denorm_mode_16_64 3
		.amdhsa_dx10_clamp 1
		.amdhsa_ieee_mode 1
		.amdhsa_fp16_overflow 0
		.amdhsa_tg_split 0
		.amdhsa_exception_fp_ieee_invalid_op 0
		.amdhsa_exception_fp_denorm_src 0
		.amdhsa_exception_fp_ieee_div_zero 0
		.amdhsa_exception_fp_ieee_overflow 0
		.amdhsa_exception_fp_ieee_underflow 0
		.amdhsa_exception_fp_ieee_inexact 0
		.amdhsa_exception_int_div_zero 0
	.end_amdhsa_kernel
	.section	.text._ZL13mul_mat_vec_qIN3c104HalfELi256ELi8E13block_iq3_xxsLi1EXadL_ZL20vec_dot_iq3_xxs_q8_1PKvPK10block_q8_1RKiEEEvS4_S4_PT_iii,"axG",@progbits,_ZL13mul_mat_vec_qIN3c104HalfELi256ELi8E13block_iq3_xxsLi1EXadL_ZL20vec_dot_iq3_xxs_q8_1PKvPK10block_q8_1RKiEEEvS4_S4_PT_iii,comdat
.Lfunc_end90:
	.size	_ZL13mul_mat_vec_qIN3c104HalfELi256ELi8E13block_iq3_xxsLi1EXadL_ZL20vec_dot_iq3_xxs_q8_1PKvPK10block_q8_1RKiEEEvS4_S4_PT_iii, .Lfunc_end90-_ZL13mul_mat_vec_qIN3c104HalfELi256ELi8E13block_iq3_xxsLi1EXadL_ZL20vec_dot_iq3_xxs_q8_1PKvPK10block_q8_1RKiEEEvS4_S4_PT_iii
                                        ; -- End function
	.section	.AMDGPU.csdata,"",@progbits
; Kernel info:
; codeLenInByte = 1604
; NumSgprs: 24
; NumVgprs: 61
; NumAgprs: 0
; TotalNumVgprs: 61
; ScratchSize: 0
; MemoryBound: 0
; FloatMode: 240
; IeeeMode: 1
; LDSByteSize: 0 bytes/workgroup (compile time only)
; SGPRBlocks: 2
; VGPRBlocks: 7
; NumSGPRsForWavesPerEU: 24
; NumVGPRsForWavesPerEU: 61
; AccumOffset: 64
; Occupancy: 8
; WaveLimiterHint : 0
; COMPUTE_PGM_RSRC2:SCRATCH_EN: 0
; COMPUTE_PGM_RSRC2:USER_SGPR: 2
; COMPUTE_PGM_RSRC2:TRAP_HANDLER: 0
; COMPUTE_PGM_RSRC2:TGID_X_EN: 1
; COMPUTE_PGM_RSRC2:TGID_Y_EN: 1
; COMPUTE_PGM_RSRC2:TGID_Z_EN: 0
; COMPUTE_PGM_RSRC2:TIDIG_COMP_CNT: 1
; COMPUTE_PGM_RSRC3_GFX90A:ACCUM_OFFSET: 15
; COMPUTE_PGM_RSRC3_GFX90A:TG_SPLIT: 0
	.section	.text._ZL13mul_mat_vec_qIN3c104HalfELi256ELi8E11block_iq1_sLi1EXadL_ZL18vec_dot_iq1_s_q8_1PKvPK10block_q8_1RKiEEEvS4_S4_PT_iii,"axG",@progbits,_ZL13mul_mat_vec_qIN3c104HalfELi256ELi8E11block_iq1_sLi1EXadL_ZL18vec_dot_iq1_s_q8_1PKvPK10block_q8_1RKiEEEvS4_S4_PT_iii,comdat
	.globl	_ZL13mul_mat_vec_qIN3c104HalfELi256ELi8E11block_iq1_sLi1EXadL_ZL18vec_dot_iq1_s_q8_1PKvPK10block_q8_1RKiEEEvS4_S4_PT_iii ; -- Begin function _ZL13mul_mat_vec_qIN3c104HalfELi256ELi8E11block_iq1_sLi1EXadL_ZL18vec_dot_iq1_s_q8_1PKvPK10block_q8_1RKiEEEvS4_S4_PT_iii
	.p2align	8
	.type	_ZL13mul_mat_vec_qIN3c104HalfELi256ELi8E11block_iq1_sLi1EXadL_ZL18vec_dot_iq1_s_q8_1PKvPK10block_q8_1RKiEEEvS4_S4_PT_iii,@function
_ZL13mul_mat_vec_qIN3c104HalfELi256ELi8E11block_iq1_sLi1EXadL_ZL18vec_dot_iq1_s_q8_1PKvPK10block_q8_1RKiEEEvS4_S4_PT_iii: ; @_ZL13mul_mat_vec_qIN3c104HalfELi256ELi8E11block_iq1_sLi1EXadL_ZL18vec_dot_iq1_s_q8_1PKvPK10block_q8_1RKiEEEvS4_S4_PT_iii
; %bb.0:
	s_load_dword s8, s[0:1], 0x34
	s_load_dwordx4 s[4:7], s[0:1], 0x18
	v_bfe_u32 v1, v0, 10, 10
	s_waitcnt lgkmcnt(0)
	s_lshr_b32 s7, s8, 16
	s_mul_i32 s2, s2, s7
	v_add_u32_e32 v1, s2, v1
	s_cmp_lt_u32 s3, s6
	v_cmp_gt_u32_e32 vcc, s5, v1
	s_cselect_b64 s[6:7], -1, 0
	s_and_b64 s[6:7], s[6:7], vcc
	s_and_saveexec_b64 s[8:9], s[6:7]
	s_cbranch_execz .LBB91_7
; %bb.1:
	s_load_dwordx2 s[6:7], s[0:1], 0x10
	s_ashr_i32 s2, s4, 31
	s_lshr_b32 s2, s2, 24
	s_add_i32 s2, s4, s2
	v_and_b32_e32 v6, 0x3ff, v0
	s_ashr_i32 s2, s2, 8
	v_lshrrev_b32_e32 v7, 3, v6
	v_cmp_gt_u32_e32 vcc, s2, v7
	v_mov_b32_e32 v8, 0
	s_and_saveexec_b64 s[12:13], vcc
	s_cbranch_execz .LBB91_5
; %bb.2:
	s_load_dwordx4 s[8:11], s[0:1], 0x0
	s_add_i32 s0, s4, 0x1ff
	s_ashr_i32 s1, s0, 31
	s_lshr_b32 s1, s1, 23
	s_add_i32 s0, s0, s1
	s_ashr_i32 s0, s0, 9
	v_and_b32_e32 v0, 7, v6
	s_mul_i32 s0, s3, s0
	v_lshlrev_b32_e32 v2, 1, v0
	v_mov_b32_e32 v3, 0
	v_lshlrev_b32_e32 v4, 3, v7
	v_mul_lo_u32 v9, v1, s2
	v_lshl_add_u32 v10, s0, 4, v4
	s_mov_b64 s[0:1], 0
	v_lshlrev_b32_e32 v2, 1, v2
	v_lshlrev_b32_e32 v4, 1, v0
	s_movk_i32 s4, 0x700
	v_mov_b32_e32 v11, 0xbf600000
	v_mov_b32_e32 v5, v3
	;; [unrolled: 1-line block ×3, first 2 shown]
.LBB91_3:                               ; =>This Inner Loop Header: Depth=1
	v_add_u32_e32 v12, v9, v7
	s_waitcnt lgkmcnt(0)
	v_mad_i64_i32 v[20:21], s[14:15], v12, 50, s[8:9]
	v_lshl_add_u64 v[12:13], v[20:21], 0, v[2:3]
	v_lshl_add_u64 v[14:15], v[20:21], 0, v[4:5]
	global_load_dword v24, v[12:13], off offset:2
	global_load_ushort v25, v[14:15], off offset:34
	v_mad_i64_i32 v[12:13], s[14:15], v10, 36, s[10:11]
	v_mad_u64_u32 v[22:23], s[16:17], v0, 36, v[12:13]
	global_load_dwordx4 v[12:15], v[22:23], off
	global_load_dwordx4 v[16:19], v[22:23], off offset:16
	global_load_ushort v26, v[20:21], off
	s_getpc_b64 s[14:15]
	s_add_u32 s14, s14, _ZL13iq1s_grid_gpu@rel32@lo+4
	s_addc_u32 s15, s15, _ZL13iq1s_grid_gpu@rel32@hi+12
	v_add_u32_e32 v7, 8, v7
	v_cmp_le_u32_e32 vcc, s2, v7
	v_add_u32_e32 v10, 64, v10
	s_or_b64 s[0:1], vcc, s[0:1]
	s_waitcnt vmcnt(4)
	v_and_b32_e32 v27, 0xff, v24
	s_waitcnt vmcnt(3)
	v_lshlrev_b32_e32 v28, 8, v25
	v_lshrrev_b16_e32 v20, 8, v24
	v_lshrrev_b32_e32 v21, 24, v24
	v_lshlrev_b32_e32 v29, 5, v25
	v_bfe_u32 v24, v24, 16, 8
	v_lshlrev_b32_e32 v30, 2, v25
	v_lshrrev_b32_e32 v31, 1, v25
	v_and_or_b32 v27, v28, s4, v27
	v_and_or_b32 v20, v29, s4, v20
	;; [unrolled: 1-line block ×4, first 2 shown]
	v_lshlrev_b32_e32 v27, 3, v27
	v_lshlrev_b32_e32 v20, 3, v20
	;; [unrolled: 1-line block ×4, first 2 shown]
	global_load_dword v28, v27, s[14:15]
	global_load_dword v29, v20, s[14:15]
	global_load_dword v30, v24, s[14:15]
	global_load_dword v31, v21, s[14:15]
	global_load_dword v32, v[22:23], off offset:32
	s_waitcnt vmcnt(7)
	v_cvt_f32_f16_e32 v20, v12
	v_cvt_f32_f16_sdwa v21, v12 dst_sel:DWORD dst_unused:UNUSED_PAD src0_sel:WORD_1
	v_lshrrev_b32_e32 v12, 11, v25
	v_mov_b32_e32 v22, 0
	s_waitcnt vmcnt(5)
	v_cvt_f32_f16_e32 v23, v26
	v_and_b32_e32 v24, 0x8000, v25
	v_and_or_b32 v25, v12, 14, 1
	v_cvt_f32_u32_e32 v24, v24
	s_waitcnt vmcnt(4)
	v_and_b32_e32 v12, 0xf0f0f0f, v28
	v_lshrrev_b32_e32 v26, 4, v28
	v_and_b32_e32 v26, 0xf0f0f0f, v26
	v_dot4c_i32_i8_e32 v22, v12, v13
	s_waitcnt vmcnt(3)
	v_and_b32_e32 v27, 0xf0f0f0f, v29
	v_lshrrev_b32_e32 v28, 4, v29
	v_dot4c_i32_i8_e32 v22, v26, v14
	v_and_b32_e32 v12, 0xf0f0f0f, v28
	v_dot4c_i32_i8_e32 v22, v27, v15
	s_waitcnt vmcnt(2)
	v_and_b32_e32 v29, 0xf0f0f0f, v30
	v_lshrrev_b32_e32 v30, 4, v30
	v_dot4c_i32_i8_e32 v22, v12, v16
	;; [unrolled: 6-line block ×3, first 2 shown]
	v_and_b32_e32 v28, 0xf0f0f0f, v31
	v_dot4c_i32_i8_e32 v22, v33, v19
	s_waitcnt vmcnt(0)
	v_dot4c_i32_i8_e32 v22, v28, v32
	v_cvt_f32_ubyte0_e32 v13, v25
	v_mul_f32_e32 v14, v13, v23
	v_fmamk_f32 v13, v24, 0xb7000000, v11
	v_cvt_f32_i32_e32 v12, v22
	v_pk_mul_f32 v[12:13], v[12:13], v[20:21]
	s_nop 0
	v_add_f32_e32 v12, v12, v13
	v_fmac_f32_e32 v8, v14, v12
	s_andn2_b64 exec, exec, s[0:1]
	s_cbranch_execnz .LBB91_3
; %bb.4:
	s_or_b64 exec, exec, s[0:1]
.LBB91_5:
	s_or_b64 exec, exec, s[12:13]
	v_mbcnt_lo_u32_b32 v0, -1, 0
	v_mbcnt_hi_u32_b32 v2, -1, v0
	v_and_b32_e32 v0, 64, v2
	v_add_u32_e32 v3, 64, v0
	v_xor_b32_e32 v0, 32, v2
	v_cmp_lt_i32_e32 vcc, v0, v3
	v_xor_b32_e32 v4, 16, v2
	v_xor_b32_e32 v5, 8, v2
	v_cndmask_b32_e32 v0, v2, v0, vcc
	v_lshlrev_b32_e32 v0, 2, v0
	ds_bpermute_b32 v0, v0, v8
	v_cmp_lt_i32_e32 vcc, v4, v3
	s_waitcnt lgkmcnt(0)
	v_add_f32_e32 v0, v8, v0
	v_cndmask_b32_e32 v4, v2, v4, vcc
	v_lshlrev_b32_e32 v4, 2, v4
	ds_bpermute_b32 v4, v4, v0
	v_cmp_lt_i32_e32 vcc, v5, v3
	s_waitcnt lgkmcnt(0)
	v_add_f32_e32 v0, v0, v4
	v_cndmask_b32_e32 v4, v2, v5, vcc
	v_lshlrev_b32_e32 v4, 2, v4
	ds_bpermute_b32 v4, v4, v0
	v_xor_b32_e32 v5, 4, v2
	v_cmp_lt_i32_e32 vcc, v5, v3
	s_waitcnt lgkmcnt(0)
	v_add_f32_e32 v0, v0, v4
	v_cndmask_b32_e32 v4, v2, v5, vcc
	v_lshlrev_b32_e32 v4, 2, v4
	ds_bpermute_b32 v4, v4, v0
	v_xor_b32_e32 v5, 2, v2
	v_cmp_lt_i32_e32 vcc, v5, v3
	s_waitcnt lgkmcnt(0)
	v_add_f32_e32 v0, v0, v4
	v_cndmask_b32_e32 v4, v2, v5, vcc
	v_lshlrev_b32_e32 v4, 2, v4
	ds_bpermute_b32 v4, v4, v0
	v_xor_b32_e32 v5, 1, v2
	v_cmp_lt_i32_e32 vcc, v5, v3
	s_waitcnt lgkmcnt(0)
	v_add_f32_e32 v0, v0, v4
	v_cndmask_b32_e32 v2, v2, v5, vcc
	v_lshlrev_b32_e32 v2, 2, v2
	ds_bpermute_b32 v2, v2, v0
	v_cmp_eq_u32_e32 vcc, 0, v6
	s_and_b64 exec, exec, vcc
	s_cbranch_execz .LBB91_7
; %bb.6:
	s_waitcnt lgkmcnt(0)
	v_add_f32_e32 v0, v0, v2
	v_cvt_f16_f32_e32 v2, v0
	s_mul_i32 s3, s3, s5
	v_add_u32_e32 v0, s3, v1
	v_mov_b32_e32 v1, 0
	v_lshl_add_u64 v[0:1], v[0:1], 1, s[6:7]
	global_store_short v[0:1], v2, off
.LBB91_7:
	s_endpgm
	.section	.rodata,"a",@progbits
	.p2align	6, 0x0
	.amdhsa_kernel _ZL13mul_mat_vec_qIN3c104HalfELi256ELi8E11block_iq1_sLi1EXadL_ZL18vec_dot_iq1_s_q8_1PKvPK10block_q8_1RKiEEEvS4_S4_PT_iii
		.amdhsa_group_segment_fixed_size 0
		.amdhsa_private_segment_fixed_size 0
		.amdhsa_kernarg_size 296
		.amdhsa_user_sgpr_count 2
		.amdhsa_user_sgpr_dispatch_ptr 0
		.amdhsa_user_sgpr_queue_ptr 0
		.amdhsa_user_sgpr_kernarg_segment_ptr 1
		.amdhsa_user_sgpr_dispatch_id 0
		.amdhsa_user_sgpr_kernarg_preload_length 0
		.amdhsa_user_sgpr_kernarg_preload_offset 0
		.amdhsa_user_sgpr_private_segment_size 0
		.amdhsa_uses_dynamic_stack 0
		.amdhsa_enable_private_segment 0
		.amdhsa_system_sgpr_workgroup_id_x 1
		.amdhsa_system_sgpr_workgroup_id_y 1
		.amdhsa_system_sgpr_workgroup_id_z 0
		.amdhsa_system_sgpr_workgroup_info 0
		.amdhsa_system_vgpr_workitem_id 1
		.amdhsa_next_free_vgpr 34
		.amdhsa_next_free_sgpr 18
		.amdhsa_accum_offset 36
		.amdhsa_reserve_vcc 1
		.amdhsa_float_round_mode_32 0
		.amdhsa_float_round_mode_16_64 0
		.amdhsa_float_denorm_mode_32 3
		.amdhsa_float_denorm_mode_16_64 3
		.amdhsa_dx10_clamp 1
		.amdhsa_ieee_mode 1
		.amdhsa_fp16_overflow 0
		.amdhsa_tg_split 0
		.amdhsa_exception_fp_ieee_invalid_op 0
		.amdhsa_exception_fp_denorm_src 0
		.amdhsa_exception_fp_ieee_div_zero 0
		.amdhsa_exception_fp_ieee_overflow 0
		.amdhsa_exception_fp_ieee_underflow 0
		.amdhsa_exception_fp_ieee_inexact 0
		.amdhsa_exception_int_div_zero 0
	.end_amdhsa_kernel
	.section	.text._ZL13mul_mat_vec_qIN3c104HalfELi256ELi8E11block_iq1_sLi1EXadL_ZL18vec_dot_iq1_s_q8_1PKvPK10block_q8_1RKiEEEvS4_S4_PT_iii,"axG",@progbits,_ZL13mul_mat_vec_qIN3c104HalfELi256ELi8E11block_iq1_sLi1EXadL_ZL18vec_dot_iq1_s_q8_1PKvPK10block_q8_1RKiEEEvS4_S4_PT_iii,comdat
.Lfunc_end91:
	.size	_ZL13mul_mat_vec_qIN3c104HalfELi256ELi8E11block_iq1_sLi1EXadL_ZL18vec_dot_iq1_s_q8_1PKvPK10block_q8_1RKiEEEvS4_S4_PT_iii, .Lfunc_end91-_ZL13mul_mat_vec_qIN3c104HalfELi256ELi8E11block_iq1_sLi1EXadL_ZL18vec_dot_iq1_s_q8_1PKvPK10block_q8_1RKiEEEvS4_S4_PT_iii
                                        ; -- End function
	.section	.AMDGPU.csdata,"",@progbits
; Kernel info:
; codeLenInByte = 980
; NumSgprs: 24
; NumVgprs: 34
; NumAgprs: 0
; TotalNumVgprs: 34
; ScratchSize: 0
; MemoryBound: 0
; FloatMode: 240
; IeeeMode: 1
; LDSByteSize: 0 bytes/workgroup (compile time only)
; SGPRBlocks: 2
; VGPRBlocks: 4
; NumSGPRsForWavesPerEU: 24
; NumVGPRsForWavesPerEU: 34
; AccumOffset: 36
; Occupancy: 8
; WaveLimiterHint : 0
; COMPUTE_PGM_RSRC2:SCRATCH_EN: 0
; COMPUTE_PGM_RSRC2:USER_SGPR: 2
; COMPUTE_PGM_RSRC2:TRAP_HANDLER: 0
; COMPUTE_PGM_RSRC2:TGID_X_EN: 1
; COMPUTE_PGM_RSRC2:TGID_Y_EN: 1
; COMPUTE_PGM_RSRC2:TGID_Z_EN: 0
; COMPUTE_PGM_RSRC2:TIDIG_COMP_CNT: 1
; COMPUTE_PGM_RSRC3_GFX90A:ACCUM_OFFSET: 8
; COMPUTE_PGM_RSRC3_GFX90A:TG_SPLIT: 0
	.section	.text._ZL13mul_mat_vec_qIN3c104HalfELi32ELi4E12block_iq4_nlLi2EXadL_ZL19vec_dot_iq4_nl_q8_1PKvPK10block_q8_1RKiEEEvS4_S4_PT_iii,"axG",@progbits,_ZL13mul_mat_vec_qIN3c104HalfELi32ELi4E12block_iq4_nlLi2EXadL_ZL19vec_dot_iq4_nl_q8_1PKvPK10block_q8_1RKiEEEvS4_S4_PT_iii,comdat
	.globl	_ZL13mul_mat_vec_qIN3c104HalfELi32ELi4E12block_iq4_nlLi2EXadL_ZL19vec_dot_iq4_nl_q8_1PKvPK10block_q8_1RKiEEEvS4_S4_PT_iii ; -- Begin function _ZL13mul_mat_vec_qIN3c104HalfELi32ELi4E12block_iq4_nlLi2EXadL_ZL19vec_dot_iq4_nl_q8_1PKvPK10block_q8_1RKiEEEvS4_S4_PT_iii
	.p2align	8
	.type	_ZL13mul_mat_vec_qIN3c104HalfELi32ELi4E12block_iq4_nlLi2EXadL_ZL19vec_dot_iq4_nl_q8_1PKvPK10block_q8_1RKiEEEvS4_S4_PT_iii,@function
_ZL13mul_mat_vec_qIN3c104HalfELi32ELi4E12block_iq4_nlLi2EXadL_ZL19vec_dot_iq4_nl_q8_1PKvPK10block_q8_1RKiEEEvS4_S4_PT_iii: ; @_ZL13mul_mat_vec_qIN3c104HalfELi32ELi4E12block_iq4_nlLi2EXadL_ZL19vec_dot_iq4_nl_q8_1PKvPK10block_q8_1RKiEEEvS4_S4_PT_iii
; %bb.0:
	s_load_dword s8, s[0:1], 0x34
	s_load_dwordx4 s[4:7], s[0:1], 0x18
	v_bfe_u32 v1, v0, 10, 10
	s_waitcnt lgkmcnt(0)
	s_lshr_b32 s7, s8, 16
	s_mul_i32 s2, s2, s7
	v_add_u32_e32 v4, s2, v1
	s_cmp_lt_u32 s3, s6
	v_cmp_gt_u32_e32 vcc, s5, v4
	s_cselect_b64 s[6:7], -1, 0
	s_and_b64 s[6:7], s[6:7], vcc
	s_and_saveexec_b64 s[8:9], s[6:7]
	s_cbranch_execz .LBB92_7
; %bb.1:
	s_load_dwordx2 s[6:7], s[0:1], 0x10
	s_ashr_i32 s2, s4, 31
	s_lshr_b32 s2, s2, 27
	s_add_i32 s2, s4, s2
	v_and_b32_e32 v5, 0x3ff, v0
	s_ashr_i32 s2, s2, 5
	v_lshrrev_b32_e32 v6, 1, v5
	v_cmp_gt_u32_e32 vcc, s2, v6
	v_mov_b32_e32 v7, 0
	s_and_saveexec_b64 s[12:13], vcc
	s_cbranch_execz .LBB92_5
; %bb.2:
	s_load_dwordx4 s[8:11], s[0:1], 0x0
	s_add_i32 s0, s4, 0x1ff
	s_ashr_i32 s1, s0, 31
	s_lshr_b32 s1, s1, 23
	s_add_i32 s0, s0, s1
	v_lshlrev_b32_e32 v0, 1, v5
	s_ashr_i32 s0, s0, 9
	v_and_b32_e32 v2, 2, v0
	s_mul_i32 s0, s3, s0
	v_lshlrev_b32_e32 v0, 1, v2
	v_mov_b32_e32 v1, 0
	v_mul_lo_u32 v8, v4, s2
	s_lshl_b32 s4, s0, 4
	s_mov_b64 s[0:1], 0
	v_lshlrev_b32_e32 v0, 1, v0
	v_lshlrev_b32_e32 v2, 2, v2
	v_mov_b32_e32 v3, v1
	v_mov_b32_e32 v7, v1
.LBB92_3:                               ; =>This Inner Loop Header: Depth=1
	v_add_u32_e32 v9, v8, v6
	s_waitcnt lgkmcnt(0)
	v_mad_i64_i32 v[10:11], s[14:15], v9, 18, s[8:9]
	v_lshl_add_u64 v[12:13], v[10:11], 0, v[0:1]
	global_load_dwordx2 v[12:13], v[12:13], off offset:2
	v_add_u32_e32 v9, s4, v6
	v_mad_i64_i32 v[14:15], s[16:17], v9, 36, s[10:11]
	v_lshl_add_u64 v[16:17], v[14:15], 0, v[2:3]
	s_getpc_b64 s[14:15]
	s_add_u32 s14, s14, _ZL13kvalues_iq4nl@rel32@lo+4
	s_addc_u32 s15, s15, _ZL13kvalues_iq4nl@rel32@hi+12
	global_load_ushort v9, v[10:11], off
	global_load_dwordx2 v[18:19], v[16:17], off offset:4
	global_load_dwordx2 v[20:21], v[16:17], off offset:20
	v_add_u32_e32 v6, 32, v6
	v_cmp_le_u32_e32 vcc, s2, v6
	s_or_b64 s[0:1], vcc, s[0:1]
	s_waitcnt vmcnt(3)
	v_bfe_u32 v10, v12, 24, 4
	v_and_b32_e32 v11, 15, v12
	v_bfe_u32 v16, v12, 8, 4
	v_bfe_u32 v17, v12, 16, 4
	;; [unrolled: 1-line block ×4, first 2 shown]
	v_lshrrev_b32_e32 v24, 28, v12
	v_bfe_u32 v12, v12, 4, 4
	v_bfe_u32 v25, v13, 24, 4
	v_and_b32_e32 v26, 15, v13
	v_bfe_u32 v27, v13, 8, 4
	v_bfe_u32 v28, v13, 16, 4
	;; [unrolled: 1-line block ×4, first 2 shown]
	v_lshrrev_b32_e32 v31, 28, v13
	v_bfe_u32 v13, v13, 4, 4
	global_load_ubyte v32, v16, s[14:15]
	global_load_ubyte v33, v17, s[14:15]
	global_load_ubyte v34, v22, s[14:15]
	global_load_ubyte v35, v23, s[14:15]
	global_load_ubyte v36, v12, s[14:15]
	global_load_ubyte v37, v24, s[14:15]
	global_load_ubyte v38, v11, s[14:15]
	global_load_ubyte v39, v10, s[14:15]
	global_load_ubyte v40, v27, s[14:15]
	global_load_ubyte v41, v28, s[14:15]
	global_load_ubyte v42, v29, s[14:15]
	global_load_ubyte v43, v30, s[14:15]
	global_load_ubyte v44, v13, s[14:15]
	global_load_ubyte v45, v31, s[14:15]
	global_load_ubyte v46, v26, s[14:15]
                                        ; kill: killed $vgpr28
                                        ; kill: killed $vgpr23
                                        ; kill: killed $vgpr27
                                        ; kill: killed $vgpr13
                                        ; kill: killed $vgpr11
                                        ; kill: killed $vgpr12
                                        ; kill: killed $vgpr26
                                        ; kill: killed $vgpr30
                                        ; kill: killed $vgpr17
                                        ; kill: killed $vgpr10
                                        ; kill: killed $vgpr16
                                        ; kill: killed $vgpr22
                                        ; kill: killed $vgpr31
                                        ; kill: killed $vgpr24
                                        ; kill: killed $vgpr29
	global_load_ubyte v10, v25, s[14:15]
	global_load_dword v11, v[14:15], off
	v_mov_b32_e32 v12, 0
	v_mov_b32_e32 v13, 0
	s_waitcnt vmcnt(19)
	v_cvt_f32_f16_e32 v9, v9
	s_waitcnt vmcnt(15)
	v_lshlrev_b32_e32 v15, 16, v33
	s_waitcnt vmcnt(13)
	v_lshlrev_b32_e32 v22, 16, v35
	s_waitcnt vmcnt(12)
	v_lshl_or_b32 v23, v34, 8, v36
	s_waitcnt vmcnt(11)
	v_lshlrev_b32_e32 v17, 24, v37
	s_waitcnt vmcnt(10)
	v_lshl_or_b32 v16, v32, 8, v38
	s_waitcnt vmcnt(9)
	v_lshlrev_b32_e32 v14, 24, v39
	v_or3_b32 v14, v16, v15, v14
	s_waitcnt vmcnt(7)
	v_lshlrev_b32_e32 v24, 16, v41
	v_or3_b32 v15, v23, v22, v17
	s_waitcnt vmcnt(5)
	v_lshlrev_b32_e32 v27, 16, v43
	s_waitcnt vmcnt(4)
	v_lshl_or_b32 v28, v42, 8, v44
	s_waitcnt vmcnt(3)
	v_lshlrev_b32_e32 v26, 24, v45
	s_waitcnt vmcnt(2)
	v_lshl_or_b32 v25, v40, 8, v46
	v_or3_b32 v16, v28, v27, v26
	v_dot4c_i32_i8_e32 v12, v14, v18
	v_dot4c_i32_i8_e32 v13, v15, v20
	;; [unrolled: 1-line block ×3, first 2 shown]
	s_waitcnt vmcnt(1)
	v_lshlrev_b32_e32 v10, 24, v10
	v_or3_b32 v10, v25, v24, v10
	v_dot4c_i32_i8_e32 v12, v10, v19
	s_waitcnt vmcnt(0)
	v_cvt_f32_f16_e32 v11, v11
	v_mul_f32_e32 v9, v9, v11
	v_add_u32_e32 v10, v13, v12
	v_cvt_f32_i32_e32 v10, v10
	v_fmac_f32_e32 v7, v9, v10
	s_andn2_b64 exec, exec, s[0:1]
	s_cbranch_execnz .LBB92_3
; %bb.4:
	s_or_b64 exec, exec, s[0:1]
.LBB92_5:
	s_or_b64 exec, exec, s[12:13]
	v_mbcnt_lo_u32_b32 v0, -1, 0
	v_mbcnt_hi_u32_b32 v1, -1, v0
	v_and_b32_e32 v0, 64, v1
	v_add_u32_e32 v2, 64, v0
	v_xor_b32_e32 v0, 32, v1
	v_cmp_lt_i32_e32 vcc, v0, v2
	v_xor_b32_e32 v3, 16, v1
	v_xor_b32_e32 v6, 8, v1
	v_cndmask_b32_e32 v0, v1, v0, vcc
	v_lshlrev_b32_e32 v0, 2, v0
	ds_bpermute_b32 v0, v0, v7
	v_cmp_lt_i32_e32 vcc, v3, v2
	s_waitcnt lgkmcnt(0)
	v_add_f32_e32 v0, v7, v0
	v_cndmask_b32_e32 v3, v1, v3, vcc
	v_lshlrev_b32_e32 v3, 2, v3
	ds_bpermute_b32 v3, v3, v0
	v_cmp_lt_i32_e32 vcc, v6, v2
	s_waitcnt lgkmcnt(0)
	v_add_f32_e32 v0, v0, v3
	v_cndmask_b32_e32 v3, v1, v6, vcc
	v_lshlrev_b32_e32 v3, 2, v3
	ds_bpermute_b32 v3, v3, v0
	v_xor_b32_e32 v6, 4, v1
	v_cmp_lt_i32_e32 vcc, v6, v2
	s_waitcnt lgkmcnt(0)
	v_add_f32_e32 v0, v0, v3
	v_cndmask_b32_e32 v3, v1, v6, vcc
	v_lshlrev_b32_e32 v3, 2, v3
	ds_bpermute_b32 v3, v3, v0
	v_xor_b32_e32 v6, 2, v1
	v_cmp_lt_i32_e32 vcc, v6, v2
	s_waitcnt lgkmcnt(0)
	v_add_f32_e32 v0, v0, v3
	v_cndmask_b32_e32 v3, v1, v6, vcc
	v_lshlrev_b32_e32 v3, 2, v3
	ds_bpermute_b32 v3, v3, v0
	v_xor_b32_e32 v6, 1, v1
	v_cmp_lt_i32_e32 vcc, v6, v2
	s_waitcnt lgkmcnt(0)
	v_add_f32_e32 v0, v0, v3
	v_cndmask_b32_e32 v1, v1, v6, vcc
	v_lshlrev_b32_e32 v1, 2, v1
	ds_bpermute_b32 v1, v1, v0
	v_cmp_eq_u32_e32 vcc, 0, v5
	s_and_b64 exec, exec, vcc
	s_cbranch_execz .LBB92_7
; %bb.6:
	s_waitcnt lgkmcnt(0)
	v_add_f32_e32 v0, v0, v1
	v_cvt_f16_f32_e32 v2, v0
	s_mul_i32 s3, s3, s5
	v_add_u32_e32 v0, s3, v4
	v_mov_b32_e32 v1, 0
	v_lshl_add_u64 v[0:1], v[0:1], 1, s[6:7]
	global_store_short v[0:1], v2, off
.LBB92_7:
	s_endpgm
	.section	.rodata,"a",@progbits
	.p2align	6, 0x0
	.amdhsa_kernel _ZL13mul_mat_vec_qIN3c104HalfELi32ELi4E12block_iq4_nlLi2EXadL_ZL19vec_dot_iq4_nl_q8_1PKvPK10block_q8_1RKiEEEvS4_S4_PT_iii
		.amdhsa_group_segment_fixed_size 0
		.amdhsa_private_segment_fixed_size 0
		.amdhsa_kernarg_size 296
		.amdhsa_user_sgpr_count 2
		.amdhsa_user_sgpr_dispatch_ptr 0
		.amdhsa_user_sgpr_queue_ptr 0
		.amdhsa_user_sgpr_kernarg_segment_ptr 1
		.amdhsa_user_sgpr_dispatch_id 0
		.amdhsa_user_sgpr_kernarg_preload_length 0
		.amdhsa_user_sgpr_kernarg_preload_offset 0
		.amdhsa_user_sgpr_private_segment_size 0
		.amdhsa_uses_dynamic_stack 0
		.amdhsa_enable_private_segment 0
		.amdhsa_system_sgpr_workgroup_id_x 1
		.amdhsa_system_sgpr_workgroup_id_y 1
		.amdhsa_system_sgpr_workgroup_id_z 0
		.amdhsa_system_sgpr_workgroup_info 0
		.amdhsa_system_vgpr_workitem_id 1
		.amdhsa_next_free_vgpr 47
		.amdhsa_next_free_sgpr 18
		.amdhsa_accum_offset 48
		.amdhsa_reserve_vcc 1
		.amdhsa_float_round_mode_32 0
		.amdhsa_float_round_mode_16_64 0
		.amdhsa_float_denorm_mode_32 3
		.amdhsa_float_denorm_mode_16_64 3
		.amdhsa_dx10_clamp 1
		.amdhsa_ieee_mode 1
		.amdhsa_fp16_overflow 0
		.amdhsa_tg_split 0
		.amdhsa_exception_fp_ieee_invalid_op 0
		.amdhsa_exception_fp_denorm_src 0
		.amdhsa_exception_fp_ieee_div_zero 0
		.amdhsa_exception_fp_ieee_overflow 0
		.amdhsa_exception_fp_ieee_underflow 0
		.amdhsa_exception_fp_ieee_inexact 0
		.amdhsa_exception_int_div_zero 0
	.end_amdhsa_kernel
	.section	.text._ZL13mul_mat_vec_qIN3c104HalfELi32ELi4E12block_iq4_nlLi2EXadL_ZL19vec_dot_iq4_nl_q8_1PKvPK10block_q8_1RKiEEEvS4_S4_PT_iii,"axG",@progbits,_ZL13mul_mat_vec_qIN3c104HalfELi32ELi4E12block_iq4_nlLi2EXadL_ZL19vec_dot_iq4_nl_q8_1PKvPK10block_q8_1RKiEEEvS4_S4_PT_iii,comdat
.Lfunc_end92:
	.size	_ZL13mul_mat_vec_qIN3c104HalfELi32ELi4E12block_iq4_nlLi2EXadL_ZL19vec_dot_iq4_nl_q8_1PKvPK10block_q8_1RKiEEEvS4_S4_PT_iii, .Lfunc_end92-_ZL13mul_mat_vec_qIN3c104HalfELi32ELi4E12block_iq4_nlLi2EXadL_ZL19vec_dot_iq4_nl_q8_1PKvPK10block_q8_1RKiEEEvS4_S4_PT_iii
                                        ; -- End function
	.section	.AMDGPU.csdata,"",@progbits
; Kernel info:
; codeLenInByte = 1040
; NumSgprs: 24
; NumVgprs: 47
; NumAgprs: 0
; TotalNumVgprs: 47
; ScratchSize: 0
; MemoryBound: 0
; FloatMode: 240
; IeeeMode: 1
; LDSByteSize: 0 bytes/workgroup (compile time only)
; SGPRBlocks: 2
; VGPRBlocks: 5
; NumSGPRsForWavesPerEU: 24
; NumVGPRsForWavesPerEU: 47
; AccumOffset: 48
; Occupancy: 8
; WaveLimiterHint : 0
; COMPUTE_PGM_RSRC2:SCRATCH_EN: 0
; COMPUTE_PGM_RSRC2:USER_SGPR: 2
; COMPUTE_PGM_RSRC2:TRAP_HANDLER: 0
; COMPUTE_PGM_RSRC2:TGID_X_EN: 1
; COMPUTE_PGM_RSRC2:TGID_Y_EN: 1
; COMPUTE_PGM_RSRC2:TGID_Z_EN: 0
; COMPUTE_PGM_RSRC2:TIDIG_COMP_CNT: 1
; COMPUTE_PGM_RSRC3_GFX90A:ACCUM_OFFSET: 11
; COMPUTE_PGM_RSRC3_GFX90A:TG_SPLIT: 0
	.section	.text._ZL13mul_mat_vec_qIN3c104HalfELi256ELi8E11block_iq3_sLi1EXadL_ZL18vec_dot_iq3_s_q8_1PKvPK10block_q8_1RKiEEEvS4_S4_PT_iii,"axG",@progbits,_ZL13mul_mat_vec_qIN3c104HalfELi256ELi8E11block_iq3_sLi1EXadL_ZL18vec_dot_iq3_s_q8_1PKvPK10block_q8_1RKiEEEvS4_S4_PT_iii,comdat
	.globl	_ZL13mul_mat_vec_qIN3c104HalfELi256ELi8E11block_iq3_sLi1EXadL_ZL18vec_dot_iq3_s_q8_1PKvPK10block_q8_1RKiEEEvS4_S4_PT_iii ; -- Begin function _ZL13mul_mat_vec_qIN3c104HalfELi256ELi8E11block_iq3_sLi1EXadL_ZL18vec_dot_iq3_s_q8_1PKvPK10block_q8_1RKiEEEvS4_S4_PT_iii
	.p2align	8
	.type	_ZL13mul_mat_vec_qIN3c104HalfELi256ELi8E11block_iq3_sLi1EXadL_ZL18vec_dot_iq3_s_q8_1PKvPK10block_q8_1RKiEEEvS4_S4_PT_iii,@function
_ZL13mul_mat_vec_qIN3c104HalfELi256ELi8E11block_iq3_sLi1EXadL_ZL18vec_dot_iq3_s_q8_1PKvPK10block_q8_1RKiEEEvS4_S4_PT_iii: ; @_ZL13mul_mat_vec_qIN3c104HalfELi256ELi8E11block_iq3_sLi1EXadL_ZL18vec_dot_iq3_s_q8_1PKvPK10block_q8_1RKiEEEvS4_S4_PT_iii
; %bb.0:
	s_load_dword s8, s[0:1], 0x34
	s_load_dwordx4 s[4:7], s[0:1], 0x18
	v_bfe_u32 v1, v0, 10, 10
	s_waitcnt lgkmcnt(0)
	s_lshr_b32 s7, s8, 16
	s_mul_i32 s2, s2, s7
	v_add_u32_e32 v24, s2, v1
	s_cmp_lt_u32 s3, s6
	v_cmp_gt_u32_e32 vcc, s5, v24
	s_cselect_b64 s[6:7], -1, 0
	s_and_b64 s[6:7], s[6:7], vcc
	s_and_saveexec_b64 s[8:9], s[6:7]
	s_cbranch_execz .LBB93_9
; %bb.1:
	s_load_dwordx2 s[6:7], s[0:1], 0x10
	s_ashr_i32 s2, s4, 31
	s_lshr_b32 s2, s2, 24
	s_add_i32 s2, s4, s2
	v_and_b32_e32 v25, 0x3ff, v0
	s_ashr_i32 s2, s2, 8
	v_lshrrev_b32_e32 v26, 3, v25
	v_cmp_gt_u32_e32 vcc, s2, v26
	v_mov_b32_e32 v1, 0
	s_and_saveexec_b64 s[8:9], vcc
	s_cbranch_execz .LBB93_7
; %bb.2:
	s_load_dwordx4 s[12:15], s[0:1], 0x0
	s_add_i32 s0, s4, 0x1ff
	s_ashr_i32 s1, s0, 31
	s_lshr_b32 s1, s1, 23
	s_add_i32 s0, s0, s1
	s_ashr_i32 s0, s0, 9
	s_mul_i32 s0, s3, s0
	v_and_b32_e32 v2, 7, v25
	v_mov_b32_e32 v1, 0
	v_lshlrev_b32_e32 v8, 2, v25
	s_lshl_b32 s4, s0, 4
	v_lshlrev_b32_e32 v0, 3, v2
	s_waitcnt lgkmcnt(0)
	v_mad_u64_u32 v[4:5], s[0:1], v2, 36, s[14:15]
	v_and_b32_e32 v28, 4, v8
	v_lshlrev_b32_e32 v8, 2, v2
	v_mov_b32_e32 v9, v1
	v_mul_lo_u32 v27, v24, s2
	v_lshl_add_u64 v[8:9], v[8:9], 0, s[12:13]
	s_mov_b64 s[0:1], 0x4a
	v_lshl_add_u64 v[10:11], v[0:1], 0, s[12:13]
	v_mov_b32_e32 v3, v1
	v_bfe_u32 v6, v25, 1, 2
	v_mov_b32_e32 v7, v1
	v_lshl_add_u64 v[8:9], v[8:9], 0, s[0:1]
	v_add_u32_e32 v29, v26, v27
	v_lshl_add_u64 v[10:11], v[10:11], 0, 2
	s_mov_b64 s[0:1], 0
	s_movk_i32 s10, 0x6e
	v_mov_b64_e32 v[12:13], s[12:13]
	s_movk_i32 s11, 0x100
	s_mov_b32 s12, 0x1010101
	s_mov_b32 s13, 0x1000000
	v_mov_b32_e32 v0, 0xff0000
	v_mov_b32_e32 v30, 0xff00
	;; [unrolled: 1-line block ×3, first 2 shown]
	s_mov_b32 s14, 0xc060c00
.LBB93_3:                               ; =>This Loop Header: Depth=1
                                        ;     Child Loop BB93_4 Depth 2
	v_add_u32_e32 v14, v26, v27
	v_mad_i64_i32 v[16:17], s[16:17], v14, s10, v[12:13]
	v_lshl_add_u64 v[14:15], v[16:17], 0, v[2:3]
	global_load_ubyte v33, v[14:15], off offset:66
	v_lshl_add_u32 v14, v26, 3, s4
	v_mad_i64_i32 v[14:15], s[16:17], v14, 36, v[4:5]
	v_mad_i64_i32 v[18:19], s[16:17], v29, s10, v[8:9]
	;; [unrolled: 1-line block ×3, first 2 shown]
	v_lshl_add_u64 v[22:23], v[14:15], 0, 4
	s_mov_b32 s15, 7
	v_mov_b32_e32 v32, 0
.LBB93_4:                               ;   Parent Loop BB93_3 Depth=1
                                        ; =>  This Inner Loop Header: Depth=2
	global_load_ushort v34, v[20:21], off
	global_load_ubyte v36, v[18:19], off
	s_add_i32 s18, s15, 1
	s_waitcnt vmcnt(2)
	v_lshlrev_b32_e32 v37, s18, v33
	v_lshlrev_b32_e32 v35, s15, v33
	s_getpc_b64 s[16:17]
	s_add_u32 s16, s16, _ZL10iq3xs_grid@rel32@lo+4
	s_addc_u32 s17, s17, _ZL10iq3xs_grid@rel32@hi+12
	s_add_i32 s15, s15, -2
	v_lshl_add_u64 v[18:19], v[18:19], 0, 1
	v_lshl_add_u64 v[20:21], v[20:21], 0, 2
	s_cmp_lg_u32 s15, -1
	s_waitcnt vmcnt(1)
	v_and_b32_e32 v38, 0xff, v34
	v_lshrrev_b16_e32 v34, 8, v34
	v_and_or_b32 v37, v37, s11, v38
	v_and_or_b32 v34, v35, s11, v34
	v_lshlrev_b32_e32 v37, 2, v37
	v_lshlrev_b32_e32 v38, 2, v34
	global_load_dword v39, v37, s[16:17]
	global_load_dword v40, v38, s[16:17]
	global_load_dwordx2 v[34:35], v[22:23], off
	s_waitcnt vmcnt(3)
	v_and_b32_e32 v37, 15, v36
	v_lshrrev_b16_e32 v36, 4, v36
	v_mul_lo_u32 v36, v36, s12
	v_not_b32_e32 v36, v36
	v_and_b32_e32 v38, 0x8040201, v36
	v_and_b32_e32 v37, 0xffff, v37
	;; [unrolled: 1-line block ×3, first 2 shown]
	v_cmp_gt_u32_e32 vcc, s13, v38
	v_mul_lo_u32 v37, v37, s12
	v_and_b32_e32 v42, 0x200, v36
	v_cndmask_b32_e64 v38, 0, -1, vcc
	v_cmp_eq_u32_e32 vcc, 0, v41
	v_not_b32_e32 v37, v37
	v_and_b32_e32 v36, 1, v36
	v_cndmask_b32_e32 v41, 0, v0, vcc
	v_cmp_eq_u32_e32 vcc, 0, v42
	v_and_b32_e32 v43, 0x8040201, v37
	v_and_b32_e32 v44, 0x40000, v37
	v_cndmask_b32_e32 v42, 0, v30, vcc
	v_cmp_eq_u32_e32 vcc, 0, v36
	v_and_b32_e32 v45, 0x200, v37
	v_and_b32_e32 v37, 1, v37
	v_cndmask_b32_e32 v36, 0, v31, vcc
	v_cmp_gt_u32_e32 vcc, s13, v43
	v_lshlrev_b32_e32 v38, 24, v38
	v_or_b32_e32 v46, v42, v36
	v_cndmask_b32_e64 v43, 0, -1, vcc
	v_cmp_eq_u32_e32 vcc, 0, v44
	v_lshlrev_b32_e32 v43, 24, v43
	v_or3_b32 v46, v46, v41, v38
	v_cndmask_b32_e32 v44, 0, v0, vcc
	v_cmp_eq_u32_e32 vcc, 0, v45
	v_lshl_add_u64 v[22:23], v[22:23], 0, 8
	s_waitcnt vmcnt(1)
	v_xor_b32_e32 v40, v46, v40
	v_cndmask_b32_e32 v45, 0, v30, vcc
	v_cmp_eq_u32_e32 vcc, 0, v37
	v_sub_u32_e32 v38, v40, v38
	v_sub_u32_e32 v36, v40, v36
	v_cndmask_b32_e32 v37, 0, v31, vcc
	v_or_b32_e32 v47, v45, v37
	v_or3_b32 v47, v47, v44, v43
	v_xor_b32_e32 v39, v47, v39
	v_sub_u32_e32 v43, v39, v43
	v_sub_u32_e32 v44, v39, v44
	;; [unrolled: 1-line block ×6, first 2 shown]
	v_and_b32_e32 v40, 0xff000000, v43
	v_and_b32_e32 v42, 0xff00, v45
	v_perm_b32 v37, v44, v37, s14
	v_and_b32_e32 v38, 0xff000000, v38
	v_and_b32_e32 v41, 0xff00, v41
	v_perm_b32 v36, v39, v36, s14
	v_or3_b32 v37, v37, v40, v42
	v_or3_b32 v36, v36, v38, v41
	s_waitcnt vmcnt(0)
	v_dot4c_i32_i8_e32 v32, v37, v34
	v_dot4c_i32_i8_e32 v32, v36, v35
	s_cbranch_scc1 .LBB93_4
; %bb.5:                                ;   in Loop: Header=BB93_3 Depth=1
	global_load_ushort v18, v[16:17], off
	v_lshl_add_u64 v[16:17], v[16:17], 0, v[6:7]
	global_load_dword v19, v[14:15], off
	global_load_ubyte v20, v[16:17], off offset:106
	v_cvt_f32_i32_e32 v14, v32
	v_add_u32_e32 v26, 8, v26
	v_cmp_le_u32_e32 vcc, s2, v26
	s_or_b64 s[0:1], vcc, s[0:1]
	v_add_u32_e32 v29, 8, v29
	s_waitcnt vmcnt(2)
	v_cvt_f32_f16_e32 v15, v18
	s_waitcnt vmcnt(1)
	v_cvt_f32_f16_e32 v16, v19
	s_waitcnt vmcnt(0)
	v_bfe_u32 v17, v20, v28, 4
	v_cvt_f32_ubyte0_e32 v17, v17
	v_add_f32_e32 v17, 0.5, v17
	v_mul_f32_e32 v15, v17, v15
	v_mul_f32_e32 v15, v15, v16
	v_mul_f32_e32 v15, 0.5, v15
	v_fmac_f32_e32 v1, v15, v14
	s_andn2_b64 exec, exec, s[0:1]
	s_cbranch_execnz .LBB93_3
; %bb.6:
	s_or_b64 exec, exec, s[0:1]
.LBB93_7:
	s_or_b64 exec, exec, s[8:9]
	v_mbcnt_lo_u32_b32 v0, -1, 0
	v_mbcnt_hi_u32_b32 v2, -1, v0
	v_and_b32_e32 v0, 64, v2
	v_add_u32_e32 v3, 64, v0
	v_xor_b32_e32 v0, 32, v2
	v_cmp_lt_i32_e32 vcc, v0, v3
	v_xor_b32_e32 v4, 16, v2
	s_nop 0
	v_cndmask_b32_e32 v0, v2, v0, vcc
	v_lshlrev_b32_e32 v0, 2, v0
	ds_bpermute_b32 v0, v0, v1
	v_cmp_lt_i32_e32 vcc, v4, v3
	s_waitcnt lgkmcnt(0)
	v_add_f32_e32 v0, v1, v0
	v_cndmask_b32_e32 v1, v2, v4, vcc
	v_lshlrev_b32_e32 v1, 2, v1
	ds_bpermute_b32 v1, v1, v0
	v_xor_b32_e32 v4, 8, v2
	v_cmp_lt_i32_e32 vcc, v4, v3
	s_waitcnt lgkmcnt(0)
	v_add_f32_e32 v0, v0, v1
	v_cndmask_b32_e32 v1, v2, v4, vcc
	v_lshlrev_b32_e32 v1, 2, v1
	ds_bpermute_b32 v1, v1, v0
	v_xor_b32_e32 v4, 4, v2
	v_cmp_lt_i32_e32 vcc, v4, v3
	s_waitcnt lgkmcnt(0)
	v_add_f32_e32 v0, v0, v1
	v_cndmask_b32_e32 v1, v2, v4, vcc
	v_lshlrev_b32_e32 v1, 2, v1
	ds_bpermute_b32 v1, v1, v0
	v_xor_b32_e32 v4, 2, v2
	v_cmp_lt_i32_e32 vcc, v4, v3
	s_waitcnt lgkmcnt(0)
	v_add_f32_e32 v0, v0, v1
	v_cndmask_b32_e32 v1, v2, v4, vcc
	v_lshlrev_b32_e32 v1, 2, v1
	ds_bpermute_b32 v1, v1, v0
	v_xor_b32_e32 v4, 1, v2
	v_cmp_lt_i32_e32 vcc, v4, v3
	s_waitcnt lgkmcnt(0)
	v_add_f32_e32 v0, v0, v1
	v_cndmask_b32_e32 v1, v2, v4, vcc
	v_lshlrev_b32_e32 v1, 2, v1
	ds_bpermute_b32 v1, v1, v0
	v_cmp_eq_u32_e32 vcc, 0, v25
	s_and_b64 exec, exec, vcc
	s_cbranch_execz .LBB93_9
; %bb.8:
	s_waitcnt lgkmcnt(0)
	v_add_f32_e32 v0, v0, v1
	v_cvt_f16_f32_e32 v2, v0
	s_mul_i32 s3, s3, s5
	v_add_u32_e32 v0, s3, v24
	v_mov_b32_e32 v1, 0
	v_lshl_add_u64 v[0:1], v[0:1], 1, s[6:7]
	global_store_short v[0:1], v2, off
.LBB93_9:
	s_endpgm
	.section	.rodata,"a",@progbits
	.p2align	6, 0x0
	.amdhsa_kernel _ZL13mul_mat_vec_qIN3c104HalfELi256ELi8E11block_iq3_sLi1EXadL_ZL18vec_dot_iq3_s_q8_1PKvPK10block_q8_1RKiEEEvS4_S4_PT_iii
		.amdhsa_group_segment_fixed_size 0
		.amdhsa_private_segment_fixed_size 0
		.amdhsa_kernarg_size 296
		.amdhsa_user_sgpr_count 2
		.amdhsa_user_sgpr_dispatch_ptr 0
		.amdhsa_user_sgpr_queue_ptr 0
		.amdhsa_user_sgpr_kernarg_segment_ptr 1
		.amdhsa_user_sgpr_dispatch_id 0
		.amdhsa_user_sgpr_kernarg_preload_length 0
		.amdhsa_user_sgpr_kernarg_preload_offset 0
		.amdhsa_user_sgpr_private_segment_size 0
		.amdhsa_uses_dynamic_stack 0
		.amdhsa_enable_private_segment 0
		.amdhsa_system_sgpr_workgroup_id_x 1
		.amdhsa_system_sgpr_workgroup_id_y 1
		.amdhsa_system_sgpr_workgroup_id_z 0
		.amdhsa_system_sgpr_workgroup_info 0
		.amdhsa_system_vgpr_workitem_id 1
		.amdhsa_next_free_vgpr 48
		.amdhsa_next_free_sgpr 19
		.amdhsa_accum_offset 48
		.amdhsa_reserve_vcc 1
		.amdhsa_float_round_mode_32 0
		.amdhsa_float_round_mode_16_64 0
		.amdhsa_float_denorm_mode_32 3
		.amdhsa_float_denorm_mode_16_64 3
		.amdhsa_dx10_clamp 1
		.amdhsa_ieee_mode 1
		.amdhsa_fp16_overflow 0
		.amdhsa_tg_split 0
		.amdhsa_exception_fp_ieee_invalid_op 0
		.amdhsa_exception_fp_denorm_src 0
		.amdhsa_exception_fp_ieee_div_zero 0
		.amdhsa_exception_fp_ieee_overflow 0
		.amdhsa_exception_fp_ieee_underflow 0
		.amdhsa_exception_fp_ieee_inexact 0
		.amdhsa_exception_int_div_zero 0
	.end_amdhsa_kernel
	.section	.text._ZL13mul_mat_vec_qIN3c104HalfELi256ELi8E11block_iq3_sLi1EXadL_ZL18vec_dot_iq3_s_q8_1PKvPK10block_q8_1RKiEEEvS4_S4_PT_iii,"axG",@progbits,_ZL13mul_mat_vec_qIN3c104HalfELi256ELi8E11block_iq3_sLi1EXadL_ZL18vec_dot_iq3_s_q8_1PKvPK10block_q8_1RKiEEEvS4_S4_PT_iii,comdat
.Lfunc_end93:
	.size	_ZL13mul_mat_vec_qIN3c104HalfELi256ELi8E11block_iq3_sLi1EXadL_ZL18vec_dot_iq3_s_q8_1PKvPK10block_q8_1RKiEEEvS4_S4_PT_iii, .Lfunc_end93-_ZL13mul_mat_vec_qIN3c104HalfELi256ELi8E11block_iq3_sLi1EXadL_ZL18vec_dot_iq3_s_q8_1PKvPK10block_q8_1RKiEEEvS4_S4_PT_iii
                                        ; -- End function
	.section	.AMDGPU.csdata,"",@progbits
; Kernel info:
; codeLenInByte = 1268
; NumSgprs: 25
; NumVgprs: 48
; NumAgprs: 0
; TotalNumVgprs: 48
; ScratchSize: 0
; MemoryBound: 0
; FloatMode: 240
; IeeeMode: 1
; LDSByteSize: 0 bytes/workgroup (compile time only)
; SGPRBlocks: 3
; VGPRBlocks: 5
; NumSGPRsForWavesPerEU: 25
; NumVGPRsForWavesPerEU: 48
; AccumOffset: 48
; Occupancy: 8
; WaveLimiterHint : 0
; COMPUTE_PGM_RSRC2:SCRATCH_EN: 0
; COMPUTE_PGM_RSRC2:USER_SGPR: 2
; COMPUTE_PGM_RSRC2:TRAP_HANDLER: 0
; COMPUTE_PGM_RSRC2:TGID_X_EN: 1
; COMPUTE_PGM_RSRC2:TGID_Y_EN: 1
; COMPUTE_PGM_RSRC2:TGID_Z_EN: 0
; COMPUTE_PGM_RSRC2:TIDIG_COMP_CNT: 1
; COMPUTE_PGM_RSRC3_GFX90A:ACCUM_OFFSET: 11
; COMPUTE_PGM_RSRC3_GFX90A:TG_SPLIT: 0
	.section	.text._ZL13mul_mat_vec_qIN3c104HalfELi256ELi8E11block_iq2_sLi1EXadL_ZL18vec_dot_iq2_s_q8_1PKvPK10block_q8_1RKiEEEvS4_S4_PT_iii,"axG",@progbits,_ZL13mul_mat_vec_qIN3c104HalfELi256ELi8E11block_iq2_sLi1EXadL_ZL18vec_dot_iq2_s_q8_1PKvPK10block_q8_1RKiEEEvS4_S4_PT_iii,comdat
	.globl	_ZL13mul_mat_vec_qIN3c104HalfELi256ELi8E11block_iq2_sLi1EXadL_ZL18vec_dot_iq2_s_q8_1PKvPK10block_q8_1RKiEEEvS4_S4_PT_iii ; -- Begin function _ZL13mul_mat_vec_qIN3c104HalfELi256ELi8E11block_iq2_sLi1EXadL_ZL18vec_dot_iq2_s_q8_1PKvPK10block_q8_1RKiEEEvS4_S4_PT_iii
	.p2align	8
	.type	_ZL13mul_mat_vec_qIN3c104HalfELi256ELi8E11block_iq2_sLi1EXadL_ZL18vec_dot_iq2_s_q8_1PKvPK10block_q8_1RKiEEEvS4_S4_PT_iii,@function
_ZL13mul_mat_vec_qIN3c104HalfELi256ELi8E11block_iq2_sLi1EXadL_ZL18vec_dot_iq2_s_q8_1PKvPK10block_q8_1RKiEEEvS4_S4_PT_iii: ; @_ZL13mul_mat_vec_qIN3c104HalfELi256ELi8E11block_iq2_sLi1EXadL_ZL18vec_dot_iq2_s_q8_1PKvPK10block_q8_1RKiEEEvS4_S4_PT_iii
; %bb.0:
	s_load_dword s8, s[0:1], 0x34
	s_load_dwordx4 s[4:7], s[0:1], 0x18
	v_bfe_u32 v1, v0, 10, 10
	s_waitcnt lgkmcnt(0)
	s_lshr_b32 s7, s8, 16
	s_mul_i32 s2, s2, s7
	v_add_u32_e32 v14, s2, v1
	s_cmp_lt_u32 s3, s6
	v_cmp_gt_u32_e32 vcc, s5, v14
	s_cselect_b64 s[6:7], -1, 0
	s_and_b64 s[6:7], s[6:7], vcc
	s_and_saveexec_b64 s[8:9], s[6:7]
	s_cbranch_execz .LBB94_7
; %bb.1:
	s_load_dwordx2 s[6:7], s[0:1], 0x10
	s_ashr_i32 s2, s4, 31
	s_lshr_b32 s2, s2, 24
	s_add_i32 s2, s4, s2
	v_and_b32_e32 v15, 0x3ff, v0
	s_ashr_i32 s2, s2, 8
	v_lshrrev_b32_e32 v16, 3, v15
	v_cmp_gt_u32_e32 vcc, s2, v16
	v_mov_b32_e32 v17, 0
	s_and_saveexec_b64 s[8:9], vcc
	s_cbranch_execz .LBB94_5
; %bb.2:
	s_load_dwordx4 s[12:15], s[0:1], 0x0
	s_add_i32 s0, s4, 0x1ff
	s_ashr_i32 s1, s0, 31
	s_lshr_b32 s1, s1, 23
	s_add_i32 s0, s0, s1
	s_ashr_i32 s0, s0, 9
	s_mul_i32 s4, s3, s0
	v_and_b32_e32 v0, 7, v15
	v_mov_b32_e32 v1, 0
	v_lshlrev_b32_e32 v6, 3, v16
	v_mul_lo_u32 v18, v14, s2
	s_waitcnt lgkmcnt(0)
	v_mad_u64_u32 v[2:3], s[0:1], v0, 36, s[14:15]
	v_lshlrev_b32_e32 v4, 2, v0
	v_mov_b32_e32 v5, v1
	v_lshl_add_u32 v19, s4, 4, v6
	s_mov_b64 s[10:11], 0
	s_movk_i32 s4, 0x52
	v_mov_b64_e32 v[6:7], s[12:13]
	s_movk_i32 s12, 0x300
	s_mov_b32 s13, 0x1010101
	s_mov_b32 s14, 0x1000000
	v_mov_b32_e32 v20, 0xff0000
	v_mov_b32_e32 v21, 0xff00
	;; [unrolled: 1-line block ×3, first 2 shown]
	s_mov_b32 s15, 0xc060c00
	v_mov_b32_e32 v23, 4
	v_mov_b32_e32 v17, v1
.LBB94_3:                               ; =>This Inner Loop Header: Depth=1
	v_add_u32_e32 v8, v18, v16
	v_mad_i64_i32 v[8:9], s[16:17], v8, s4, v[6:7]
	v_lshl_add_u64 v[10:11], v[8:9], 0, v[4:5]
	v_lshl_add_u64 v[12:13], v[8:9], 0, v[0:1]
	global_load_ushort v28, v[8:9], off
	global_load_dword v24, v[10:11], off offset:2
	global_load_ubyte v25, v[12:13], off offset:66
	global_load_dword v26, v[10:11], off offset:34
	global_load_ubyte v29, v[12:13], off offset:74
	s_getpc_b64 s[0:1]
	s_add_u32 s0, s0, _ZL9iq2s_grid@rel32@lo+4
	s_addc_u32 s1, s1, _ZL9iq2s_grid@rel32@hi+12
	v_add_u32_e32 v16, 8, v16
	s_waitcnt vmcnt(4)
	v_cvt_f32_f16_e32 v28, v28
	s_waitcnt vmcnt(3)
	v_lshrrev_b32_e32 v8, 24, v24
	v_and_b32_e32 v9, 0xff, v24
	s_waitcnt vmcnt(2)
	v_lshlrev_b32_e32 v10, 8, v25
	s_waitcnt vmcnt(1)
	v_lshrrev_b32_e32 v11, 8, v26
	v_and_b32_e32 v12, 15, v26
	v_lshrrev_b16_e32 v13, 4, v26
	v_bfe_u32 v27, v24, 8, 8
	v_lshlrev_b32_e32 v30, 6, v25
	v_bfe_u32 v31, v26, 8, 4
	v_bfe_u32 v24, v24, 16, 8
	v_lshlrev_b32_e32 v32, 4, v25
	v_bfe_u32 v33, v26, 16, 4
	v_bfe_u32 v34, v26, 20, 4
	v_lshlrev_b32_e32 v25, 2, v25
	v_bfe_u32 v35, v26, 24, 4
	v_lshrrev_b16_sdwa v26, v23, v26 dst_sel:DWORD dst_unused:UNUSED_PAD src0_sel:DWORD src1_sel:BYTE_3
	v_and_or_b32 v9, v10, s12, v9
	v_mul_lo_u32 v10, v12, s13
	v_and_b32_e32 v12, 15, v13
	v_and_or_b32 v13, v30, s12, v27
	v_mul_lo_u32 v27, v31, s13
	v_lshrrev_b16_e32 v11, 4, v11
	v_and_or_b32 v24, v32, s12, v24
	v_mul_lo_u32 v30, v33, s13
	v_mul_lo_u32 v31, v34, s13
	v_and_or_b32 v8, v25, s12, v8
	v_mul_lo_u32 v25, v35, s13
	v_mul_lo_u32 v26, v26, s13
	v_lshlrev_b32_e32 v32, 3, v9
	v_not_b32_e32 v9, v10
	v_and_b32_e32 v10, 0xffff, v12
	v_lshlrev_b32_e32 v33, 3, v13
	v_not_b32_e32 v12, v27
	v_and_b32_e32 v11, 15, v11
	v_lshlrev_b32_e32 v27, 3, v24
	v_not_b32_e32 v13, v30
	v_not_b32_e32 v24, v31
	v_lshlrev_b32_e32 v30, 3, v8
	v_not_b32_e32 v8, v25
	v_not_b32_e32 v25, v26
	v_and_b32_e32 v26, 0x8040201, v9
	v_and_b32_e32 v31, 0x40000, v9
	;; [unrolled: 1-line block ×4, first 2 shown]
	v_mul_lo_u32 v36, v10, s13
	v_and_b32_e32 v37, 0x8040201, v12
	v_and_b32_e32 v38, 0x40000, v12
	;; [unrolled: 1-line block ×21, first 2 shown]
	global_load_dwordx2 v[8:9], v32, s[0:1]
	global_load_dwordx2 v[10:11], v33, s[0:1]
	;; [unrolled: 1-line block ×4, first 2 shown]
	v_cmp_gt_u32_e32 vcc, s14, v26
	v_not_b32_e32 v32, v36
	s_nop 0
	v_cndmask_b32_e64 v26, 0, -1, vcc
	v_cmp_eq_u32_e32 vcc, 0, v31
	v_lshlrev_b32_e32 v26, 24, v26
	s_nop 0
	v_cndmask_b32_e32 v27, 0, v20, vcc
	v_cmp_eq_u32_e32 vcc, 0, v34
	s_nop 1
	v_cndmask_b32_e32 v30, 0, v21, vcc
	v_cmp_eq_u32_e32 vcc, 0, v35
	s_nop 1
	v_cndmask_b32_e32 v31, 0, v22, vcc
	v_cmp_gt_u32_e32 vcc, s14, v37
	v_mul_lo_u32 v37, v41, s13
	v_not_b32_e32 v37, v37
	v_cndmask_b32_e64 v33, 0, -1, vcc
	v_cmp_eq_u32_e32 vcc, 0, v38
	v_and_b32_e32 v59, 0x8040201, v37
	v_and_b32_e32 v60, 0x40000, v37
	v_cndmask_b32_e32 v34, 0, v20, vcc
	v_cmp_eq_u32_e32 vcc, 0, v39
	v_and_b32_e32 v61, 0x200, v37
	v_and_b32_e32 v37, 1, v37
	v_cndmask_b32_e32 v35, 0, v21, vcc
	v_cmp_eq_u32_e32 vcc, 0, v40
	v_cmp_gt_u32_e64 s[0:1], s14, v59
	v_lshlrev_b32_e32 v33, 24, v33
	v_cndmask_b32_e32 v36, 0, v22, vcc
	v_cmp_gt_u32_e32 vcc, s14, v42
	v_cndmask_b32_e64 v59, 0, -1, s[0:1]
	v_cmp_eq_u32_e64 s[0:1], 0, v60
	v_cndmask_b32_e64 v38, 0, -1, vcc
	v_cmp_eq_u32_e32 vcc, 0, v43
	v_cndmask_b32_e64 v60, 0, v20, s[0:1]
	v_cmp_eq_u32_e64 s[0:1], 0, v61
	v_cndmask_b32_e32 v39, 0, v20, vcc
	v_cmp_eq_u32_e32 vcc, 0, v44
	v_cndmask_b32_e64 v61, 0, v21, s[0:1]
	v_or_b32_e32 v58, v35, v36
	v_cndmask_b32_e32 v40, 0, v21, vcc
	v_cmp_eq_u32_e32 vcc, 0, v45
	v_or3_b32 v58, v58, v34, v33
	v_lshlrev_b32_e32 v38, 24, v38
	v_cndmask_b32_e32 v41, 0, v22, vcc
	v_cmp_gt_u32_e32 vcc, s14, v46
	s_waitcnt vmcnt(2)
	v_xor_b32_e32 v10, v58, v10
	v_cndmask_b32_e64 v42, 0, -1, vcc
	v_cmp_eq_u32_e32 vcc, 0, v47
	v_or_b32_e32 v58, v40, v41
	v_lshlrev_b32_e32 v42, 24, v42
	v_cndmask_b32_e32 v43, 0, v20, vcc
	v_cmp_eq_u32_e32 vcc, 0, v48
	v_or3_b32 v58, v58, v39, v38
	s_waitcnt vmcnt(1)
	v_xor_b32_e32 v58, v58, v12
	v_cndmask_b32_e32 v44, 0, v21, vcc
	v_cmp_eq_u32_e32 vcc, 0, v49
	v_sub_u32_e32 v33, v10, v33
	v_sub_u32_e32 v34, v10, v34
	v_cndmask_b32_e32 v45, 0, v22, vcc
	v_cmp_gt_u32_e32 vcc, s14, v50
	v_sub_u32_e32 v35, v10, v35
	v_sub_u32_e32 v36, v10, v36
	v_cndmask_b32_e64 v46, 0, -1, vcc
	v_cmp_eq_u32_e32 vcc, 0, v51
	v_lshlrev_b32_e32 v46, 24, v46
	v_sub_u32_e32 v38, v58, v38
	v_cndmask_b32_e32 v47, 0, v20, vcc
	v_cmp_eq_u32_e32 vcc, 0, v52
	v_sub_u32_e32 v39, v58, v39
	v_sub_u32_e32 v40, v58, v40
	v_cndmask_b32_e32 v48, 0, v21, vcc
	v_cmp_eq_u32_e32 vcc, 0, v53
	v_sub_u32_e32 v41, v58, v41
	v_and_b32_e32 v38, 0xff000000, v38
	v_cndmask_b32_e32 v49, 0, v22, vcc
	v_cmp_gt_u32_e32 vcc, s14, v54
	v_or_b32_e32 v54, v30, v31
	v_or3_b32 v54, v54, v27, v26
	v_cndmask_b32_e64 v50, 0, -1, vcc
	v_cmp_eq_u32_e32 vcc, 0, v55
	v_and_b32_e32 v55, 0x8040201, v32
	v_xor_b32_e32 v8, v54, v8
	v_cndmask_b32_e32 v51, 0, v20, vcc
	v_cmp_eq_u32_e32 vcc, 0, v56
	v_and_b32_e32 v56, 0x40000, v32
	v_lshlrev_b32_e32 v54, 24, v59
	v_cndmask_b32_e32 v52, 0, v21, vcc
	v_cmp_eq_u32_e32 vcc, 0, v57
	v_and_b32_e32 v57, 0x200, v32
	v_and_b32_e32 v32, 1, v32
	v_cndmask_b32_e32 v53, 0, v22, vcc
	v_cmp_gt_u32_e32 vcc, s14, v55
	v_or_b32_e32 v12, v48, v49
	v_lshlrev_b32_e32 v50, 24, v50
	v_cndmask_b32_e64 v55, 0, -1, vcc
	v_cmp_eq_u32_e32 vcc, 0, v56
	v_lshlrev_b32_e32 v55, 24, v55
	v_or3_b32 v12, v12, v47, v46
	v_cndmask_b32_e32 v56, 0, v20, vcc
	v_cmp_eq_u32_e32 vcc, 0, v57
	s_waitcnt vmcnt(0)
	v_xor_b32_e32 v24, v12, v24
	v_sub_u32_e32 v63, v8, v26
	v_cndmask_b32_e32 v57, 0, v21, vcc
	v_cmp_eq_u32_e32 vcc, 0, v32
	v_sub_u32_e32 v64, v8, v27
	v_sub_u32_e32 v30, v8, v30
	v_cndmask_b32_e32 v32, 0, v22, vcc
	v_cmp_eq_u32_e32 vcc, 0, v37
	v_or_b32_e32 v37, v57, v32
	v_or3_b32 v37, v37, v56, v55
	v_xor_b32_e32 v9, v37, v9
	v_cndmask_b32_e32 v37, 0, v22, vcc
	v_or_b32_e32 v59, v61, v37
	v_or3_b32 v59, v59, v60, v54
	v_xor_b32_e32 v11, v59, v11
	v_or_b32_e32 v59, v44, v45
	v_or3_b32 v59, v59, v43, v42
	v_xor_b32_e32 v59, v59, v13
	;; [unrolled: 3-line block ×3, first 2 shown]
	v_mad_i64_i32 v[12:13], s[0:1], v19, 36, v[2:3]
	v_sub_u32_e32 v31, v8, v31
	v_sub_u32_e32 v55, v9, v55
	v_sub_u32_e32 v56, v9, v56
	v_sub_u32_e32 v57, v9, v57
	v_sub_u32_e32 v32, v9, v32
	v_sub_u32_e32 v54, v11, v54
	v_sub_u32_e32 v60, v11, v60
	v_sub_u32_e32 v61, v11, v61
	v_sub_u32_e32 v37, v11, v37
	global_load_dwordx4 v[8:11], v[12:13], off
	v_sub_u32_e32 v46, v24, v46
	v_sub_u32_e32 v47, v24, v47
	;; [unrolled: 1-line block ×4, first 2 shown]
	global_load_dwordx4 v[24:27], v[12:13], off offset:16
	global_load_dword v58, v[12:13], off offset:32
	v_sub_u32_e32 v42, v59, v42
	v_sub_u32_e32 v43, v59, v43
	v_sub_u32_e32 v44, v59, v44
	v_sub_u32_e32 v45, v59, v45
	v_sub_u32_e32 v12, v62, v50
	v_sub_u32_e32 v13, v62, v51
	v_sub_u32_e32 v50, v62, v52
	v_sub_u32_e32 v51, v62, v53
	v_and_b32_e32 v40, 0xff00, v40
	v_perm_b32 v39, v39, v41, s15
	v_mov_b32_e32 v52, 0
	v_perm_b32 v31, v64, v31, s15
	v_perm_b32 v32, v56, v32, s15
	v_and_b32_e32 v56, 0xff000000, v63
	v_and_b32_e32 v41, 0xff000000, v42
	;; [unrolled: 1-line block ×3, first 2 shown]
	v_perm_b32 v43, v43, v45, s15
	v_and_b32_e32 v44, 0xff000000, v46
	v_perm_b32 v46, v47, v49, s15
	v_and_b32_e32 v12, 0xff000000, v12
	v_and_b32_e32 v47, 0xff00, v50
	v_perm_b32 v13, v13, v51, s15
	v_and_b32_e32 v30, 0xff00, v30
	v_or3_b32 v38, v39, v38, v40
	v_mov_b32_e32 v53, 0
	v_and_b32_e32 v55, 0xff000000, v55
	v_and_b32_e32 v45, 0xff00, v48
	;; [unrolled: 1-line block ×3, first 2 shown]
	v_or3_b32 v39, v43, v41, v42
	v_or3_b32 v12, v13, v12, v47
	;; [unrolled: 1-line block ×3, first 2 shown]
	v_perm_b32 v34, v34, v36, s15
	v_and_b32_e32 v33, 0xff000000, v33
	v_and_b32_e32 v35, 0xff00, v35
	v_or3_b32 v40, v46, v44, v45
	v_or3_b32 v30, v32, v55, v48
	v_and_b32_e32 v54, 0xff000000, v54
	v_perm_b32 v37, v60, v37, s15
	v_and_b32_e32 v49, 0xff00, v61
	v_or3_b32 v31, v34, v33, v35
	v_or3_b32 v32, v37, v54, v49
	v_lshrrev_b16_e32 v36, 4, v29
	v_and_b32_e32 v29, 15, v29
	v_cvt_f32_ubyte0_e32 v36, v36
	v_cvt_f32_ubyte0_e32 v29, v29
	v_add_f32_e32 v36, 0.5, v36
	v_add_f32_e32 v29, 0.5, v29
	v_cmp_le_u32_e32 vcc, s2, v16
	v_add_u32_e32 v19, 64, v19
	s_or_b64 s[10:11], vcc, s[10:11]
	s_waitcnt vmcnt(2)
	v_dot4c_i32_i8_e32 v53, v13, v9
	v_dot4c_i32_i8_e32 v53, v30, v10
	;; [unrolled: 1-line block ×3, first 2 shown]
	v_cvt_f32_f16_e32 v8, v8
	s_waitcnt vmcnt(1)
	v_dot4c_i32_i8_e32 v52, v38, v25
	v_dot4c_i32_i8_e32 v52, v39, v26
	;; [unrolled: 1-line block ×3, first 2 shown]
	s_waitcnt vmcnt(0)
	v_dot4c_i32_i8_e32 v52, v12, v58
	v_dot4c_i32_i8_e32 v53, v32, v24
	v_mul_f32_e32 v8, v28, v8
	v_mul_f32_e32 v8, 0x3e800000, v8
	v_cvt_f32_i32_e32 v9, v52
	v_cvt_f32_i32_e32 v10, v53
	v_mul_f32_e32 v9, v36, v9
	v_fmac_f32_e32 v9, v29, v10
	v_fmac_f32_e32 v17, v8, v9
	s_andn2_b64 exec, exec, s[10:11]
	s_cbranch_execnz .LBB94_3
; %bb.4:
	s_or_b64 exec, exec, s[10:11]
.LBB94_5:
	s_or_b64 exec, exec, s[8:9]
	v_mbcnt_lo_u32_b32 v0, -1, 0
	v_mbcnt_hi_u32_b32 v1, -1, v0
	v_and_b32_e32 v0, 64, v1
	v_add_u32_e32 v2, 64, v0
	v_xor_b32_e32 v0, 32, v1
	v_cmp_lt_i32_e32 vcc, v0, v2
	v_xor_b32_e32 v3, 16, v1
	v_xor_b32_e32 v4, 8, v1
	v_cndmask_b32_e32 v0, v1, v0, vcc
	v_lshlrev_b32_e32 v0, 2, v0
	ds_bpermute_b32 v0, v0, v17
	v_cmp_lt_i32_e32 vcc, v3, v2
	s_waitcnt lgkmcnt(0)
	v_add_f32_e32 v0, v17, v0
	v_cndmask_b32_e32 v3, v1, v3, vcc
	v_lshlrev_b32_e32 v3, 2, v3
	ds_bpermute_b32 v3, v3, v0
	v_cmp_lt_i32_e32 vcc, v4, v2
	s_waitcnt lgkmcnt(0)
	v_add_f32_e32 v0, v0, v3
	v_cndmask_b32_e32 v3, v1, v4, vcc
	v_lshlrev_b32_e32 v3, 2, v3
	ds_bpermute_b32 v3, v3, v0
	v_xor_b32_e32 v4, 4, v1
	v_cmp_lt_i32_e32 vcc, v4, v2
	s_waitcnt lgkmcnt(0)
	v_add_f32_e32 v0, v0, v3
	v_cndmask_b32_e32 v3, v1, v4, vcc
	v_lshlrev_b32_e32 v3, 2, v3
	ds_bpermute_b32 v3, v3, v0
	v_xor_b32_e32 v4, 2, v1
	;; [unrolled: 7-line block ×3, first 2 shown]
	v_cmp_lt_i32_e32 vcc, v4, v2
	s_waitcnt lgkmcnt(0)
	v_add_f32_e32 v0, v0, v3
	v_cndmask_b32_e32 v1, v1, v4, vcc
	v_lshlrev_b32_e32 v1, 2, v1
	ds_bpermute_b32 v1, v1, v0
	v_cmp_eq_u32_e32 vcc, 0, v15
	s_and_b64 exec, exec, vcc
	s_cbranch_execz .LBB94_7
; %bb.6:
	s_waitcnt lgkmcnt(0)
	v_add_f32_e32 v0, v0, v1
	v_cvt_f16_f32_e32 v2, v0
	s_mul_i32 s3, s3, s5
	v_add_u32_e32 v0, s3, v14
	v_mov_b32_e32 v1, 0
	v_lshl_add_u64 v[0:1], v[0:1], 1, s[6:7]
	global_store_short v[0:1], v2, off
.LBB94_7:
	s_endpgm
	.section	.rodata,"a",@progbits
	.p2align	6, 0x0
	.amdhsa_kernel _ZL13mul_mat_vec_qIN3c104HalfELi256ELi8E11block_iq2_sLi1EXadL_ZL18vec_dot_iq2_s_q8_1PKvPK10block_q8_1RKiEEEvS4_S4_PT_iii
		.amdhsa_group_segment_fixed_size 0
		.amdhsa_private_segment_fixed_size 0
		.amdhsa_kernarg_size 296
		.amdhsa_user_sgpr_count 2
		.amdhsa_user_sgpr_dispatch_ptr 0
		.amdhsa_user_sgpr_queue_ptr 0
		.amdhsa_user_sgpr_kernarg_segment_ptr 1
		.amdhsa_user_sgpr_dispatch_id 0
		.amdhsa_user_sgpr_kernarg_preload_length 0
		.amdhsa_user_sgpr_kernarg_preload_offset 0
		.amdhsa_user_sgpr_private_segment_size 0
		.amdhsa_uses_dynamic_stack 0
		.amdhsa_enable_private_segment 0
		.amdhsa_system_sgpr_workgroup_id_x 1
		.amdhsa_system_sgpr_workgroup_id_y 1
		.amdhsa_system_sgpr_workgroup_id_z 0
		.amdhsa_system_sgpr_workgroup_info 0
		.amdhsa_system_vgpr_workitem_id 1
		.amdhsa_next_free_vgpr 65
		.amdhsa_next_free_sgpr 18
		.amdhsa_accum_offset 68
		.amdhsa_reserve_vcc 1
		.amdhsa_float_round_mode_32 0
		.amdhsa_float_round_mode_16_64 0
		.amdhsa_float_denorm_mode_32 3
		.amdhsa_float_denorm_mode_16_64 3
		.amdhsa_dx10_clamp 1
		.amdhsa_ieee_mode 1
		.amdhsa_fp16_overflow 0
		.amdhsa_tg_split 0
		.amdhsa_exception_fp_ieee_invalid_op 0
		.amdhsa_exception_fp_denorm_src 0
		.amdhsa_exception_fp_ieee_div_zero 0
		.amdhsa_exception_fp_ieee_overflow 0
		.amdhsa_exception_fp_ieee_underflow 0
		.amdhsa_exception_fp_ieee_inexact 0
		.amdhsa_exception_int_div_zero 0
	.end_amdhsa_kernel
	.section	.text._ZL13mul_mat_vec_qIN3c104HalfELi256ELi8E11block_iq2_sLi1EXadL_ZL18vec_dot_iq2_s_q8_1PKvPK10block_q8_1RKiEEEvS4_S4_PT_iii,"axG",@progbits,_ZL13mul_mat_vec_qIN3c104HalfELi256ELi8E11block_iq2_sLi1EXadL_ZL18vec_dot_iq2_s_q8_1PKvPK10block_q8_1RKiEEEvS4_S4_PT_iii,comdat
.Lfunc_end94:
	.size	_ZL13mul_mat_vec_qIN3c104HalfELi256ELi8E11block_iq2_sLi1EXadL_ZL18vec_dot_iq2_s_q8_1PKvPK10block_q8_1RKiEEEvS4_S4_PT_iii, .Lfunc_end94-_ZL13mul_mat_vec_qIN3c104HalfELi256ELi8E11block_iq2_sLi1EXadL_ZL18vec_dot_iq2_s_q8_1PKvPK10block_q8_1RKiEEEvS4_S4_PT_iii
                                        ; -- End function
	.section	.AMDGPU.csdata,"",@progbits
; Kernel info:
; codeLenInByte = 2224
; NumSgprs: 24
; NumVgprs: 65
; NumAgprs: 0
; TotalNumVgprs: 65
; ScratchSize: 0
; MemoryBound: 0
; FloatMode: 240
; IeeeMode: 1
; LDSByteSize: 0 bytes/workgroup (compile time only)
; SGPRBlocks: 2
; VGPRBlocks: 8
; NumSGPRsForWavesPerEU: 24
; NumVGPRsForWavesPerEU: 65
; AccumOffset: 68
; Occupancy: 7
; WaveLimiterHint : 0
; COMPUTE_PGM_RSRC2:SCRATCH_EN: 0
; COMPUTE_PGM_RSRC2:USER_SGPR: 2
; COMPUTE_PGM_RSRC2:TRAP_HANDLER: 0
; COMPUTE_PGM_RSRC2:TGID_X_EN: 1
; COMPUTE_PGM_RSRC2:TGID_Y_EN: 1
; COMPUTE_PGM_RSRC2:TGID_Z_EN: 0
; COMPUTE_PGM_RSRC2:TIDIG_COMP_CNT: 1
; COMPUTE_PGM_RSRC3_GFX90A:ACCUM_OFFSET: 16
; COMPUTE_PGM_RSRC3_GFX90A:TG_SPLIT: 0
	.section	.text._ZL13mul_mat_vec_qIN3c104HalfELi256ELi8E12block_iq4_xsLi1EXadL_ZL19vec_dot_iq4_xs_q8_1PKvPK10block_q8_1RKiEEEvS4_S4_PT_iii,"axG",@progbits,_ZL13mul_mat_vec_qIN3c104HalfELi256ELi8E12block_iq4_xsLi1EXadL_ZL19vec_dot_iq4_xs_q8_1PKvPK10block_q8_1RKiEEEvS4_S4_PT_iii,comdat
	.globl	_ZL13mul_mat_vec_qIN3c104HalfELi256ELi8E12block_iq4_xsLi1EXadL_ZL19vec_dot_iq4_xs_q8_1PKvPK10block_q8_1RKiEEEvS4_S4_PT_iii ; -- Begin function _ZL13mul_mat_vec_qIN3c104HalfELi256ELi8E12block_iq4_xsLi1EXadL_ZL19vec_dot_iq4_xs_q8_1PKvPK10block_q8_1RKiEEEvS4_S4_PT_iii
	.p2align	8
	.type	_ZL13mul_mat_vec_qIN3c104HalfELi256ELi8E12block_iq4_xsLi1EXadL_ZL19vec_dot_iq4_xs_q8_1PKvPK10block_q8_1RKiEEEvS4_S4_PT_iii,@function
_ZL13mul_mat_vec_qIN3c104HalfELi256ELi8E12block_iq4_xsLi1EXadL_ZL19vec_dot_iq4_xs_q8_1PKvPK10block_q8_1RKiEEEvS4_S4_PT_iii: ; @_ZL13mul_mat_vec_qIN3c104HalfELi256ELi8E12block_iq4_xsLi1EXadL_ZL19vec_dot_iq4_xs_q8_1PKvPK10block_q8_1RKiEEEvS4_S4_PT_iii
; %bb.0:
	s_load_dword s8, s[0:1], 0x34
	s_load_dwordx4 s[4:7], s[0:1], 0x18
	v_bfe_u32 v1, v0, 10, 10
	s_waitcnt lgkmcnt(0)
	s_lshr_b32 s7, s8, 16
	s_mul_i32 s2, s2, s7
	v_add_u32_e32 v18, s2, v1
	s_cmp_lt_u32 s3, s6
	v_cmp_gt_u32_e32 vcc, s5, v18
	s_cselect_b64 s[6:7], -1, 0
	s_and_b64 s[6:7], s[6:7], vcc
	s_and_saveexec_b64 s[8:9], s[6:7]
	s_cbranch_execz .LBB95_7
; %bb.1:
	s_load_dwordx2 s[6:7], s[0:1], 0x10
	s_ashr_i32 s2, s4, 31
	s_lshr_b32 s2, s2, 24
	s_add_i32 s2, s4, s2
	v_and_b32_e32 v19, 0x3ff, v0
	s_ashr_i32 s2, s2, 8
	v_lshrrev_b32_e32 v20, 3, v19
	v_cmp_gt_u32_e32 vcc, s2, v20
	v_mov_b32_e32 v21, 0
	s_and_saveexec_b64 s[8:9], vcc
	s_cbranch_execz .LBB95_5
; %bb.2:
	s_load_dwordx4 s[12:15], s[0:1], 0x0
	s_add_i32 s0, s4, 0x1ff
	s_ashr_i32 s1, s0, 31
	s_lshr_b32 s1, s1, 23
	s_add_i32 s0, s0, s1
	s_ashr_i32 s0, s0, 9
	v_and_b32_e32 v1, 7, v19
	s_mul_i32 s4, s3, s0
	s_waitcnt lgkmcnt(0)
	v_mad_u64_u32 v[8:9], s[0:1], v1, 36, s[14:15]
	v_lshlrev_b32_e32 v0, 2, v1
	v_mov_b32_e32 v11, 0
	v_lshlrev_b32_e32 v2, 2, v19
	v_lshlrev_b32_e32 v24, 1, v1
	;; [unrolled: 1-line block ×3, first 2 shown]
	v_mul_lo_u32 v22, v18, s2
	v_bfe_u32 v10, v19, 1, 2
	v_and_b32_e32 v23, 4, v2
	v_lshl_add_u32 v25, s4, 4, v1
	s_mov_b64 s[0:1], 0
	s_movk_i32 s4, 0x88
	v_mov_b64_e32 v[12:13], s[12:13]
	v_lshlrev_b32_e32 v14, 2, v0
	v_mov_b32_e32 v15, v11
	v_mov_b32_e32 v21, v11
.LBB95_3:                               ; =>This Inner Loop Header: Depth=1
	v_add_u32_e32 v0, v22, v20
	v_mad_i64_i32 v[26:27], s[12:13], v0, s4, v[12:13]
	v_lshl_add_u64 v[28:29], v[26:27], 0, v[14:15]
	v_mad_i64_i32 v[16:17], s[10:11], v25, 36, v[8:9]
	v_lshl_add_u64 v[30:31], v[26:27], 0, v[10:11]
	global_load_dwordx4 v[4:7], v[28:29], off offset:8
	global_load_ubyte v32, v[30:31], off offset:4
	global_load_dwordx4 v[0:3], v[16:17], off
	s_getpc_b64 s[10:11]
	s_add_u32 s10, s10, _ZL13kvalues_iq4nl@rel32@lo+4
	s_addc_u32 s11, s11, _ZL13kvalues_iq4nl@rel32@hi+12
	v_add_u32_e32 v20, 8, v20
	v_cmp_le_u32_e32 vcc, s2, v20
	v_add_u32_e32 v25, 64, v25
	s_or_b64 s[0:1], vcc, s[0:1]
	s_waitcnt vmcnt(2)
	v_bfe_u32 v28, v4, 24, 4
	v_and_b32_e32 v29, 15, v4
	v_bfe_u32 v30, v4, 8, 4
	v_bfe_u32 v31, v4, 16, 4
	v_bfe_u32 v33, v4, 20, 4
	v_lshrrev_b32_e32 v34, 28, v4
	v_bfe_u32 v35, v4, 4, 4
	v_bfe_u32 v36, v4, 12, 4
	v_bfe_u32 v37, v5, 24, 4
	v_and_b32_e32 v38, 15, v5
	v_bfe_u32 v39, v5, 8, 4
	v_bfe_u32 v40, v5, 16, 4
	v_bfe_u32 v41, v5, 20, 4
	v_lshrrev_b32_e32 v42, 28, v5
	v_bfe_u32 v43, v5, 4, 4
	v_bfe_u32 v44, v5, 12, 4
	;; [unrolled: 8-line block ×3, first 2 shown]
	v_bfe_u32 v53, v7, 24, 4
	v_bfe_u32 v55, v7, 8, 4
	;; [unrolled: 1-line block ×5, first 2 shown]
	v_and_b32_e32 v54, 15, v7
	v_lshrrev_b32_e32 v58, 28, v7
	v_bfe_u32 v59, v7, 4, 4
	global_load_dwordx4 v[4:7], v[16:17], off offset:16
	global_load_dword v61, v[26:27], off
	global_load_ubyte v62, v36, s[10:11]
	global_load_ubyte v63, v30, s[10:11]
                                        ; kill: killed $vgpr30
                                        ; kill: killed $vgpr26_vgpr27
                                        ; kill: killed $vgpr36
	s_nop 0
	global_load_ubyte v26, v31, s[10:11]
	global_load_ubyte v27, v33, s[10:11]
	global_load_ubyte v30, v35, s[10:11]
	global_load_ubyte v36, v34, s[10:11]
                                        ; kill: killed $vgpr35
                                        ; kill: killed $vgpr34
                                        ; kill: killed $vgpr33
                                        ; kill: killed $vgpr31
	s_nop 0
	global_load_ubyte v31, v29, s[10:11]
	global_load_ubyte v33, v28, s[10:11]
	;; [unrolled: 1-line block ×4, first 2 shown]
                                        ; kill: killed $vgpr44
                                        ; kill: killed $vgpr39
                                        ; kill: killed $vgpr29
                                        ; kill: killed $vgpr28
	s_nop 0
	global_load_ubyte v28, v40, s[10:11]
	global_load_ubyte v29, v41, s[10:11]
	;; [unrolled: 1-line block ×4, first 2 shown]
                                        ; kill: killed $vgpr43
                                        ; kill: killed $vgpr41
                                        ; kill: killed $vgpr40
                                        ; kill: killed $vgpr42
	s_nop 0
	global_load_ubyte v40, v38, s[10:11]
	global_load_ubyte v41, v37, s[10:11]
	;; [unrolled: 1-line block ×4, first 2 shown]
                                        ; kill: killed $vgpr52
                                        ; kill: killed $vgpr37
                                        ; kill: killed $vgpr47
                                        ; kill: killed $vgpr38
	s_nop 0
	global_load_ubyte v37, v48, s[10:11]
	global_load_ubyte v38, v49, s[10:11]
	global_load_ubyte v47, v51, s[10:11]
	global_load_ubyte v52, v50, s[10:11]
                                        ; kill: killed $vgpr51
                                        ; kill: killed $vgpr49
                                        ; kill: killed $vgpr48
                                        ; kill: killed $vgpr50
	s_nop 0
	global_load_ubyte v48, v46, s[10:11]
	global_load_ubyte v49, v45, s[10:11]
	;; [unrolled: 1-line block ×4, first 2 shown]
                                        ; kill: killed $vgpr60
                                        ; kill: killed $vgpr45
                                        ; kill: killed $vgpr55
                                        ; kill: killed $vgpr46
	s_nop 0
	global_load_ubyte v45, v56, s[10:11]
	global_load_ubyte v46, v57, s[10:11]
	;; [unrolled: 1-line block ×4, first 2 shown]
                                        ; kill: killed $vgpr53
                                        ; kill: killed $vgpr57
                                        ; kill: killed $vgpr56
                                        ; kill: killed $vgpr58
	s_nop 0
	global_load_ubyte v53, v54, s[10:11]
	global_load_ubyte v56, v59, s[10:11]
	global_load_dword v57, v[16:17], off offset:32
	v_mov_b32_e32 v16, 0
	v_mov_b32_e32 v17, 0
	s_waitcnt vmcnt(36)
	v_bfe_u32 v32, v32, v23, 4
	s_waitcnt vmcnt(35)
	v_cvt_f32_f16_e32 v0, v0
	s_waitcnt vmcnt(33)
	v_lshrrev_b32_sdwa v54, v24, v61 dst_sel:DWORD dst_unused:UNUSED_PAD src0_sel:DWORD src1_sel:WORD_1
	v_lshlrev_b32_e32 v54, 4, v54
	v_and_or_b32 v32, v54, 48, v32
	v_subrev_u32_e32 v32, 32, v32
	v_cvt_f32_f16_e32 v54, v61
	v_cvt_f32_i32_e32 v32, v32
	s_waitcnt vmcnt(30)
	v_lshlrev_b32_e32 v26, 16, v26
	s_waitcnt vmcnt(29)
	v_lshlrev_b32_e32 v27, 16, v27
	s_waitcnt vmcnt(28)
	v_lshl_or_b32 v30, v62, 8, v30
	s_waitcnt vmcnt(27)
	v_lshlrev_b32_e32 v36, 24, v36
	v_or3_b32 v27, v30, v27, v36
	v_dot4c_i32_i8_e32 v17, v27, v5
	s_waitcnt vmcnt(26)
	v_lshl_or_b32 v31, v63, 8, v31
	s_waitcnt vmcnt(25)
	v_lshlrev_b32_e32 v33, 24, v33
	v_or3_b32 v26, v31, v26, v33
	v_dot4c_i32_i8_e32 v16, v26, v1
	s_waitcnt vmcnt(22)
	v_lshlrev_b32_e32 v28, 16, v28
	s_waitcnt vmcnt(21)
	v_lshlrev_b32_e32 v29, 16, v29
	s_waitcnt vmcnt(20)
	v_lshl_or_b32 v34, v34, 8, v39
	s_waitcnt vmcnt(18)
	v_lshl_or_b32 v35, v35, 8, v40
	s_waitcnt vmcnt(17)
	v_lshlrev_b32_e32 v41, 24, v41
	v_lshlrev_b32_e32 v40, 24, v44
	v_or3_b32 v28, v35, v28, v41
	v_or3_b32 v29, v34, v29, v40
	v_dot4c_i32_i8_e32 v16, v28, v2
	v_dot4c_i32_i8_e32 v17, v29, v6
	v_mul_f32_e32 v2, v54, v32
	s_waitcnt vmcnt(14)
	v_lshlrev_b32_e32 v37, 16, v37
	s_waitcnt vmcnt(13)
	v_lshlrev_b32_e32 v38, 16, v38
	s_waitcnt vmcnt(12)
	v_lshl_or_b32 v42, v42, 8, v47
	s_waitcnt vmcnt(11)
	v_lshlrev_b32_e32 v44, 24, v52
	v_or3_b32 v31, v42, v38, v44
	v_dot4c_i32_i8_e32 v17, v31, v7
	v_mul_f32_e32 v0, v2, v0
	s_waitcnt vmcnt(10)
	v_lshl_or_b32 v43, v43, 8, v48
	s_waitcnt vmcnt(9)
	v_lshlrev_b32_e32 v39, 24, v49
	v_or3_b32 v30, v43, v37, v39
	v_dot4c_i32_i8_e32 v16, v30, v3
	s_waitcnt vmcnt(6)
	v_lshlrev_b32_e32 v45, 16, v45
	s_waitcnt vmcnt(5)
	v_lshlrev_b32_e32 v46, 16, v46
	;; [unrolled: 2-line block ×4, first 2 shown]
	s_waitcnt vmcnt(2)
	v_lshl_or_b32 v48, v51, 8, v53
	s_waitcnt vmcnt(1)
	v_lshl_or_b32 v50, v50, 8, v56
	v_or3_b32 v33, v48, v45, v47
	v_or3_b32 v34, v50, v46, v49
	v_dot4c_i32_i8_e32 v16, v33, v4
	s_waitcnt vmcnt(0)
	v_dot4c_i32_i8_e32 v17, v34, v57
	s_nop 2
	v_add_u32_e32 v1, v17, v16
	v_cvt_f32_i32_e32 v1, v1
	v_fmac_f32_e32 v21, v0, v1
	s_andn2_b64 exec, exec, s[0:1]
	s_cbranch_execnz .LBB95_3
; %bb.4:
	s_or_b64 exec, exec, s[0:1]
.LBB95_5:
	s_or_b64 exec, exec, s[8:9]
	v_mbcnt_lo_u32_b32 v0, -1, 0
	v_mbcnt_hi_u32_b32 v1, -1, v0
	v_and_b32_e32 v0, 64, v1
	v_add_u32_e32 v2, 64, v0
	v_xor_b32_e32 v0, 32, v1
	v_cmp_lt_i32_e32 vcc, v0, v2
	v_xor_b32_e32 v3, 16, v1
	v_xor_b32_e32 v4, 8, v1
	v_cndmask_b32_e32 v0, v1, v0, vcc
	v_lshlrev_b32_e32 v0, 2, v0
	ds_bpermute_b32 v0, v0, v21
	v_cmp_lt_i32_e32 vcc, v3, v2
	s_waitcnt lgkmcnt(0)
	v_add_f32_e32 v0, v21, v0
	v_cndmask_b32_e32 v3, v1, v3, vcc
	v_lshlrev_b32_e32 v3, 2, v3
	ds_bpermute_b32 v3, v3, v0
	v_cmp_lt_i32_e32 vcc, v4, v2
	s_waitcnt lgkmcnt(0)
	v_add_f32_e32 v0, v0, v3
	v_cndmask_b32_e32 v3, v1, v4, vcc
	v_lshlrev_b32_e32 v3, 2, v3
	ds_bpermute_b32 v3, v3, v0
	v_xor_b32_e32 v4, 4, v1
	v_cmp_lt_i32_e32 vcc, v4, v2
	s_waitcnt lgkmcnt(0)
	v_add_f32_e32 v0, v0, v3
	v_cndmask_b32_e32 v3, v1, v4, vcc
	v_lshlrev_b32_e32 v3, 2, v3
	ds_bpermute_b32 v3, v3, v0
	v_xor_b32_e32 v4, 2, v1
	;; [unrolled: 7-line block ×3, first 2 shown]
	v_cmp_lt_i32_e32 vcc, v4, v2
	s_waitcnt lgkmcnt(0)
	v_add_f32_e32 v0, v0, v3
	v_cndmask_b32_e32 v1, v1, v4, vcc
	v_lshlrev_b32_e32 v1, 2, v1
	ds_bpermute_b32 v1, v1, v0
	v_cmp_eq_u32_e32 vcc, 0, v19
	s_and_b64 exec, exec, vcc
	s_cbranch_execz .LBB95_7
; %bb.6:
	s_waitcnt lgkmcnt(0)
	v_add_f32_e32 v0, v0, v1
	v_cvt_f16_f32_e32 v2, v0
	s_mul_i32 s3, s3, s5
	v_add_u32_e32 v0, s3, v18
	v_mov_b32_e32 v1, 0
	v_lshl_add_u64 v[0:1], v[0:1], 1, s[6:7]
	global_store_short v[0:1], v2, off
.LBB95_7:
	s_endpgm
	.section	.rodata,"a",@progbits
	.p2align	6, 0x0
	.amdhsa_kernel _ZL13mul_mat_vec_qIN3c104HalfELi256ELi8E12block_iq4_xsLi1EXadL_ZL19vec_dot_iq4_xs_q8_1PKvPK10block_q8_1RKiEEEvS4_S4_PT_iii
		.amdhsa_group_segment_fixed_size 0
		.amdhsa_private_segment_fixed_size 0
		.amdhsa_kernarg_size 296
		.amdhsa_user_sgpr_count 2
		.amdhsa_user_sgpr_dispatch_ptr 0
		.amdhsa_user_sgpr_queue_ptr 0
		.amdhsa_user_sgpr_kernarg_segment_ptr 1
		.amdhsa_user_sgpr_dispatch_id 0
		.amdhsa_user_sgpr_kernarg_preload_length 0
		.amdhsa_user_sgpr_kernarg_preload_offset 0
		.amdhsa_user_sgpr_private_segment_size 0
		.amdhsa_uses_dynamic_stack 0
		.amdhsa_enable_private_segment 0
		.amdhsa_system_sgpr_workgroup_id_x 1
		.amdhsa_system_sgpr_workgroup_id_y 1
		.amdhsa_system_sgpr_workgroup_id_z 0
		.amdhsa_system_sgpr_workgroup_info 0
		.amdhsa_system_vgpr_workitem_id 1
		.amdhsa_next_free_vgpr 64
		.amdhsa_next_free_sgpr 16
		.amdhsa_accum_offset 64
		.amdhsa_reserve_vcc 1
		.amdhsa_float_round_mode_32 0
		.amdhsa_float_round_mode_16_64 0
		.amdhsa_float_denorm_mode_32 3
		.amdhsa_float_denorm_mode_16_64 3
		.amdhsa_dx10_clamp 1
		.amdhsa_ieee_mode 1
		.amdhsa_fp16_overflow 0
		.amdhsa_tg_split 0
		.amdhsa_exception_fp_ieee_invalid_op 0
		.amdhsa_exception_fp_denorm_src 0
		.amdhsa_exception_fp_ieee_div_zero 0
		.amdhsa_exception_fp_ieee_overflow 0
		.amdhsa_exception_fp_ieee_underflow 0
		.amdhsa_exception_fp_ieee_inexact 0
		.amdhsa_exception_int_div_zero 0
	.end_amdhsa_kernel
	.section	.text._ZL13mul_mat_vec_qIN3c104HalfELi256ELi8E12block_iq4_xsLi1EXadL_ZL19vec_dot_iq4_xs_q8_1PKvPK10block_q8_1RKiEEEvS4_S4_PT_iii,"axG",@progbits,_ZL13mul_mat_vec_qIN3c104HalfELi256ELi8E12block_iq4_xsLi1EXadL_ZL19vec_dot_iq4_xs_q8_1PKvPK10block_q8_1RKiEEEvS4_S4_PT_iii,comdat
.Lfunc_end95:
	.size	_ZL13mul_mat_vec_qIN3c104HalfELi256ELi8E12block_iq4_xsLi1EXadL_ZL19vec_dot_iq4_xs_q8_1PKvPK10block_q8_1RKiEEEvS4_S4_PT_iii, .Lfunc_end95-_ZL13mul_mat_vec_qIN3c104HalfELi256ELi8E12block_iq4_xsLi1EXadL_ZL19vec_dot_iq4_xs_q8_1PKvPK10block_q8_1RKiEEEvS4_S4_PT_iii
                                        ; -- End function
	.section	.AMDGPU.csdata,"",@progbits
; Kernel info:
; codeLenInByte = 1564
; NumSgprs: 22
; NumVgprs: 64
; NumAgprs: 0
; TotalNumVgprs: 64
; ScratchSize: 0
; MemoryBound: 0
; FloatMode: 240
; IeeeMode: 1
; LDSByteSize: 0 bytes/workgroup (compile time only)
; SGPRBlocks: 2
; VGPRBlocks: 7
; NumSGPRsForWavesPerEU: 22
; NumVGPRsForWavesPerEU: 64
; AccumOffset: 64
; Occupancy: 8
; WaveLimiterHint : 0
; COMPUTE_PGM_RSRC2:SCRATCH_EN: 0
; COMPUTE_PGM_RSRC2:USER_SGPR: 2
; COMPUTE_PGM_RSRC2:TRAP_HANDLER: 0
; COMPUTE_PGM_RSRC2:TGID_X_EN: 1
; COMPUTE_PGM_RSRC2:TGID_Y_EN: 1
; COMPUTE_PGM_RSRC2:TGID_Z_EN: 0
; COMPUTE_PGM_RSRC2:TIDIG_COMP_CNT: 1
; COMPUTE_PGM_RSRC3_GFX90A:ACCUM_OFFSET: 15
; COMPUTE_PGM_RSRC3_GFX90A:TG_SPLIT: 0
	.section	.text._ZL13mul_mat_vec_qIN3c104HalfELi256ELi8E11block_iq1_mLi1EXadL_ZL18vec_dot_iq1_m_q8_1PKvPK10block_q8_1RKiEEEvS4_S4_PT_iii,"axG",@progbits,_ZL13mul_mat_vec_qIN3c104HalfELi256ELi8E11block_iq1_mLi1EXadL_ZL18vec_dot_iq1_m_q8_1PKvPK10block_q8_1RKiEEEvS4_S4_PT_iii,comdat
	.globl	_ZL13mul_mat_vec_qIN3c104HalfELi256ELi8E11block_iq1_mLi1EXadL_ZL18vec_dot_iq1_m_q8_1PKvPK10block_q8_1RKiEEEvS4_S4_PT_iii ; -- Begin function _ZL13mul_mat_vec_qIN3c104HalfELi256ELi8E11block_iq1_mLi1EXadL_ZL18vec_dot_iq1_m_q8_1PKvPK10block_q8_1RKiEEEvS4_S4_PT_iii
	.p2align	8
	.type	_ZL13mul_mat_vec_qIN3c104HalfELi256ELi8E11block_iq1_mLi1EXadL_ZL18vec_dot_iq1_m_q8_1PKvPK10block_q8_1RKiEEEvS4_S4_PT_iii,@function
_ZL13mul_mat_vec_qIN3c104HalfELi256ELi8E11block_iq1_mLi1EXadL_ZL18vec_dot_iq1_m_q8_1PKvPK10block_q8_1RKiEEEvS4_S4_PT_iii: ; @_ZL13mul_mat_vec_qIN3c104HalfELi256ELi8E11block_iq1_mLi1EXadL_ZL18vec_dot_iq1_m_q8_1PKvPK10block_q8_1RKiEEEvS4_S4_PT_iii
; %bb.0:
	s_load_dword s8, s[0:1], 0x34
	s_load_dwordx4 s[4:7], s[0:1], 0x18
	v_bfe_u32 v1, v0, 10, 10
	s_waitcnt lgkmcnt(0)
	s_lshr_b32 s7, s8, 16
	s_mul_i32 s2, s2, s7
	v_add_u32_e32 v9, s2, v1
	s_cmp_lt_u32 s3, s6
	v_cmp_gt_u32_e32 vcc, s5, v9
	s_cselect_b64 s[6:7], -1, 0
	s_and_b64 s[6:7], s[6:7], vcc
	s_and_saveexec_b64 s[8:9], s[6:7]
	s_cbranch_execz .LBB96_7
; %bb.1:
	s_load_dwordx2 s[6:7], s[0:1], 0x10
	s_ashr_i32 s2, s4, 31
	s_lshr_b32 s2, s2, 24
	s_add_i32 s2, s4, s2
	v_and_b32_e32 v18, 0x3ff, v0
	s_ashr_i32 s14, s2, 8
	v_lshrrev_b32_e32 v19, 3, v18
	v_cmp_gt_u32_e32 vcc, s14, v19
	v_mov_b32_e32 v21, 0
	s_and_saveexec_b64 s[12:13], vcc
	s_cbranch_execz .LBB96_5
; %bb.2:
	s_load_dwordx4 s[8:11], s[0:1], 0x0
	s_add_i32 s0, s4, 0x1ff
	s_ashr_i32 s1, s0, 31
	s_lshr_b32 s1, s1, 23
	s_add_i32 s0, s0, s1
	s_ashr_i32 s0, s0, 9
	v_and_b32_e32 v1, 1, v18
	s_mul_i32 s0, s3, s0
	v_and_b32_e32 v8, 7, v18
	v_mov_b32_e32 v11, 0
	v_bfe_u32 v0, v18, 1, 2
	v_cmp_eq_u32_e32 vcc, 1, v1
	v_lshlrev_b32_e32 v1, 3, v19
	s_mov_b32 s18, 0xbf600000
	v_mul_lo_u32 v20, v9, s14
	v_lshlrev_b32_e32 v10, 1, v8
	v_cndmask_b32_e64 v22, 0, 6, vcc
	v_lshl_add_u32 v23, s0, 4, v1
	s_mov_b64 s[0:1], 0
	v_lshlrev_b32_e32 v12, 2, v8
	s_mov_b32 s4, 0x40008
	s_movk_i32 s15, 0xf000
	v_lshlrev_b32_e32 v14, 1, v0
	s_movk_i32 s16, 0x700
	s_mov_b32 s2, 0x3d000000
	v_mov_b64_e32 v[16:17], s[18:19]
	v_mov_b32_e32 v13, v11
	v_mov_b32_e32 v15, v11
	;; [unrolled: 1-line block ×4, first 2 shown]
.LBB96_3:                               ; =>This Inner Loop Header: Depth=1
	v_add_u32_e32 v0, v20, v19
	s_waitcnt lgkmcnt(0)
	v_mad_i64_i32 v[26:27], s[18:19], v0, 56, s[8:9]
	v_lshl_add_u64 v[0:1], v[26:27], 0, v[12:13]
	v_lshl_add_u64 v[2:3], v[26:27], 0, v[10:11]
	global_load_dword v25, v[0:1], off
	global_load_ushort v30, v[2:3], off offset:32
	v_mad_i64_i32 v[0:1], s[18:19], v23, 36, s[10:11]
	v_mad_u64_u32 v[28:29], s[20:21], v8, 36, v[0:1]
	s_getpc_b64 s[18:19]
	s_add_u32 s18, s18, _ZL13iq1s_grid_gpu@rel32@lo+4
	s_addc_u32 s19, s19, _ZL13iq1s_grid_gpu@rel32@hi+12
	global_load_dword v36, v[28:29], off offset:32
	global_load_dwordx4 v[4:7], v[28:29], off
	global_load_dwordx4 v[0:3], v[28:29], off offset:16
	v_lshl_add_u64 v[28:29], v[26:27], 0, v[14:15]
	global_load_dwordx2 v[26:27], v[26:27], off offset:48
	v_mov_b32_e32 v42, 0
	v_mov_b32_e32 v43, 0
	v_add_u32_e32 v19, 8, v19
	v_cmp_le_u32_e32 vcc, s14, v19
	v_add_u32_e32 v23, 64, v23
	s_or_b64 s[0:1], vcc, s[0:1]
	s_waitcnt vmcnt(5)
	v_and_b32_e32 v31, 0xff, v25
	s_waitcnt vmcnt(4)
	v_lshlrev_b32_e32 v34, 8, v30
	v_lshrrev_b16_e32 v37, 4, v30
	v_and_or_b32 v31, v34, s16, v31
	v_and_b32_e32 v34, 15, v37
	v_bfe_u32 v32, v25, 8, 8
	v_lshrrev_b16_e32 v35, 12, v30
	v_lshlrev_b32_e32 v34, 8, v34
	v_bfe_u32 v33, v25, 16, 8
	v_lshlrev_b32_sdwa v38, v24, v30 dst_sel:DWORD dst_unused:UNUSED_PAD src0_sel:DWORD src1_sel:BYTE_1
	v_alignbit_b32 v25, v35, v25, 24
	v_lshlrev_b32_e32 v31, 3, v31
	v_and_or_b32 v32, v34, s16, v32
	v_and_or_b32 v33, v38, s16, v33
	v_and_b32_e32 v25, 0x7ff, v25
	global_load_dword v38, v31, s[18:19]
	v_lshlrev_b32_e32 v31, 3, v32
	v_lshlrev_b32_e32 v33, 3, v33
	;; [unrolled: 1-line block ×3, first 2 shown]
	global_load_dword v39, v31, s[18:19]
	global_load_dword v40, v33, s[18:19]
	;; [unrolled: 1-line block ×3, first 2 shown]
	global_load_ushort v32, v[28:29], off offset:48
	v_mov_b32_e32 v25, 0
	v_mov_b32_e32 v28, 0
	s_waitcnt vmcnt(7)
	v_dot4c_i32_i8_e32 v25, 0x1010101, v5
	s_waitcnt vmcnt(6)
	v_dot4c_i32_i8_e32 v28, 0x1010101, v1
	v_dot4c_i32_i8_e32 v25, 0x1010101, v6
	;; [unrolled: 1-line block ×3, first 2 shown]
	s_waitcnt vmcnt(5)
	v_alignbit_b32 v29, v27, v26, 16
	v_lshrrev_b16_e32 v34, 12, v26
	v_and_b32_sdwa v44, v27, s15 dst_sel:DWORD dst_unused:UNUSED_PAD src0_sel:WORD_1 src1_sel:DWORD
	v_and_b32_sdwa v27, v30, v24 dst_sel:DWORD dst_unused:UNUSED_PAD src0_sel:BYTE_1 src1_sel:DWORD
	v_and_b32_e32 v30, 8, v30
	v_cvt_f32_ubyte0_e32 v27, v27
	v_mov_b32_e32 v33, 0
	v_mov_b32_e32 v31, 0
	v_dot4c_i32_i8_e32 v33, 0x1010101, v7
	v_dot4c_i32_i8_e32 v31, 0x1010101, v3
	;; [unrolled: 1-line block ×4, first 2 shown]
	v_and_b32_e32 v35, 8, v35
	v_cvt_f32_f16_e32 v4, v4
	s_waitcnt vmcnt(0)
	v_lshrrev_b32_e32 v26, v22, v32
	v_pk_lshrrev_b16 v32, s4, v29
	v_cvt_f32_i32_e32 v29, v28
	v_cvt_f32_i32_e32 v28, v25
	v_lshlrev_b32_e32 v45, 1, v26
	v_lshrrev_b32_e32 v46, 2, v26
	v_cvt_f32_ubyte0_e32 v26, v30
	v_pk_fma_f32 v[26:27], v[26:27], s[2:3], v[16:17] op_sel_hi:[1,0,0] neg_lo:[1,0,0] neg_hi:[1,0,0]
	v_and_b32_e32 v25, 8, v37
	v_pk_fma_f32 v[26:27], v[26:27], v[28:29], 0 op_sel_hi:[1,1,0]
	v_and_b32_e32 v28, 0xf0f0f0f, v38
	v_lshrrev_b32_e32 v29, 4, v38
	v_and_b32_e32 v29, 0xf0f0f0f, v29
	v_dot4c_i32_i8_e32 v42, v28, v5
	v_and_b32_e32 v37, 0xf0000f0, v32
	v_dot4c_i32_i8_e32 v42, v29, v6
	v_and_b32_e32 v5, 0xf0f0f0f, v39
	v_and_b32_e32 v28, 0xf0f0f0f, v40
	v_lshrrev_b32_e32 v29, 4, v40
	v_cvt_f32_ubyte0_e32 v32, v25
	v_and_or_b32 v25, v45, 14, 1
	v_or_b32_e32 v45, v37, v34
	v_dot4c_i32_i8_e32 v42, v5, v7
	v_and_b32_e32 v5, 0xf0f0f0f, v29
	v_dot4c_i32_i8_e32 v43, v28, v1
	v_cvt_f32_ubyte0_e32 v34, v25
	v_or_b32_sdwa v25, v45, v37 dst_sel:DWORD dst_unused:UNUSED_PAD src0_sel:DWORD src1_sel:WORD_1
	v_lshrrev_b32_e32 v6, 4, v39
	v_and_b32_e32 v37, 0xf0f0f0f, v41
	v_lshrrev_b32_e32 v38, 4, v41
	v_dot4c_i32_i8_e32 v43, v5, v2
	v_and_b32_e32 v6, 0xf0f0f0f, v6
	v_and_b32_e32 v1, 0xf0f0f0f, v38
	v_dot4c_i32_i8_e32 v43, v37, v3
	v_cvt_f32_i32_e32 v31, v31
	v_cvt_f32_i32_e32 v30, v33
	v_dot4c_i32_i8_e32 v42, v6, v0
	v_dot4c_i32_i8_e32 v43, v1, v36
	v_cvt_f32_ubyte0_e32 v33, v35
	v_or_b32_e32 v25, v25, v44
	v_cvt_f32_i32_e32 v0, v42
	v_cvt_f32_i32_e32 v1, v43
	v_pk_fma_f32 v[32:33], v[32:33], s[2:3], v[16:17] op_sel_hi:[1,0,0] neg_lo:[1,0,0] neg_hi:[1,0,0]
	v_cvt_f32_f16_e32 v5, v25
	v_and_or_b32 v35, v46, 14, 1
	v_pk_fma_f32 v[2:3], v[32:33], v[30:31], v[26:27]
	v_cvt_f32_ubyte0_e32 v35, v35
	v_pk_add_f32 v[0:1], v[2:3], v[0:1]
	v_mul_f32_e32 v4, v5, v4
	v_pk_mul_f32 v[0:1], v[0:1], v[34:35]
	s_nop 0
	v_add_f32_e32 v0, v0, v1
	v_fmac_f32_e32 v21, v4, v0
	s_andn2_b64 exec, exec, s[0:1]
	s_cbranch_execnz .LBB96_3
; %bb.4:
	s_or_b64 exec, exec, s[0:1]
.LBB96_5:
	s_or_b64 exec, exec, s[12:13]
	v_mbcnt_lo_u32_b32 v0, -1, 0
	v_mbcnt_hi_u32_b32 v1, -1, v0
	v_and_b32_e32 v0, 64, v1
	v_add_u32_e32 v2, 64, v0
	v_xor_b32_e32 v0, 32, v1
	v_cmp_lt_i32_e32 vcc, v0, v2
	v_xor_b32_e32 v3, 16, v1
	v_xor_b32_e32 v4, 8, v1
	v_cndmask_b32_e32 v0, v1, v0, vcc
	v_lshlrev_b32_e32 v0, 2, v0
	ds_bpermute_b32 v0, v0, v21
	v_cmp_lt_i32_e32 vcc, v3, v2
	s_waitcnt lgkmcnt(0)
	v_add_f32_e32 v0, v21, v0
	v_cndmask_b32_e32 v3, v1, v3, vcc
	v_lshlrev_b32_e32 v3, 2, v3
	ds_bpermute_b32 v3, v3, v0
	v_cmp_lt_i32_e32 vcc, v4, v2
	s_waitcnt lgkmcnt(0)
	v_add_f32_e32 v0, v0, v3
	v_cndmask_b32_e32 v3, v1, v4, vcc
	v_lshlrev_b32_e32 v3, 2, v3
	ds_bpermute_b32 v3, v3, v0
	v_xor_b32_e32 v4, 4, v1
	v_cmp_lt_i32_e32 vcc, v4, v2
	s_waitcnt lgkmcnt(0)
	v_add_f32_e32 v0, v0, v3
	v_cndmask_b32_e32 v3, v1, v4, vcc
	v_lshlrev_b32_e32 v3, 2, v3
	ds_bpermute_b32 v3, v3, v0
	v_xor_b32_e32 v4, 2, v1
	;; [unrolled: 7-line block ×3, first 2 shown]
	v_cmp_lt_i32_e32 vcc, v4, v2
	s_waitcnt lgkmcnt(0)
	v_add_f32_e32 v0, v0, v3
	v_cndmask_b32_e32 v1, v1, v4, vcc
	v_lshlrev_b32_e32 v1, 2, v1
	ds_bpermute_b32 v1, v1, v0
	v_cmp_eq_u32_e32 vcc, 0, v18
	s_and_b64 exec, exec, vcc
	s_cbranch_execz .LBB96_7
; %bb.6:
	s_waitcnt lgkmcnt(0)
	v_add_f32_e32 v0, v0, v1
	v_cvt_f16_f32_e32 v2, v0
	s_mul_i32 s3, s3, s5
	v_add_u32_e32 v0, s3, v9
	v_mov_b32_e32 v1, 0
	v_lshl_add_u64 v[0:1], v[0:1], 1, s[6:7]
	global_store_short v[0:1], v2, off
.LBB96_7:
	s_endpgm
	.section	.rodata,"a",@progbits
	.p2align	6, 0x0
	.amdhsa_kernel _ZL13mul_mat_vec_qIN3c104HalfELi256ELi8E11block_iq1_mLi1EXadL_ZL18vec_dot_iq1_m_q8_1PKvPK10block_q8_1RKiEEEvS4_S4_PT_iii
		.amdhsa_group_segment_fixed_size 0
		.amdhsa_private_segment_fixed_size 0
		.amdhsa_kernarg_size 296
		.amdhsa_user_sgpr_count 2
		.amdhsa_user_sgpr_dispatch_ptr 0
		.amdhsa_user_sgpr_queue_ptr 0
		.amdhsa_user_sgpr_kernarg_segment_ptr 1
		.amdhsa_user_sgpr_dispatch_id 0
		.amdhsa_user_sgpr_kernarg_preload_length 0
		.amdhsa_user_sgpr_kernarg_preload_offset 0
		.amdhsa_user_sgpr_private_segment_size 0
		.amdhsa_uses_dynamic_stack 0
		.amdhsa_enable_private_segment 0
		.amdhsa_system_sgpr_workgroup_id_x 1
		.amdhsa_system_sgpr_workgroup_id_y 1
		.amdhsa_system_sgpr_workgroup_id_z 0
		.amdhsa_system_sgpr_workgroup_info 0
		.amdhsa_system_vgpr_workitem_id 1
		.amdhsa_next_free_vgpr 47
		.amdhsa_next_free_sgpr 22
		.amdhsa_accum_offset 48
		.amdhsa_reserve_vcc 1
		.amdhsa_float_round_mode_32 0
		.amdhsa_float_round_mode_16_64 0
		.amdhsa_float_denorm_mode_32 3
		.amdhsa_float_denorm_mode_16_64 3
		.amdhsa_dx10_clamp 1
		.amdhsa_ieee_mode 1
		.amdhsa_fp16_overflow 0
		.amdhsa_tg_split 0
		.amdhsa_exception_fp_ieee_invalid_op 0
		.amdhsa_exception_fp_denorm_src 0
		.amdhsa_exception_fp_ieee_div_zero 0
		.amdhsa_exception_fp_ieee_overflow 0
		.amdhsa_exception_fp_ieee_underflow 0
		.amdhsa_exception_fp_ieee_inexact 0
		.amdhsa_exception_int_div_zero 0
	.end_amdhsa_kernel
	.section	.text._ZL13mul_mat_vec_qIN3c104HalfELi256ELi8E11block_iq1_mLi1EXadL_ZL18vec_dot_iq1_m_q8_1PKvPK10block_q8_1RKiEEEvS4_S4_PT_iii,"axG",@progbits,_ZL13mul_mat_vec_qIN3c104HalfELi256ELi8E11block_iq1_mLi1EXadL_ZL18vec_dot_iq1_m_q8_1PKvPK10block_q8_1RKiEEEvS4_S4_PT_iii,comdat
.Lfunc_end96:
	.size	_ZL13mul_mat_vec_qIN3c104HalfELi256ELi8E11block_iq1_mLi1EXadL_ZL18vec_dot_iq1_m_q8_1PKvPK10block_q8_1RKiEEEvS4_S4_PT_iii, .Lfunc_end96-_ZL13mul_mat_vec_qIN3c104HalfELi256ELi8E11block_iq1_mLi1EXadL_ZL18vec_dot_iq1_m_q8_1PKvPK10block_q8_1RKiEEEvS4_S4_PT_iii
                                        ; -- End function
	.section	.AMDGPU.csdata,"",@progbits
; Kernel info:
; codeLenInByte = 1284
; NumSgprs: 28
; NumVgprs: 47
; NumAgprs: 0
; TotalNumVgprs: 47
; ScratchSize: 0
; MemoryBound: 0
; FloatMode: 240
; IeeeMode: 1
; LDSByteSize: 0 bytes/workgroup (compile time only)
; SGPRBlocks: 3
; VGPRBlocks: 5
; NumSGPRsForWavesPerEU: 28
; NumVGPRsForWavesPerEU: 47
; AccumOffset: 48
; Occupancy: 8
; WaveLimiterHint : 0
; COMPUTE_PGM_RSRC2:SCRATCH_EN: 0
; COMPUTE_PGM_RSRC2:USER_SGPR: 2
; COMPUTE_PGM_RSRC2:TRAP_HANDLER: 0
; COMPUTE_PGM_RSRC2:TGID_X_EN: 1
; COMPUTE_PGM_RSRC2:TGID_Y_EN: 1
; COMPUTE_PGM_RSRC2:TGID_Z_EN: 0
; COMPUTE_PGM_RSRC2:TIDIG_COMP_CNT: 1
; COMPUTE_PGM_RSRC3_GFX90A:ACCUM_OFFSET: 11
; COMPUTE_PGM_RSRC3_GFX90A:TG_SPLIT: 0
	.section	.text._ZL13quantize_q8_1IN3c108BFloat16EEvPKT_Pvii,"axG",@progbits,_ZL13quantize_q8_1IN3c108BFloat16EEvPKT_Pvii,comdat
	.globl	_ZL13quantize_q8_1IN3c108BFloat16EEvPKT_Pvii ; -- Begin function _ZL13quantize_q8_1IN3c108BFloat16EEvPKT_Pvii
	.p2align	8
	.type	_ZL13quantize_q8_1IN3c108BFloat16EEvPKT_Pvii,@function
_ZL13quantize_q8_1IN3c108BFloat16EEvPKT_Pvii: ; @_ZL13quantize_q8_1IN3c108BFloat16EEvPKT_Pvii
; %bb.0:
	s_load_dword s6, s[0:1], 0x24
	s_load_dwordx2 s[4:5], s[0:1], 0x10
	s_add_u32 s8, s0, 24
	s_addc_u32 s9, s1, 0
	v_and_b32_e32 v1, 0x3ff, v0
	s_waitcnt lgkmcnt(0)
	s_and_b32 s6, s6, 0xffff
	s_mul_i32 s2, s2, s6
	v_add_u32_e32 v2, s2, v1
	v_cmp_gt_u32_e32 vcc, s5, v2
	s_and_saveexec_b64 s[6:7], vcc
	s_cbranch_execz .LBB97_7
; %bb.1:
	s_load_dword s2, s[8:9], 0xc
	s_load_dwordx2 s[6:7], s[0:1], 0x8
	v_bfe_u32 v0, v0, 10, 10
	v_cmp_gt_u32_e32 vcc, s4, v2
	v_mov_b32_e32 v3, 0
	s_waitcnt lgkmcnt(0)
	s_lshr_b32 s2, s2, 16
	s_mul_i32 s3, s3, s2
	v_add_u32_e32 v0, s3, v0
	v_mov_b32_e32 v1, 0
	s_and_saveexec_b64 s[2:3], vcc
	s_cbranch_execz .LBB97_3
; %bb.2:
	s_load_dwordx2 s[0:1], s[0:1], 0x0
	v_mad_u64_u32 v[4:5], s[8:9], v0, s4, v[2:3]
	v_mov_b32_e32 v5, 0
	s_waitcnt lgkmcnt(0)
	v_lshl_add_u64 v[4:5], v[4:5], 1, s[0:1]
	global_load_ushort v1, v[4:5], off
	s_waitcnt vmcnt(0)
	v_lshlrev_b32_e32 v1, 16, v1
.LBB97_3:
	s_or_b64 exec, exec, s[2:3]
	v_mbcnt_lo_u32_b32 v5, -1, 0
	v_mbcnt_hi_u32_b32 v5, -1, v5
	v_and_b32_e32 v6, 0x60, v5
	v_add_u32_e32 v6, 32, v6
	v_xor_b32_e32 v7, 16, v5
	v_cmp_lt_i32_e32 vcc, v7, v6
	v_and_b32_e32 v4, 0x7fffffff, v1
	v_max_f32_e64 v8, |v1|, |v1|
	v_cndmask_b32_e32 v7, v5, v7, vcc
	v_lshlrev_b32_e32 v7, 2, v7
	ds_bpermute_b32 v4, v7, v4
	ds_bpermute_b32 v7, v7, v1
	s_mov_b32 s3, 0x42fe0000
	s_brev_b32 s2, -2
	s_waitcnt lgkmcnt(1)
	v_max_f32_e32 v4, v4, v4
	v_max_f32_e32 v4, v8, v4
	v_xor_b32_e32 v8, 8, v5
	v_cmp_lt_i32_e32 vcc, v8, v6
	s_waitcnt lgkmcnt(0)
	v_add_f32_e32 v7, v1, v7
	v_cndmask_b32_e32 v8, v5, v8, vcc
	v_lshlrev_b32_e32 v8, 2, v8
	ds_bpermute_b32 v9, v8, v4
	ds_bpermute_b32 v8, v8, v7
	s_waitcnt lgkmcnt(1)
	v_max_f32_e32 v9, v9, v9
	v_max_f32_e32 v4, v4, v9
	v_xor_b32_e32 v9, 4, v5
	v_cmp_lt_i32_e32 vcc, v9, v6
	s_waitcnt lgkmcnt(0)
	v_add_f32_e32 v7, v7, v8
	v_cndmask_b32_e32 v9, v5, v9, vcc
	v_lshlrev_b32_e32 v9, 2, v9
	ds_bpermute_b32 v10, v9, v4
	ds_bpermute_b32 v8, v9, v7
	;; [unrolled: 11-line block ×3, first 2 shown]
	s_waitcnt lgkmcnt(1)
	v_max_f32_e32 v9, v11, v11
	v_max_f32_e32 v4, v4, v9
	v_xor_b32_e32 v9, 1, v5
	v_cmp_lt_i32_e32 vcc, v9, v6
	s_nop 1
	v_cndmask_b32_e32 v5, v5, v9, vcc
	v_lshlrev_b32_e32 v5, 2, v5
	ds_bpermute_b32 v6, v5, v4
	s_waitcnt lgkmcnt(0)
	v_max_f32_e32 v6, v6, v6
	v_max_f32_e32 v9, v4, v6
	v_div_scale_f32 v6, s[0:1], s3, s3, v9
	v_rcp_f32_e32 v10, v6
	v_add_f32_e32 v4, v7, v8
	ds_bpermute_b32 v5, v5, v4
	v_fma_f32 v7, -v6, v10, 1.0
	v_fmac_f32_e32 v10, v7, v10
	v_div_scale_f32 v7, vcc, v9, s3, v9
	v_mul_f32_e32 v8, v7, v10
	v_fma_f32 v11, -v6, v8, v7
	v_fmac_f32_e32 v8, v11, v10
	v_fma_f32 v6, -v6, v8, v7
	v_div_fmas_f32 v6, v6, v10, v8
	v_div_fixup_f32 v6, v6, s3, v9
	v_cmp_neq_f32_e32 vcc, 0, v9
	s_and_saveexec_b64 s[0:1], vcc
	s_cbranch_execz .LBB97_5
; %bb.4:
	v_div_scale_f32 v3, s[8:9], v6, v6, v1
	v_rcp_f32_e32 v7, v3
	v_div_scale_f32 v8, vcc, v1, v6, v1
	v_fma_f32 v9, -v3, v7, 1.0
	v_fmac_f32_e32 v7, v9, v7
	v_mul_f32_e32 v9, v8, v7
	v_fma_f32 v10, -v3, v9, v8
	v_fmac_f32_e32 v9, v10, v7
	v_fma_f32 v3, -v3, v9, v8
	v_div_fmas_f32 v3, v3, v7, v9
	v_div_fixup_f32 v1, v3, v6, v1
	v_trunc_f32_e32 v3, v1
	v_sub_f32_e32 v7, v1, v3
	v_cmp_ge_f32_e64 s[8:9], |v7|, 0.5
	s_nop 1
	v_cndmask_b32_e64 v7, 0, 1.0, s[8:9]
	v_bfi_b32 v1, s2, v7, v1
	v_add_f32_e32 v1, v3, v1
	v_cvt_i32_f32_e32 v3, v1
.LBB97_5:
	s_or_b64 exec, exec, s[0:1]
	v_mad_u64_u32 v[0:1], s[0:1], v0, s5, v[2:3]
	v_ashrrev_i32_e32 v1, 31, v0
	v_lshrrev_b32_e32 v1, 27, v1
	v_add_u32_e32 v1, v0, v1
	v_ashrrev_i32_e32 v2, 5, v1
	v_and_b32_e32 v1, 0xffffffe0, v1
	v_sub_u32_e32 v8, v0, v1
	v_mad_i64_i32 v[0:1], s[0:1], v2, 36, s[6:7]
	v_ashrrev_i32_e32 v9, 31, v8
	v_lshl_add_u64 v[10:11], v[0:1], 0, v[8:9]
	v_cmp_gt_i32_e32 vcc, 1, v8
	global_store_byte v[10:11], v3, off offset:4
	s_and_b64 exec, exec, vcc
	s_cbranch_execz .LBB97_7
; %bb.6:
	s_waitcnt lgkmcnt(0)
	v_add_f32_e32 v2, v4, v5
	v_cvt_f16_f32_e32 v2, v2
	v_cvt_f16_f32_e32 v3, v6
	v_pack_b32_f16 v2, v3, v2
	global_store_dword v[0:1], v2, off
.LBB97_7:
	s_endpgm
	.section	.rodata,"a",@progbits
	.p2align	6, 0x0
	.amdhsa_kernel _ZL13quantize_q8_1IN3c108BFloat16EEvPKT_Pvii
		.amdhsa_group_segment_fixed_size 0
		.amdhsa_private_segment_fixed_size 0
		.amdhsa_kernarg_size 280
		.amdhsa_user_sgpr_count 2
		.amdhsa_user_sgpr_dispatch_ptr 0
		.amdhsa_user_sgpr_queue_ptr 0
		.amdhsa_user_sgpr_kernarg_segment_ptr 1
		.amdhsa_user_sgpr_dispatch_id 0
		.amdhsa_user_sgpr_kernarg_preload_length 0
		.amdhsa_user_sgpr_kernarg_preload_offset 0
		.amdhsa_user_sgpr_private_segment_size 0
		.amdhsa_uses_dynamic_stack 0
		.amdhsa_enable_private_segment 0
		.amdhsa_system_sgpr_workgroup_id_x 1
		.amdhsa_system_sgpr_workgroup_id_y 1
		.amdhsa_system_sgpr_workgroup_id_z 0
		.amdhsa_system_sgpr_workgroup_info 0
		.amdhsa_system_vgpr_workitem_id 1
		.amdhsa_next_free_vgpr 12
		.amdhsa_next_free_sgpr 10
		.amdhsa_accum_offset 12
		.amdhsa_reserve_vcc 1
		.amdhsa_float_round_mode_32 0
		.amdhsa_float_round_mode_16_64 0
		.amdhsa_float_denorm_mode_32 3
		.amdhsa_float_denorm_mode_16_64 3
		.amdhsa_dx10_clamp 1
		.amdhsa_ieee_mode 1
		.amdhsa_fp16_overflow 0
		.amdhsa_tg_split 0
		.amdhsa_exception_fp_ieee_invalid_op 0
		.amdhsa_exception_fp_denorm_src 0
		.amdhsa_exception_fp_ieee_div_zero 0
		.amdhsa_exception_fp_ieee_overflow 0
		.amdhsa_exception_fp_ieee_underflow 0
		.amdhsa_exception_fp_ieee_inexact 0
		.amdhsa_exception_int_div_zero 0
	.end_amdhsa_kernel
	.section	.text._ZL13quantize_q8_1IN3c108BFloat16EEvPKT_Pvii,"axG",@progbits,_ZL13quantize_q8_1IN3c108BFloat16EEvPKT_Pvii,comdat
.Lfunc_end97:
	.size	_ZL13quantize_q8_1IN3c108BFloat16EEvPKT_Pvii, .Lfunc_end97-_ZL13quantize_q8_1IN3c108BFloat16EEvPKT_Pvii
                                        ; -- End function
	.section	.AMDGPU.csdata,"",@progbits
; Kernel info:
; codeLenInByte = 800
; NumSgprs: 16
; NumVgprs: 12
; NumAgprs: 0
; TotalNumVgprs: 12
; ScratchSize: 0
; MemoryBound: 0
; FloatMode: 240
; IeeeMode: 1
; LDSByteSize: 0 bytes/workgroup (compile time only)
; SGPRBlocks: 1
; VGPRBlocks: 1
; NumSGPRsForWavesPerEU: 16
; NumVGPRsForWavesPerEU: 12
; AccumOffset: 12
; Occupancy: 8
; WaveLimiterHint : 0
; COMPUTE_PGM_RSRC2:SCRATCH_EN: 0
; COMPUTE_PGM_RSRC2:USER_SGPR: 2
; COMPUTE_PGM_RSRC2:TRAP_HANDLER: 0
; COMPUTE_PGM_RSRC2:TGID_X_EN: 1
; COMPUTE_PGM_RSRC2:TGID_Y_EN: 1
; COMPUTE_PGM_RSRC2:TGID_Z_EN: 0
; COMPUTE_PGM_RSRC2:TIDIG_COMP_CNT: 1
; COMPUTE_PGM_RSRC3_GFX90A:ACCUM_OFFSET: 2
; COMPUTE_PGM_RSRC3_GFX90A:TG_SPLIT: 0
	.section	.text._ZL13mul_mat_vec_qIN3c108BFloat16ELi32ELi4E10block_q4_0Li2EXadL_ZL17vec_dot_q4_0_q8_1PKvPK10block_q8_1RKiEEEvS4_S4_PT_iii,"axG",@progbits,_ZL13mul_mat_vec_qIN3c108BFloat16ELi32ELi4E10block_q4_0Li2EXadL_ZL17vec_dot_q4_0_q8_1PKvPK10block_q8_1RKiEEEvS4_S4_PT_iii,comdat
	.globl	_ZL13mul_mat_vec_qIN3c108BFloat16ELi32ELi4E10block_q4_0Li2EXadL_ZL17vec_dot_q4_0_q8_1PKvPK10block_q8_1RKiEEEvS4_S4_PT_iii ; -- Begin function _ZL13mul_mat_vec_qIN3c108BFloat16ELi32ELi4E10block_q4_0Li2EXadL_ZL17vec_dot_q4_0_q8_1PKvPK10block_q8_1RKiEEEvS4_S4_PT_iii
	.p2align	8
	.type	_ZL13mul_mat_vec_qIN3c108BFloat16ELi32ELi4E10block_q4_0Li2EXadL_ZL17vec_dot_q4_0_q8_1PKvPK10block_q8_1RKiEEEvS4_S4_PT_iii,@function
_ZL13mul_mat_vec_qIN3c108BFloat16ELi32ELi4E10block_q4_0Li2EXadL_ZL17vec_dot_q4_0_q8_1PKvPK10block_q8_1RKiEEEvS4_S4_PT_iii: ; @_ZL13mul_mat_vec_qIN3c108BFloat16ELi32ELi4E10block_q4_0Li2EXadL_ZL17vec_dot_q4_0_q8_1PKvPK10block_q8_1RKiEEEvS4_S4_PT_iii
; %bb.0:
	s_load_dword s8, s[0:1], 0x34
	s_load_dwordx4 s[4:7], s[0:1], 0x18
	v_bfe_u32 v1, v0, 10, 10
	s_waitcnt lgkmcnt(0)
	s_lshr_b32 s7, s8, 16
	s_mul_i32 s2, s2, s7
	v_add_u32_e32 v4, s2, v1
	s_cmp_lt_u32 s3, s6
	v_cmp_gt_u32_e32 vcc, s5, v4
	s_cselect_b64 s[6:7], -1, 0
	s_and_b64 s[6:7], s[6:7], vcc
	s_and_saveexec_b64 s[8:9], s[6:7]
	s_cbranch_execz .LBB98_7
; %bb.1:
	s_load_dwordx2 s[6:7], s[0:1], 0x10
	s_ashr_i32 s2, s4, 31
	s_lshr_b32 s2, s2, 27
	s_add_i32 s2, s4, s2
	v_and_b32_e32 v5, 0x3ff, v0
	s_ashr_i32 s2, s2, 5
	v_lshrrev_b32_e32 v7, 1, v5
	v_cmp_gt_u32_e32 vcc, s2, v7
	v_mov_b32_e32 v6, 0
	s_and_saveexec_b64 s[12:13], vcc
	s_cbranch_execz .LBB98_5
; %bb.2:
	s_load_dwordx4 s[8:11], s[0:1], 0x0
	s_add_i32 s0, s4, 0x1ff
	s_ashr_i32 s1, s0, 31
	s_lshr_b32 s1, s1, 23
	s_add_i32 s0, s0, s1
	s_ashr_i32 s0, s0, 9
	s_mul_i32 s0, s3, s0
	v_lshlrev_b32_e32 v0, 3, v5
	v_mov_b32_e32 v1, 0
	v_mul_lo_u32 v8, v4, s2
	s_lshl_b32 s4, s0, 4
	v_and_b32_e32 v0, 8, v0
	s_mov_b64 s[0:1], 0
	v_mov_b32_e32 v3, 4.0
	v_mov_b32_e32 v6, v1
.LBB98_3:                               ; =>This Inner Loop Header: Depth=1
	v_add_u32_e32 v9, s4, v7
	v_add_u32_e32 v2, v8, v7
	s_waitcnt lgkmcnt(0)
	v_mad_i64_i32 v[12:13], s[14:15], v9, 36, s[10:11]
	v_mad_i64_i32 v[10:11], s[14:15], v2, 18, s[8:9]
	v_lshl_add_u64 v[16:17], v[12:13], 0, v[0:1]
	v_lshl_add_u64 v[14:15], v[10:11], 0, v[0:1]
	global_load_dwordx2 v[18:19], v[16:17], off offset:4
	global_load_dwordx2 v[20:21], v[16:17], off offset:20
	global_load_dword v2, v[14:15], off offset:2
	global_load_dword v9, v[14:15], off offset:6
	global_load_dword v22, v[12:13], off
	global_load_ushort v23, v[10:11], off
	v_mov_b32_e32 v12, 0
	v_add_u32_e32 v7, 32, v7
	v_cmp_le_u32_e32 vcc, s2, v7
	s_or_b64 s[0:1], vcc, s[0:1]
	s_waitcnt vmcnt(3)
	v_and_b32_e32 v13, 0xf0f0f0f, v2
	v_lshrrev_b32_e32 v2, 4, v2
	v_and_b32_e32 v2, 0xf0f0f0f, v2
	v_dot4c_i32_i8_e32 v12, v13, v18
	s_waitcnt vmcnt(2)
	v_and_b32_e32 v14, 0xf0f0f0f, v9
	v_lshrrev_b32_e32 v9, 4, v9
	v_dot4c_i32_i8_e32 v12, v2, v20
	v_and_b32_e32 v9, 0xf0f0f0f, v9
	v_dot4c_i32_i8_e32 v12, v14, v19
	v_dot4c_i32_i8_e32 v12, v9, v21
	s_waitcnt vmcnt(1)
	v_cvt_f32_f16_e32 v10, v22
	v_cvt_f32_f16_sdwa v11, v22 dst_sel:DWORD dst_unused:UNUSED_PAD src0_sel:WORD_1
	v_cvt_f32_i32_e32 v2, v12
	v_pk_mul_f32 v[10:11], v[2:3], v[10:11]
	s_nop 0
	v_sub_f32_e32 v2, v10, v11
	s_waitcnt vmcnt(0)
	v_fma_mix_f32 v6, v2, v23, v6 op_sel_hi:[0,1,0]
	s_andn2_b64 exec, exec, s[0:1]
	s_cbranch_execnz .LBB98_3
; %bb.4:
	s_or_b64 exec, exec, s[0:1]
.LBB98_5:
	s_or_b64 exec, exec, s[12:13]
	v_mbcnt_lo_u32_b32 v0, -1, 0
	v_mbcnt_hi_u32_b32 v1, -1, v0
	v_and_b32_e32 v0, 64, v1
	v_add_u32_e32 v2, 64, v0
	v_xor_b32_e32 v0, 32, v1
	v_cmp_lt_i32_e32 vcc, v0, v2
	v_xor_b32_e32 v3, 16, v1
	s_nop 0
	v_cndmask_b32_e32 v0, v1, v0, vcc
	v_lshlrev_b32_e32 v0, 2, v0
	ds_bpermute_b32 v0, v0, v6
	v_cmp_lt_i32_e32 vcc, v3, v2
	s_waitcnt lgkmcnt(0)
	v_add_f32_e32 v0, v6, v0
	v_cndmask_b32_e32 v3, v1, v3, vcc
	v_lshlrev_b32_e32 v3, 2, v3
	ds_bpermute_b32 v3, v3, v0
	v_xor_b32_e32 v6, 8, v1
	v_cmp_lt_i32_e32 vcc, v6, v2
	s_waitcnt lgkmcnt(0)
	v_add_f32_e32 v0, v0, v3
	v_cndmask_b32_e32 v3, v1, v6, vcc
	v_lshlrev_b32_e32 v3, 2, v3
	ds_bpermute_b32 v3, v3, v0
	v_xor_b32_e32 v6, 4, v1
	;; [unrolled: 7-line block ×4, first 2 shown]
	v_cmp_lt_i32_e32 vcc, v6, v2
	s_waitcnt lgkmcnt(0)
	v_add_f32_e32 v0, v0, v3
	v_cndmask_b32_e32 v1, v1, v6, vcc
	v_lshlrev_b32_e32 v1, 2, v1
	ds_bpermute_b32 v1, v1, v0
	v_cmp_eq_u32_e32 vcc, 0, v5
	s_and_b64 exec, exec, vcc
	s_cbranch_execz .LBB98_7
; %bb.6:
	s_waitcnt lgkmcnt(0)
	v_add_f32_e32 v0, v0, v1
	v_bfe_u32 v1, v0, 16, 1
	s_movk_i32 s0, 0x7fff
	v_add3_u32 v1, v0, v1, s0
	v_lshrrev_b32_e32 v1, 16, v1
	v_mov_b32_e32 v2, 0x7fc0
	v_cmp_o_f32_e32 vcc, v0, v0
	s_mul_i32 s3, s3, s5
	v_add_u32_e32 v0, s3, v4
	v_cndmask_b32_e32 v2, v2, v1, vcc
	v_mov_b32_e32 v1, 0
	v_lshl_add_u64 v[0:1], v[0:1], 1, s[6:7]
	global_store_short v[0:1], v2, off
.LBB98_7:
	s_endpgm
	.section	.rodata,"a",@progbits
	.p2align	6, 0x0
	.amdhsa_kernel _ZL13mul_mat_vec_qIN3c108BFloat16ELi32ELi4E10block_q4_0Li2EXadL_ZL17vec_dot_q4_0_q8_1PKvPK10block_q8_1RKiEEEvS4_S4_PT_iii
		.amdhsa_group_segment_fixed_size 0
		.amdhsa_private_segment_fixed_size 0
		.amdhsa_kernarg_size 296
		.amdhsa_user_sgpr_count 2
		.amdhsa_user_sgpr_dispatch_ptr 0
		.amdhsa_user_sgpr_queue_ptr 0
		.amdhsa_user_sgpr_kernarg_segment_ptr 1
		.amdhsa_user_sgpr_dispatch_id 0
		.amdhsa_user_sgpr_kernarg_preload_length 0
		.amdhsa_user_sgpr_kernarg_preload_offset 0
		.amdhsa_user_sgpr_private_segment_size 0
		.amdhsa_uses_dynamic_stack 0
		.amdhsa_enable_private_segment 0
		.amdhsa_system_sgpr_workgroup_id_x 1
		.amdhsa_system_sgpr_workgroup_id_y 1
		.amdhsa_system_sgpr_workgroup_id_z 0
		.amdhsa_system_sgpr_workgroup_info 0
		.amdhsa_system_vgpr_workitem_id 1
		.amdhsa_next_free_vgpr 24
		.amdhsa_next_free_sgpr 16
		.amdhsa_accum_offset 24
		.amdhsa_reserve_vcc 1
		.amdhsa_float_round_mode_32 0
		.amdhsa_float_round_mode_16_64 0
		.amdhsa_float_denorm_mode_32 3
		.amdhsa_float_denorm_mode_16_64 3
		.amdhsa_dx10_clamp 1
		.amdhsa_ieee_mode 1
		.amdhsa_fp16_overflow 0
		.amdhsa_tg_split 0
		.amdhsa_exception_fp_ieee_invalid_op 0
		.amdhsa_exception_fp_denorm_src 0
		.amdhsa_exception_fp_ieee_div_zero 0
		.amdhsa_exception_fp_ieee_overflow 0
		.amdhsa_exception_fp_ieee_underflow 0
		.amdhsa_exception_fp_ieee_inexact 0
		.amdhsa_exception_int_div_zero 0
	.end_amdhsa_kernel
	.section	.text._ZL13mul_mat_vec_qIN3c108BFloat16ELi32ELi4E10block_q4_0Li2EXadL_ZL17vec_dot_q4_0_q8_1PKvPK10block_q8_1RKiEEEvS4_S4_PT_iii,"axG",@progbits,_ZL13mul_mat_vec_qIN3c108BFloat16ELi32ELi4E10block_q4_0Li2EXadL_ZL17vec_dot_q4_0_q8_1PKvPK10block_q8_1RKiEEEvS4_S4_PT_iii,comdat
.Lfunc_end98:
	.size	_ZL13mul_mat_vec_qIN3c108BFloat16ELi32ELi4E10block_q4_0Li2EXadL_ZL17vec_dot_q4_0_q8_1PKvPK10block_q8_1RKiEEEvS4_S4_PT_iii, .Lfunc_end98-_ZL13mul_mat_vec_qIN3c108BFloat16ELi32ELi4E10block_q4_0Li2EXadL_ZL17vec_dot_q4_0_q8_1PKvPK10block_q8_1RKiEEEvS4_S4_PT_iii
                                        ; -- End function
	.section	.AMDGPU.csdata,"",@progbits
; Kernel info:
; codeLenInByte = 728
; NumSgprs: 22
; NumVgprs: 24
; NumAgprs: 0
; TotalNumVgprs: 24
; ScratchSize: 0
; MemoryBound: 0
; FloatMode: 240
; IeeeMode: 1
; LDSByteSize: 0 bytes/workgroup (compile time only)
; SGPRBlocks: 2
; VGPRBlocks: 2
; NumSGPRsForWavesPerEU: 22
; NumVGPRsForWavesPerEU: 24
; AccumOffset: 24
; Occupancy: 8
; WaveLimiterHint : 0
; COMPUTE_PGM_RSRC2:SCRATCH_EN: 0
; COMPUTE_PGM_RSRC2:USER_SGPR: 2
; COMPUTE_PGM_RSRC2:TRAP_HANDLER: 0
; COMPUTE_PGM_RSRC2:TGID_X_EN: 1
; COMPUTE_PGM_RSRC2:TGID_Y_EN: 1
; COMPUTE_PGM_RSRC2:TGID_Z_EN: 0
; COMPUTE_PGM_RSRC2:TIDIG_COMP_CNT: 1
; COMPUTE_PGM_RSRC3_GFX90A:ACCUM_OFFSET: 5
; COMPUTE_PGM_RSRC3_GFX90A:TG_SPLIT: 0
	.section	.text._ZL13mul_mat_vec_qIN3c108BFloat16ELi32ELi4E10block_q4_1Li2EXadL_ZL17vec_dot_q4_1_q8_1PKvPK10block_q8_1RKiEEEvS4_S4_PT_iii,"axG",@progbits,_ZL13mul_mat_vec_qIN3c108BFloat16ELi32ELi4E10block_q4_1Li2EXadL_ZL17vec_dot_q4_1_q8_1PKvPK10block_q8_1RKiEEEvS4_S4_PT_iii,comdat
	.globl	_ZL13mul_mat_vec_qIN3c108BFloat16ELi32ELi4E10block_q4_1Li2EXadL_ZL17vec_dot_q4_1_q8_1PKvPK10block_q8_1RKiEEEvS4_S4_PT_iii ; -- Begin function _ZL13mul_mat_vec_qIN3c108BFloat16ELi32ELi4E10block_q4_1Li2EXadL_ZL17vec_dot_q4_1_q8_1PKvPK10block_q8_1RKiEEEvS4_S4_PT_iii
	.p2align	8
	.type	_ZL13mul_mat_vec_qIN3c108BFloat16ELi32ELi4E10block_q4_1Li2EXadL_ZL17vec_dot_q4_1_q8_1PKvPK10block_q8_1RKiEEEvS4_S4_PT_iii,@function
_ZL13mul_mat_vec_qIN3c108BFloat16ELi32ELi4E10block_q4_1Li2EXadL_ZL17vec_dot_q4_1_q8_1PKvPK10block_q8_1RKiEEEvS4_S4_PT_iii: ; @_ZL13mul_mat_vec_qIN3c108BFloat16ELi32ELi4E10block_q4_1Li2EXadL_ZL17vec_dot_q4_1_q8_1PKvPK10block_q8_1RKiEEEvS4_S4_PT_iii
; %bb.0:
	s_load_dword s8, s[0:1], 0x34
	s_load_dwordx4 s[4:7], s[0:1], 0x18
	v_bfe_u32 v1, v0, 10, 10
	s_waitcnt lgkmcnt(0)
	s_lshr_b32 s7, s8, 16
	s_mul_i32 s2, s2, s7
	v_add_u32_e32 v2, s2, v1
	s_cmp_lt_u32 s3, s6
	v_cmp_gt_u32_e32 vcc, s5, v2
	s_cselect_b64 s[6:7], -1, 0
	s_and_b64 s[6:7], s[6:7], vcc
	s_and_saveexec_b64 s[8:9], s[6:7]
	s_cbranch_execz .LBB99_7
; %bb.1:
	s_load_dwordx2 s[6:7], s[0:1], 0x10
	s_ashr_i32 s2, s4, 31
	s_lshr_b32 s2, s2, 27
	s_add_i32 s2, s4, s2
	v_and_b32_e32 v3, 0x3ff, v0
	s_ashr_i32 s2, s2, 5
	v_lshrrev_b32_e32 v5, 1, v3
	v_cmp_gt_u32_e32 vcc, s2, v5
	v_mov_b32_e32 v4, 0
	s_and_saveexec_b64 s[12:13], vcc
	s_cbranch_execz .LBB99_5
; %bb.2:
	s_load_dwordx4 s[8:11], s[0:1], 0x0
	s_add_i32 s0, s4, 0x1ff
	s_ashr_i32 s1, s0, 31
	s_lshr_b32 s1, s1, 23
	s_add_i32 s0, s0, s1
	s_ashr_i32 s0, s0, 9
	s_mul_i32 s0, s3, s0
	v_lshlrev_b32_e32 v0, 3, v3
	v_mov_b32_e32 v1, 0
	v_mul_lo_u32 v6, v2, s2
	s_lshl_b32 s4, s0, 4
	v_and_b32_e32 v0, 8, v0
	s_mov_b64 s[0:1], 0
	s_mov_b32 s14, 0.5
	v_mov_b32_e32 v4, v1
.LBB99_3:                               ; =>This Inner Loop Header: Depth=1
	v_add_u32_e32 v7, v6, v5
	v_add_u32_e32 v10, s4, v5
	s_waitcnt lgkmcnt(0)
	v_mad_i64_i32 v[8:9], s[16:17], v7, 20, s[8:9]
	v_mad_i64_i32 v[10:11], s[16:17], v10, 36, s[10:11]
	v_lshl_add_u64 v[12:13], v[8:9], 0, v[0:1]
	v_lshl_add_u64 v[14:15], v[10:11], 0, v[0:1]
	global_load_dword v7, v[8:9], off
	global_load_dwordx2 v[16:17], v[12:13], off offset:4
	global_load_dwordx2 v[18:19], v[14:15], off offset:4
	;; [unrolled: 1-line block ×3, first 2 shown]
	global_load_dword v22, v[10:11], off
	v_mov_b32_e32 v8, 0
	v_add_u32_e32 v5, 32, v5
	v_cmp_le_u32_e32 vcc, s2, v5
	s_or_b64 s[0:1], vcc, s[0:1]
	s_waitcnt vmcnt(3)
	v_and_b32_e32 v9, 0xf0f0f0f, v16
	v_lshrrev_b32_e32 v10, 4, v16
	v_and_b32_e32 v10, 0xf0f0f0f, v10
	s_waitcnt vmcnt(2)
	v_dot4c_i32_i8_e32 v8, v9, v18
	v_and_b32_e32 v11, 0xf0f0f0f, v17
	v_lshrrev_b32_e32 v12, 4, v17
	s_waitcnt vmcnt(1)
	v_dot4c_i32_i8_e32 v8, v10, v20
	v_and_b32_e32 v9, 0xf0f0f0f, v12
	v_dot4c_i32_i8_e32 v8, v11, v19
	s_waitcnt vmcnt(0)
	v_pk_mul_f16 v7, v7, v22
	v_dot4c_i32_i8_e32 v8, v9, v21
	v_cvt_f32_f16_e32 v13, v7
	s_nop 1
	v_cvt_f32_i32_e32 v8, v8
	v_mul_f32_e32 v8, v8, v13
	v_fma_mix_f32 v7, v7, s14, v8 op_sel:[1,0,0] op_sel_hi:[1,0,0]
	s_nop 0
	v_add_f32_e32 v4, v4, v7
	s_andn2_b64 exec, exec, s[0:1]
	s_cbranch_execnz .LBB99_3
; %bb.4:
	s_or_b64 exec, exec, s[0:1]
.LBB99_5:
	s_or_b64 exec, exec, s[12:13]
	v_mbcnt_lo_u32_b32 v0, -1, 0
	v_mbcnt_hi_u32_b32 v1, -1, v0
	v_and_b32_e32 v0, 64, v1
	v_add_u32_e32 v5, 64, v0
	v_xor_b32_e32 v0, 32, v1
	v_cmp_lt_i32_e32 vcc, v0, v5
	v_xor_b32_e32 v6, 16, v1
	s_nop 0
	v_cndmask_b32_e32 v0, v1, v0, vcc
	v_lshlrev_b32_e32 v0, 2, v0
	ds_bpermute_b32 v0, v0, v4
	v_cmp_lt_i32_e32 vcc, v6, v5
	s_waitcnt lgkmcnt(0)
	v_add_f32_e32 v0, v4, v0
	v_cndmask_b32_e32 v4, v1, v6, vcc
	v_lshlrev_b32_e32 v4, 2, v4
	ds_bpermute_b32 v4, v4, v0
	v_xor_b32_e32 v6, 8, v1
	v_cmp_lt_i32_e32 vcc, v6, v5
	s_waitcnt lgkmcnt(0)
	v_add_f32_e32 v0, v0, v4
	v_cndmask_b32_e32 v4, v1, v6, vcc
	v_lshlrev_b32_e32 v4, 2, v4
	ds_bpermute_b32 v4, v4, v0
	v_xor_b32_e32 v6, 4, v1
	;; [unrolled: 7-line block ×4, first 2 shown]
	v_cmp_lt_i32_e32 vcc, v6, v5
	s_waitcnt lgkmcnt(0)
	v_add_f32_e32 v0, v0, v4
	v_cndmask_b32_e32 v1, v1, v6, vcc
	v_lshlrev_b32_e32 v1, 2, v1
	ds_bpermute_b32 v1, v1, v0
	v_cmp_eq_u32_e32 vcc, 0, v3
	s_and_b64 exec, exec, vcc
	s_cbranch_execz .LBB99_7
; %bb.6:
	s_waitcnt lgkmcnt(0)
	v_add_f32_e32 v0, v0, v1
	v_bfe_u32 v1, v0, 16, 1
	s_movk_i32 s0, 0x7fff
	v_add3_u32 v1, v0, v1, s0
	v_lshrrev_b32_e32 v1, 16, v1
	v_mov_b32_e32 v3, 0x7fc0
	v_cmp_o_f32_e32 vcc, v0, v0
	s_mul_i32 s3, s3, s5
	v_add_u32_e32 v0, s3, v2
	v_cndmask_b32_e32 v3, v3, v1, vcc
	v_mov_b32_e32 v1, 0
	v_lshl_add_u64 v[0:1], v[0:1], 1, s[6:7]
	global_store_short v[0:1], v3, off
.LBB99_7:
	s_endpgm
	.section	.rodata,"a",@progbits
	.p2align	6, 0x0
	.amdhsa_kernel _ZL13mul_mat_vec_qIN3c108BFloat16ELi32ELi4E10block_q4_1Li2EXadL_ZL17vec_dot_q4_1_q8_1PKvPK10block_q8_1RKiEEEvS4_S4_PT_iii
		.amdhsa_group_segment_fixed_size 0
		.amdhsa_private_segment_fixed_size 0
		.amdhsa_kernarg_size 296
		.amdhsa_user_sgpr_count 2
		.amdhsa_user_sgpr_dispatch_ptr 0
		.amdhsa_user_sgpr_queue_ptr 0
		.amdhsa_user_sgpr_kernarg_segment_ptr 1
		.amdhsa_user_sgpr_dispatch_id 0
		.amdhsa_user_sgpr_kernarg_preload_length 0
		.amdhsa_user_sgpr_kernarg_preload_offset 0
		.amdhsa_user_sgpr_private_segment_size 0
		.amdhsa_uses_dynamic_stack 0
		.amdhsa_enable_private_segment 0
		.amdhsa_system_sgpr_workgroup_id_x 1
		.amdhsa_system_sgpr_workgroup_id_y 1
		.amdhsa_system_sgpr_workgroup_id_z 0
		.amdhsa_system_sgpr_workgroup_info 0
		.amdhsa_system_vgpr_workitem_id 1
		.amdhsa_next_free_vgpr 23
		.amdhsa_next_free_sgpr 18
		.amdhsa_accum_offset 24
		.amdhsa_reserve_vcc 1
		.amdhsa_float_round_mode_32 0
		.amdhsa_float_round_mode_16_64 0
		.amdhsa_float_denorm_mode_32 3
		.amdhsa_float_denorm_mode_16_64 3
		.amdhsa_dx10_clamp 1
		.amdhsa_ieee_mode 1
		.amdhsa_fp16_overflow 0
		.amdhsa_tg_split 0
		.amdhsa_exception_fp_ieee_invalid_op 0
		.amdhsa_exception_fp_denorm_src 0
		.amdhsa_exception_fp_ieee_div_zero 0
		.amdhsa_exception_fp_ieee_overflow 0
		.amdhsa_exception_fp_ieee_underflow 0
		.amdhsa_exception_fp_ieee_inexact 0
		.amdhsa_exception_int_div_zero 0
	.end_amdhsa_kernel
	.section	.text._ZL13mul_mat_vec_qIN3c108BFloat16ELi32ELi4E10block_q4_1Li2EXadL_ZL17vec_dot_q4_1_q8_1PKvPK10block_q8_1RKiEEEvS4_S4_PT_iii,"axG",@progbits,_ZL13mul_mat_vec_qIN3c108BFloat16ELi32ELi4E10block_q4_1Li2EXadL_ZL17vec_dot_q4_1_q8_1PKvPK10block_q8_1RKiEEEvS4_S4_PT_iii,comdat
.Lfunc_end99:
	.size	_ZL13mul_mat_vec_qIN3c108BFloat16ELi32ELi4E10block_q4_1Li2EXadL_ZL17vec_dot_q4_1_q8_1PKvPK10block_q8_1RKiEEEvS4_S4_PT_iii, .Lfunc_end99-_ZL13mul_mat_vec_qIN3c108BFloat16ELi32ELi4E10block_q4_1Li2EXadL_ZL17vec_dot_q4_1_q8_1PKvPK10block_q8_1RKiEEEvS4_S4_PT_iii
                                        ; -- End function
	.section	.AMDGPU.csdata,"",@progbits
; Kernel info:
; codeLenInByte = 720
; NumSgprs: 24
; NumVgprs: 23
; NumAgprs: 0
; TotalNumVgprs: 23
; ScratchSize: 0
; MemoryBound: 0
; FloatMode: 240
; IeeeMode: 1
; LDSByteSize: 0 bytes/workgroup (compile time only)
; SGPRBlocks: 2
; VGPRBlocks: 2
; NumSGPRsForWavesPerEU: 24
; NumVGPRsForWavesPerEU: 23
; AccumOffset: 24
; Occupancy: 8
; WaveLimiterHint : 0
; COMPUTE_PGM_RSRC2:SCRATCH_EN: 0
; COMPUTE_PGM_RSRC2:USER_SGPR: 2
; COMPUTE_PGM_RSRC2:TRAP_HANDLER: 0
; COMPUTE_PGM_RSRC2:TGID_X_EN: 1
; COMPUTE_PGM_RSRC2:TGID_Y_EN: 1
; COMPUTE_PGM_RSRC2:TGID_Z_EN: 0
; COMPUTE_PGM_RSRC2:TIDIG_COMP_CNT: 1
; COMPUTE_PGM_RSRC3_GFX90A:ACCUM_OFFSET: 5
; COMPUTE_PGM_RSRC3_GFX90A:TG_SPLIT: 0
	.section	.text._ZL13mul_mat_vec_qIN3c108BFloat16ELi32ELi4E10block_q5_0Li2EXadL_ZL17vec_dot_q5_0_q8_1PKvPK10block_q8_1RKiEEEvS4_S4_PT_iii,"axG",@progbits,_ZL13mul_mat_vec_qIN3c108BFloat16ELi32ELi4E10block_q5_0Li2EXadL_ZL17vec_dot_q5_0_q8_1PKvPK10block_q8_1RKiEEEvS4_S4_PT_iii,comdat
	.globl	_ZL13mul_mat_vec_qIN3c108BFloat16ELi32ELi4E10block_q5_0Li2EXadL_ZL17vec_dot_q5_0_q8_1PKvPK10block_q8_1RKiEEEvS4_S4_PT_iii ; -- Begin function _ZL13mul_mat_vec_qIN3c108BFloat16ELi32ELi4E10block_q5_0Li2EXadL_ZL17vec_dot_q5_0_q8_1PKvPK10block_q8_1RKiEEEvS4_S4_PT_iii
	.p2align	8
	.type	_ZL13mul_mat_vec_qIN3c108BFloat16ELi32ELi4E10block_q5_0Li2EXadL_ZL17vec_dot_q5_0_q8_1PKvPK10block_q8_1RKiEEEvS4_S4_PT_iii,@function
_ZL13mul_mat_vec_qIN3c108BFloat16ELi32ELi4E10block_q5_0Li2EXadL_ZL17vec_dot_q5_0_q8_1PKvPK10block_q8_1RKiEEEvS4_S4_PT_iii: ; @_ZL13mul_mat_vec_qIN3c108BFloat16ELi32ELi4E10block_q5_0Li2EXadL_ZL17vec_dot_q5_0_q8_1PKvPK10block_q8_1RKiEEEvS4_S4_PT_iii
; %bb.0:
	s_load_dword s8, s[0:1], 0x34
	s_load_dwordx4 s[4:7], s[0:1], 0x18
	v_bfe_u32 v1, v0, 10, 10
	s_waitcnt lgkmcnt(0)
	s_lshr_b32 s7, s8, 16
	s_mul_i32 s2, s2, s7
	v_add_u32_e32 v4, s2, v1
	s_cmp_lt_u32 s3, s6
	v_cmp_gt_u32_e32 vcc, s5, v4
	s_cselect_b64 s[6:7], -1, 0
	s_and_b64 s[6:7], s[6:7], vcc
	s_and_saveexec_b64 s[8:9], s[6:7]
	s_cbranch_execz .LBB100_7
; %bb.1:
	s_load_dwordx2 s[6:7], s[0:1], 0x10
	s_ashr_i32 s2, s4, 31
	s_lshr_b32 s2, s2, 27
	s_add_i32 s2, s4, s2
	v_and_b32_e32 v5, 0x3ff, v0
	s_ashr_i32 s2, s2, 5
	v_lshrrev_b32_e32 v6, 1, v5
	v_cmp_gt_u32_e32 vcc, s2, v6
	v_mov_b32_e32 v7, 0
	s_and_saveexec_b64 s[12:13], vcc
	s_cbranch_execz .LBB100_5
; %bb.2:
	s_load_dwordx4 s[8:11], s[0:1], 0x0
	s_add_i32 s0, s4, 0x1ff
	s_ashr_i32 s1, s0, 31
	s_lshr_b32 s1, s1, 23
	s_add_i32 s0, s0, s1
	s_ashr_i32 s0, s0, 9
	v_lshlrev_b32_e32 v0, 3, v5
	s_mul_i32 s0, s3, s0
	v_and_b32_e32 v0, 8, v0
	v_mov_b32_e32 v1, 0
	v_mul_lo_u32 v8, v4, s2
	s_lshl_b32 s4, s0, 4
	v_or_b32_e32 v9, 4, v0
	s_mov_b64 s[0:1], 0
	s_mov_b32 s14, 0x1000706
	v_mov_b32_e32 v3, 0x41000000
	v_mov_b32_e32 v7, v1
.LBB100_3:                              ; =>This Inner Loop Header: Depth=1
	v_add_u32_e32 v2, v8, v6
	v_add_u32_e32 v12, s4, v6
	s_waitcnt lgkmcnt(0)
	v_mad_i64_i32 v[10:11], s[16:17], v2, 22, s[8:9]
	v_mad_i64_i32 v[12:13], s[16:17], v12, 36, s[10:11]
	global_load_dword v20, v[10:11], off
	global_load_ushort v2, v[10:11], off offset:4
	v_lshl_add_u64 v[14:15], v[12:13], 0, v[0:1]
	v_lshl_add_u64 v[10:11], v[10:11], 0, v[0:1]
	global_load_dwordx2 v[16:17], v[14:15], off offset:4
	global_load_dwordx2 v[18:19], v[14:15], off offset:20
	global_load_dword v21, v[10:11], off offset:6
	global_load_dword v22, v[10:11], off offset:10
	global_load_dword v23, v[12:13], off
	v_mov_b32_e32 v12, 0
	v_add_u32_e32 v6, 32, v6
	v_cmp_le_u32_e32 vcc, s2, v6
	s_or_b64 s[0:1], vcc, s[0:1]
	s_waitcnt vmcnt(5)
	v_perm_b32 v2, v20, v2, s14
	v_ashrrev_i32_e32 v13, v0, v2
	v_lshlrev_b32_e32 v24, 11, v13
	s_waitcnt vmcnt(0)
	v_cvt_f32_f16_e32 v10, v23
	v_cvt_f32_f16_sdwa v11, v23 dst_sel:DWORD dst_unused:UNUSED_PAD src0_sel:WORD_1
	v_lshlrev_b32_e32 v23, 4, v13
	v_ashrrev_i32_e32 v2, v9, v2
	v_and_b32_e32 v14, 0xf0f0f0f, v21
	v_lshlrev_b32_e32 v25, 18, v13
	v_lshlrev_b32_e32 v26, 25, v13
	v_lshrrev_b32_e32 v27, 12, v13
	v_lshrrev_b32_e32 v28, 5, v13
	v_lshlrev_b32_e32 v29, 2, v13
	v_and_b32_e32 v23, 16, v23
	v_and_b32_e32 v24, 0x1000, v24
	v_lshrrev_b32_e32 v15, 4, v21
	v_lshlrev_b32_e32 v13, 9, v13
	v_lshlrev_b32_e32 v30, 4, v2
	;; [unrolled: 1-line block ×4, first 2 shown]
	v_and_b32_e32 v25, 0x100000, v25
	v_and_b32_e32 v26, 0x10000000, v26
	;; [unrolled: 1-line block ×5, first 2 shown]
	v_or3_b32 v14, v23, v14, v24
	v_and_b32_e32 v15, 0xf0f0f0f, v15
	v_lshlrev_b32_e32 v33, 25, v2
	v_lshrrev_b32_e32 v34, 12, v2
	v_lshrrev_b32_e32 v35, 5, v2
	v_lshlrev_b32_e32 v36, 2, v2
	v_and_b32_e32 v13, 0x10000000, v13
	v_and_b32_e32 v30, 16, v30
	v_and_b32_e32 v31, 0x1000, v31
	v_and_b32_e32 v32, 0x100000, v32
	v_or3_b32 v23, v28, v27, v29
	v_or3_b32 v14, v14, v25, v26
	v_and_b32_e32 v21, 0xf0f0f0f, v22
	v_lshrrev_b32_e32 v22, 4, v22
	v_lshlrev_b32_e32 v2, 9, v2
	v_and_b32_e32 v33, 0x10000000, v33
	v_and_b32_e32 v34, 16, v34
	;; [unrolled: 1-line block ×4, first 2 shown]
	v_or3_b32 v24, v31, v30, v32
	v_or3_b32 v13, v23, v13, v15
	v_dot4c_i32_i8_e32 v12, v14, v16
	v_and_b32_e32 v22, 0xf0f0f0f, v22
	v_and_b32_e32 v2, 0x10000000, v2
	v_or3_b32 v27, v35, v34, v36
	v_or3_b32 v15, v24, v33, v21
	v_dot4c_i32_i8_e32 v12, v13, v18
	v_or3_b32 v2, v27, v2, v22
	v_dot4c_i32_i8_e32 v12, v15, v17
	v_dot4c_i32_i8_e32 v12, v2, v19
	s_nop 2
	v_cvt_f32_i32_e32 v2, v12
	v_pk_mul_f32 v[10:11], v[2:3], v[10:11]
	s_nop 0
	v_sub_f32_e32 v2, v10, v11
	v_fma_mix_f32 v7, v2, v20, v7 op_sel_hi:[0,1,0]
	s_andn2_b64 exec, exec, s[0:1]
	s_cbranch_execnz .LBB100_3
; %bb.4:
	s_or_b64 exec, exec, s[0:1]
.LBB100_5:
	s_or_b64 exec, exec, s[12:13]
	v_mbcnt_lo_u32_b32 v0, -1, 0
	v_mbcnt_hi_u32_b32 v1, -1, v0
	v_and_b32_e32 v0, 64, v1
	v_add_u32_e32 v2, 64, v0
	v_xor_b32_e32 v0, 32, v1
	v_cmp_lt_i32_e32 vcc, v0, v2
	v_xor_b32_e32 v3, 16, v1
	v_xor_b32_e32 v6, 8, v1
	v_cndmask_b32_e32 v0, v1, v0, vcc
	v_lshlrev_b32_e32 v0, 2, v0
	ds_bpermute_b32 v0, v0, v7
	v_cmp_lt_i32_e32 vcc, v3, v2
	s_waitcnt lgkmcnt(0)
	v_add_f32_e32 v0, v7, v0
	v_cndmask_b32_e32 v3, v1, v3, vcc
	v_lshlrev_b32_e32 v3, 2, v3
	ds_bpermute_b32 v3, v3, v0
	v_cmp_lt_i32_e32 vcc, v6, v2
	s_waitcnt lgkmcnt(0)
	v_add_f32_e32 v0, v0, v3
	v_cndmask_b32_e32 v3, v1, v6, vcc
	v_lshlrev_b32_e32 v3, 2, v3
	ds_bpermute_b32 v3, v3, v0
	v_xor_b32_e32 v6, 4, v1
	v_cmp_lt_i32_e32 vcc, v6, v2
	s_waitcnt lgkmcnt(0)
	v_add_f32_e32 v0, v0, v3
	v_cndmask_b32_e32 v3, v1, v6, vcc
	v_lshlrev_b32_e32 v3, 2, v3
	ds_bpermute_b32 v3, v3, v0
	v_xor_b32_e32 v6, 2, v1
	;; [unrolled: 7-line block ×3, first 2 shown]
	v_cmp_lt_i32_e32 vcc, v6, v2
	s_waitcnt lgkmcnt(0)
	v_add_f32_e32 v0, v0, v3
	v_cndmask_b32_e32 v1, v1, v6, vcc
	v_lshlrev_b32_e32 v1, 2, v1
	ds_bpermute_b32 v1, v1, v0
	v_cmp_eq_u32_e32 vcc, 0, v5
	s_and_b64 exec, exec, vcc
	s_cbranch_execz .LBB100_7
; %bb.6:
	s_waitcnt lgkmcnt(0)
	v_add_f32_e32 v0, v0, v1
	v_bfe_u32 v1, v0, 16, 1
	s_movk_i32 s0, 0x7fff
	v_add3_u32 v1, v0, v1, s0
	v_lshrrev_b32_e32 v1, 16, v1
	v_mov_b32_e32 v2, 0x7fc0
	v_cmp_o_f32_e32 vcc, v0, v0
	s_mul_i32 s3, s3, s5
	v_add_u32_e32 v0, s3, v4
	v_cndmask_b32_e32 v2, v2, v1, vcc
	v_mov_b32_e32 v1, 0
	v_lshl_add_u64 v[0:1], v[0:1], 1, s[6:7]
	global_store_short v[0:1], v2, off
.LBB100_7:
	s_endpgm
	.section	.rodata,"a",@progbits
	.p2align	6, 0x0
	.amdhsa_kernel _ZL13mul_mat_vec_qIN3c108BFloat16ELi32ELi4E10block_q5_0Li2EXadL_ZL17vec_dot_q5_0_q8_1PKvPK10block_q8_1RKiEEEvS4_S4_PT_iii
		.amdhsa_group_segment_fixed_size 0
		.amdhsa_private_segment_fixed_size 0
		.amdhsa_kernarg_size 296
		.amdhsa_user_sgpr_count 2
		.amdhsa_user_sgpr_dispatch_ptr 0
		.amdhsa_user_sgpr_queue_ptr 0
		.amdhsa_user_sgpr_kernarg_segment_ptr 1
		.amdhsa_user_sgpr_dispatch_id 0
		.amdhsa_user_sgpr_kernarg_preload_length 0
		.amdhsa_user_sgpr_kernarg_preload_offset 0
		.amdhsa_user_sgpr_private_segment_size 0
		.amdhsa_uses_dynamic_stack 0
		.amdhsa_enable_private_segment 0
		.amdhsa_system_sgpr_workgroup_id_x 1
		.amdhsa_system_sgpr_workgroup_id_y 1
		.amdhsa_system_sgpr_workgroup_id_z 0
		.amdhsa_system_sgpr_workgroup_info 0
		.amdhsa_system_vgpr_workitem_id 1
		.amdhsa_next_free_vgpr 37
		.amdhsa_next_free_sgpr 18
		.amdhsa_accum_offset 40
		.amdhsa_reserve_vcc 1
		.amdhsa_float_round_mode_32 0
		.amdhsa_float_round_mode_16_64 0
		.amdhsa_float_denorm_mode_32 3
		.amdhsa_float_denorm_mode_16_64 3
		.amdhsa_dx10_clamp 1
		.amdhsa_ieee_mode 1
		.amdhsa_fp16_overflow 0
		.amdhsa_tg_split 0
		.amdhsa_exception_fp_ieee_invalid_op 0
		.amdhsa_exception_fp_denorm_src 0
		.amdhsa_exception_fp_ieee_div_zero 0
		.amdhsa_exception_fp_ieee_overflow 0
		.amdhsa_exception_fp_ieee_underflow 0
		.amdhsa_exception_fp_ieee_inexact 0
		.amdhsa_exception_int_div_zero 0
	.end_amdhsa_kernel
	.section	.text._ZL13mul_mat_vec_qIN3c108BFloat16ELi32ELi4E10block_q5_0Li2EXadL_ZL17vec_dot_q5_0_q8_1PKvPK10block_q8_1RKiEEEvS4_S4_PT_iii,"axG",@progbits,_ZL13mul_mat_vec_qIN3c108BFloat16ELi32ELi4E10block_q5_0Li2EXadL_ZL17vec_dot_q5_0_q8_1PKvPK10block_q8_1RKiEEEvS4_S4_PT_iii,comdat
.Lfunc_end100:
	.size	_ZL13mul_mat_vec_qIN3c108BFloat16ELi32ELi4E10block_q5_0Li2EXadL_ZL17vec_dot_q5_0_q8_1PKvPK10block_q8_1RKiEEEvS4_S4_PT_iii, .Lfunc_end100-_ZL13mul_mat_vec_qIN3c108BFloat16ELi32ELi4E10block_q5_0Li2EXadL_ZL17vec_dot_q5_0_q8_1PKvPK10block_q8_1RKiEEEvS4_S4_PT_iii
                                        ; -- End function
	.section	.AMDGPU.csdata,"",@progbits
; Kernel info:
; codeLenInByte = 1000
; NumSgprs: 24
; NumVgprs: 37
; NumAgprs: 0
; TotalNumVgprs: 37
; ScratchSize: 0
; MemoryBound: 0
; FloatMode: 240
; IeeeMode: 1
; LDSByteSize: 0 bytes/workgroup (compile time only)
; SGPRBlocks: 2
; VGPRBlocks: 4
; NumSGPRsForWavesPerEU: 24
; NumVGPRsForWavesPerEU: 37
; AccumOffset: 40
; Occupancy: 8
; WaveLimiterHint : 0
; COMPUTE_PGM_RSRC2:SCRATCH_EN: 0
; COMPUTE_PGM_RSRC2:USER_SGPR: 2
; COMPUTE_PGM_RSRC2:TRAP_HANDLER: 0
; COMPUTE_PGM_RSRC2:TGID_X_EN: 1
; COMPUTE_PGM_RSRC2:TGID_Y_EN: 1
; COMPUTE_PGM_RSRC2:TGID_Z_EN: 0
; COMPUTE_PGM_RSRC2:TIDIG_COMP_CNT: 1
; COMPUTE_PGM_RSRC3_GFX90A:ACCUM_OFFSET: 9
; COMPUTE_PGM_RSRC3_GFX90A:TG_SPLIT: 0
	.section	.text._ZL13mul_mat_vec_qIN3c108BFloat16ELi32ELi4E10block_q5_1Li2EXadL_ZL17vec_dot_q5_1_q8_1PKvPK10block_q8_1RKiEEEvS4_S4_PT_iii,"axG",@progbits,_ZL13mul_mat_vec_qIN3c108BFloat16ELi32ELi4E10block_q5_1Li2EXadL_ZL17vec_dot_q5_1_q8_1PKvPK10block_q8_1RKiEEEvS4_S4_PT_iii,comdat
	.globl	_ZL13mul_mat_vec_qIN3c108BFloat16ELi32ELi4E10block_q5_1Li2EXadL_ZL17vec_dot_q5_1_q8_1PKvPK10block_q8_1RKiEEEvS4_S4_PT_iii ; -- Begin function _ZL13mul_mat_vec_qIN3c108BFloat16ELi32ELi4E10block_q5_1Li2EXadL_ZL17vec_dot_q5_1_q8_1PKvPK10block_q8_1RKiEEEvS4_S4_PT_iii
	.p2align	8
	.type	_ZL13mul_mat_vec_qIN3c108BFloat16ELi32ELi4E10block_q5_1Li2EXadL_ZL17vec_dot_q5_1_q8_1PKvPK10block_q8_1RKiEEEvS4_S4_PT_iii,@function
_ZL13mul_mat_vec_qIN3c108BFloat16ELi32ELi4E10block_q5_1Li2EXadL_ZL17vec_dot_q5_1_q8_1PKvPK10block_q8_1RKiEEEvS4_S4_PT_iii: ; @_ZL13mul_mat_vec_qIN3c108BFloat16ELi32ELi4E10block_q5_1Li2EXadL_ZL17vec_dot_q5_1_q8_1PKvPK10block_q8_1RKiEEEvS4_S4_PT_iii
; %bb.0:
	s_load_dword s8, s[0:1], 0x34
	s_load_dwordx4 s[4:7], s[0:1], 0x18
	v_bfe_u32 v1, v0, 10, 10
	s_waitcnt lgkmcnt(0)
	s_lshr_b32 s7, s8, 16
	s_mul_i32 s2, s2, s7
	v_add_u32_e32 v2, s2, v1
	s_cmp_lt_u32 s3, s6
	v_cmp_gt_u32_e32 vcc, s5, v2
	s_cselect_b64 s[6:7], -1, 0
	s_and_b64 s[6:7], s[6:7], vcc
	s_and_saveexec_b64 s[8:9], s[6:7]
	s_cbranch_execz .LBB101_7
; %bb.1:
	s_load_dwordx2 s[6:7], s[0:1], 0x10
	s_ashr_i32 s2, s4, 31
	s_lshr_b32 s2, s2, 27
	s_add_i32 s2, s4, s2
	v_and_b32_e32 v3, 0x3ff, v0
	s_ashr_i32 s2, s2, 5
	v_lshrrev_b32_e32 v4, 1, v3
	v_cmp_gt_u32_e32 vcc, s2, v4
	v_mov_b32_e32 v5, 0
	s_and_saveexec_b64 s[12:13], vcc
	s_cbranch_execz .LBB101_5
; %bb.2:
	s_load_dwordx4 s[8:11], s[0:1], 0x0
	s_add_i32 s0, s4, 0x1ff
	s_ashr_i32 s1, s0, 31
	s_lshr_b32 s1, s1, 23
	s_add_i32 s0, s0, s1
	s_ashr_i32 s0, s0, 9
	v_lshlrev_b32_e32 v0, 3, v3
	s_mul_i32 s0, s3, s0
	v_and_b32_e32 v0, 8, v0
	v_mov_b32_e32 v1, 0
	v_mul_lo_u32 v6, v2, s2
	s_lshl_b32 s4, s0, 4
	v_or_b32_e32 v7, 4, v0
	s_mov_b64 s[0:1], 0
	s_mov_b32 s14, 0.5
	v_mov_b32_e32 v5, v1
.LBB101_3:                              ; =>This Inner Loop Header: Depth=1
	v_add_u32_e32 v8, v6, v4
	s_waitcnt lgkmcnt(0)
	v_mad_i64_i32 v[8:9], s[16:17], v8, 24, s[8:9]
	v_add_u32_e32 v10, s4, v4
	global_load_dwordx2 v[12:13], v[8:9], off
	v_mad_i64_i32 v[10:11], s[16:17], v10, 36, s[10:11]
	v_lshl_add_u64 v[8:9], v[8:9], 0, v[0:1]
	v_lshl_add_u64 v[14:15], v[10:11], 0, v[0:1]
	global_load_dwordx2 v[16:17], v[8:9], off offset:8
	global_load_dwordx2 v[18:19], v[14:15], off offset:4
	;; [unrolled: 1-line block ×3, first 2 shown]
	global_load_dword v22, v[10:11], off
	v_mov_b32_e32 v8, 0
	v_add_u32_e32 v4, 32, v4
	v_cmp_le_u32_e32 vcc, s2, v4
	s_or_b64 s[0:1], vcc, s[0:1]
	s_waitcnt vmcnt(4)
	v_ashrrev_i32_e32 v9, v0, v13
	v_ashrrev_i32_e32 v10, v7, v13
	v_lshlrev_b32_e32 v13, 4, v9
	v_lshlrev_b32_e32 v14, 11, v9
	;; [unrolled: 1-line block ×3, first 2 shown]
	s_waitcnt vmcnt(0)
	v_pk_mul_f16 v11, v12, v22
	v_and_b32_e32 v12, 0xf0f0f0f, v16
	v_lshlrev_b32_e32 v22, 25, v9
	v_lshrrev_b32_e32 v23, 12, v9
	v_lshrrev_b32_e32 v24, 5, v9
	v_lshlrev_b32_e32 v25, 2, v9
	v_and_b32_e32 v13, 16, v13
	v_and_b32_e32 v14, 0x1000, v14
	v_lshrrev_b32_e32 v16, 4, v16
	v_lshlrev_b32_e32 v9, 9, v9
	v_lshlrev_b32_e32 v27, 4, v10
	;; [unrolled: 1-line block ×4, first 2 shown]
	v_and_b32_e32 v15, 0x100000, v15
	v_and_b32_e32 v22, 0x10000000, v22
	;; [unrolled: 1-line block ×5, first 2 shown]
	v_or3_b32 v12, v13, v12, v14
	v_lshlrev_b32_e32 v30, 25, v10
	v_lshrrev_b32_e32 v31, 12, v10
	v_lshrrev_b32_e32 v32, 5, v10
	v_lshlrev_b32_e32 v33, 2, v10
	v_and_b32_e32 v16, 0xf0f0f0f, v16
	v_and_b32_e32 v9, 0x10000000, v9
	;; [unrolled: 1-line block ×5, first 2 shown]
	v_or3_b32 v13, v24, v23, v25
	v_or3_b32 v12, v12, v15, v22
	v_and_b32_e32 v26, 0xf0f0f0f, v17
	v_lshrrev_b32_e32 v17, 4, v17
	v_lshlrev_b32_e32 v10, 9, v10
	v_and_b32_e32 v30, 0x10000000, v30
	v_and_b32_e32 v31, 16, v31
	;; [unrolled: 1-line block ×4, first 2 shown]
	v_or3_b32 v14, v28, v27, v29
	v_or3_b32 v9, v13, v9, v16
	v_dot4c_i32_i8_e32 v8, v12, v18
	v_and_b32_e32 v17, 0xf0f0f0f, v17
	v_and_b32_e32 v10, 0x10000000, v10
	v_or3_b32 v23, v32, v31, v33
	v_or3_b32 v13, v14, v30, v26
	v_dot4c_i32_i8_e32 v8, v9, v20
	v_or3_b32 v10, v23, v10, v17
	v_dot4c_i32_i8_e32 v8, v13, v19
	v_dot4c_i32_i8_e32 v8, v10, v21
	v_cvt_f32_f16_e32 v34, v11
	s_nop 1
	v_cvt_f32_i32_e32 v8, v8
	v_mul_f32_e32 v8, v34, v8
	v_fma_mix_f32 v8, v11, s14, v8 op_sel:[1,0,0] op_sel_hi:[1,0,0]
	s_nop 0
	v_add_f32_e32 v5, v5, v8
	s_andn2_b64 exec, exec, s[0:1]
	s_cbranch_execnz .LBB101_3
; %bb.4:
	s_or_b64 exec, exec, s[0:1]
.LBB101_5:
	s_or_b64 exec, exec, s[12:13]
	v_mbcnt_lo_u32_b32 v0, -1, 0
	v_mbcnt_hi_u32_b32 v1, -1, v0
	v_and_b32_e32 v0, 64, v1
	v_add_u32_e32 v4, 64, v0
	v_xor_b32_e32 v0, 32, v1
	v_cmp_lt_i32_e32 vcc, v0, v4
	v_xor_b32_e32 v6, 16, v1
	s_nop 0
	v_cndmask_b32_e32 v0, v1, v0, vcc
	v_lshlrev_b32_e32 v0, 2, v0
	ds_bpermute_b32 v0, v0, v5
	v_cmp_lt_i32_e32 vcc, v6, v4
	s_waitcnt lgkmcnt(0)
	v_add_f32_e32 v0, v5, v0
	v_cndmask_b32_e32 v5, v1, v6, vcc
	v_lshlrev_b32_e32 v5, 2, v5
	ds_bpermute_b32 v5, v5, v0
	v_xor_b32_e32 v6, 8, v1
	v_cmp_lt_i32_e32 vcc, v6, v4
	s_waitcnt lgkmcnt(0)
	v_add_f32_e32 v0, v0, v5
	v_cndmask_b32_e32 v5, v1, v6, vcc
	v_lshlrev_b32_e32 v5, 2, v5
	ds_bpermute_b32 v5, v5, v0
	v_xor_b32_e32 v6, 4, v1
	;; [unrolled: 7-line block ×4, first 2 shown]
	v_cmp_lt_i32_e32 vcc, v6, v4
	s_waitcnt lgkmcnt(0)
	v_add_f32_e32 v0, v0, v5
	v_cndmask_b32_e32 v1, v1, v6, vcc
	v_lshlrev_b32_e32 v1, 2, v1
	ds_bpermute_b32 v1, v1, v0
	v_cmp_eq_u32_e32 vcc, 0, v3
	s_and_b64 exec, exec, vcc
	s_cbranch_execz .LBB101_7
; %bb.6:
	s_waitcnt lgkmcnt(0)
	v_add_f32_e32 v0, v0, v1
	v_bfe_u32 v1, v0, 16, 1
	s_movk_i32 s0, 0x7fff
	v_add3_u32 v1, v0, v1, s0
	v_lshrrev_b32_e32 v1, 16, v1
	v_mov_b32_e32 v3, 0x7fc0
	v_cmp_o_f32_e32 vcc, v0, v0
	s_mul_i32 s3, s3, s5
	v_add_u32_e32 v0, s3, v2
	v_cndmask_b32_e32 v3, v3, v1, vcc
	v_mov_b32_e32 v1, 0
	v_lshl_add_u64 v[0:1], v[0:1], 1, s[6:7]
	global_store_short v[0:1], v3, off
.LBB101_7:
	s_endpgm
	.section	.rodata,"a",@progbits
	.p2align	6, 0x0
	.amdhsa_kernel _ZL13mul_mat_vec_qIN3c108BFloat16ELi32ELi4E10block_q5_1Li2EXadL_ZL17vec_dot_q5_1_q8_1PKvPK10block_q8_1RKiEEEvS4_S4_PT_iii
		.amdhsa_group_segment_fixed_size 0
		.amdhsa_private_segment_fixed_size 0
		.amdhsa_kernarg_size 296
		.amdhsa_user_sgpr_count 2
		.amdhsa_user_sgpr_dispatch_ptr 0
		.amdhsa_user_sgpr_queue_ptr 0
		.amdhsa_user_sgpr_kernarg_segment_ptr 1
		.amdhsa_user_sgpr_dispatch_id 0
		.amdhsa_user_sgpr_kernarg_preload_length 0
		.amdhsa_user_sgpr_kernarg_preload_offset 0
		.amdhsa_user_sgpr_private_segment_size 0
		.amdhsa_uses_dynamic_stack 0
		.amdhsa_enable_private_segment 0
		.amdhsa_system_sgpr_workgroup_id_x 1
		.amdhsa_system_sgpr_workgroup_id_y 1
		.amdhsa_system_sgpr_workgroup_id_z 0
		.amdhsa_system_sgpr_workgroup_info 0
		.amdhsa_system_vgpr_workitem_id 1
		.amdhsa_next_free_vgpr 35
		.amdhsa_next_free_sgpr 18
		.amdhsa_accum_offset 36
		.amdhsa_reserve_vcc 1
		.amdhsa_float_round_mode_32 0
		.amdhsa_float_round_mode_16_64 0
		.amdhsa_float_denorm_mode_32 3
		.amdhsa_float_denorm_mode_16_64 3
		.amdhsa_dx10_clamp 1
		.amdhsa_ieee_mode 1
		.amdhsa_fp16_overflow 0
		.amdhsa_tg_split 0
		.amdhsa_exception_fp_ieee_invalid_op 0
		.amdhsa_exception_fp_denorm_src 0
		.amdhsa_exception_fp_ieee_div_zero 0
		.amdhsa_exception_fp_ieee_overflow 0
		.amdhsa_exception_fp_ieee_underflow 0
		.amdhsa_exception_fp_ieee_inexact 0
		.amdhsa_exception_int_div_zero 0
	.end_amdhsa_kernel
	.section	.text._ZL13mul_mat_vec_qIN3c108BFloat16ELi32ELi4E10block_q5_1Li2EXadL_ZL17vec_dot_q5_1_q8_1PKvPK10block_q8_1RKiEEEvS4_S4_PT_iii,"axG",@progbits,_ZL13mul_mat_vec_qIN3c108BFloat16ELi32ELi4E10block_q5_1Li2EXadL_ZL17vec_dot_q5_1_q8_1PKvPK10block_q8_1RKiEEEvS4_S4_PT_iii,comdat
.Lfunc_end101:
	.size	_ZL13mul_mat_vec_qIN3c108BFloat16ELi32ELi4E10block_q5_1Li2EXadL_ZL17vec_dot_q5_1_q8_1PKvPK10block_q8_1RKiEEEvS4_S4_PT_iii, .Lfunc_end101-_ZL13mul_mat_vec_qIN3c108BFloat16ELi32ELi4E10block_q5_1Li2EXadL_ZL17vec_dot_q5_1_q8_1PKvPK10block_q8_1RKiEEEvS4_S4_PT_iii
                                        ; -- End function
	.section	.AMDGPU.csdata,"",@progbits
; Kernel info:
; codeLenInByte = 964
; NumSgprs: 24
; NumVgprs: 35
; NumAgprs: 0
; TotalNumVgprs: 35
; ScratchSize: 0
; MemoryBound: 0
; FloatMode: 240
; IeeeMode: 1
; LDSByteSize: 0 bytes/workgroup (compile time only)
; SGPRBlocks: 2
; VGPRBlocks: 4
; NumSGPRsForWavesPerEU: 24
; NumVGPRsForWavesPerEU: 35
; AccumOffset: 36
; Occupancy: 8
; WaveLimiterHint : 0
; COMPUTE_PGM_RSRC2:SCRATCH_EN: 0
; COMPUTE_PGM_RSRC2:USER_SGPR: 2
; COMPUTE_PGM_RSRC2:TRAP_HANDLER: 0
; COMPUTE_PGM_RSRC2:TGID_X_EN: 1
; COMPUTE_PGM_RSRC2:TGID_Y_EN: 1
; COMPUTE_PGM_RSRC2:TGID_Z_EN: 0
; COMPUTE_PGM_RSRC2:TIDIG_COMP_CNT: 1
; COMPUTE_PGM_RSRC3_GFX90A:ACCUM_OFFSET: 8
; COMPUTE_PGM_RSRC3_GFX90A:TG_SPLIT: 0
	.section	.text._ZL13mul_mat_vec_qIN3c108BFloat16ELi32ELi8E10block_q8_0Li2EXadL_ZL17vec_dot_q8_0_q8_1PKvPK10block_q8_1RKiEEEvS4_S4_PT_iii,"axG",@progbits,_ZL13mul_mat_vec_qIN3c108BFloat16ELi32ELi8E10block_q8_0Li2EXadL_ZL17vec_dot_q8_0_q8_1PKvPK10block_q8_1RKiEEEvS4_S4_PT_iii,comdat
	.globl	_ZL13mul_mat_vec_qIN3c108BFloat16ELi32ELi8E10block_q8_0Li2EXadL_ZL17vec_dot_q8_0_q8_1PKvPK10block_q8_1RKiEEEvS4_S4_PT_iii ; -- Begin function _ZL13mul_mat_vec_qIN3c108BFloat16ELi32ELi8E10block_q8_0Li2EXadL_ZL17vec_dot_q8_0_q8_1PKvPK10block_q8_1RKiEEEvS4_S4_PT_iii
	.p2align	8
	.type	_ZL13mul_mat_vec_qIN3c108BFloat16ELi32ELi8E10block_q8_0Li2EXadL_ZL17vec_dot_q8_0_q8_1PKvPK10block_q8_1RKiEEEvS4_S4_PT_iii,@function
_ZL13mul_mat_vec_qIN3c108BFloat16ELi32ELi8E10block_q8_0Li2EXadL_ZL17vec_dot_q8_0_q8_1PKvPK10block_q8_1RKiEEEvS4_S4_PT_iii: ; @_ZL13mul_mat_vec_qIN3c108BFloat16ELi32ELi8E10block_q8_0Li2EXadL_ZL17vec_dot_q8_0_q8_1PKvPK10block_q8_1RKiEEEvS4_S4_PT_iii
; %bb.0:
	s_load_dword s8, s[0:1], 0x34
	s_load_dwordx4 s[4:7], s[0:1], 0x18
	v_bfe_u32 v1, v0, 10, 10
	s_waitcnt lgkmcnt(0)
	s_lshr_b32 s7, s8, 16
	s_mul_i32 s2, s2, s7
	v_add_u32_e32 v2, s2, v1
	s_cmp_lt_u32 s3, s6
	v_cmp_gt_u32_e32 vcc, s5, v2
	s_cselect_b64 s[6:7], -1, 0
	s_and_b64 s[6:7], s[6:7], vcc
	s_and_saveexec_b64 s[8:9], s[6:7]
	s_cbranch_execz .LBB102_7
; %bb.1:
	s_load_dwordx2 s[6:7], s[0:1], 0x10
	s_ashr_i32 s2, s4, 31
	s_lshr_b32 s2, s2, 27
	s_add_i32 s2, s4, s2
	v_and_b32_e32 v3, 0x3ff, v0
	s_ashr_i32 s2, s2, 5
	v_lshrrev_b32_e32 v5, 2, v3
	v_cmp_gt_u32_e32 vcc, s2, v5
	v_mov_b32_e32 v4, 0
	s_and_saveexec_b64 s[12:13], vcc
	s_cbranch_execz .LBB102_5
; %bb.2:
	s_load_dwordx4 s[8:11], s[0:1], 0x0
	s_add_i32 s0, s4, 0x1ff
	s_ashr_i32 s1, s0, 31
	s_lshr_b32 s1, s1, 23
	s_add_i32 s0, s0, s1
	s_ashr_i32 s0, s0, 9
	s_mul_i32 s0, s3, s0
	v_lshlrev_b32_e32 v0, 3, v3
	v_mov_b32_e32 v1, 0
	v_mul_lo_u32 v6, v2, s2
	s_lshl_b32 s4, s0, 4
	v_and_b32_e32 v0, 24, v0
	s_mov_b64 s[0:1], 0
	v_mov_b32_e32 v4, v1
.LBB102_3:                              ; =>This Inner Loop Header: Depth=1
	v_add_u32_e32 v7, v6, v5
	v_add_u32_e32 v10, s4, v5
	s_waitcnt lgkmcnt(0)
	v_mad_i64_i32 v[8:9], s[14:15], v7, 34, s[8:9]
	v_mad_i64_i32 v[10:11], s[14:15], v10, 36, s[10:11]
	v_lshl_add_u64 v[12:13], v[8:9], 0, v[0:1]
	v_lshl_add_u64 v[14:15], v[10:11], 0, v[0:1]
	global_load_ushort v7, v[8:9], off
	global_load_dwordx2 v[16:17], v[12:13], off offset:2
	global_load_dwordx2 v[18:19], v[14:15], off offset:4
	global_load_dword v20, v[10:11], off
	v_mov_b32_e32 v8, 0
	v_add_u32_e32 v5, 16, v5
	v_cmp_le_u32_e32 vcc, s2, v5
	s_or_b64 s[0:1], vcc, s[0:1]
	s_waitcnt vmcnt(3)
	v_cvt_f32_f16_e32 v7, v7
	s_waitcnt vmcnt(1)
	v_dot4c_i32_i8_e32 v8, v16, v18
	s_waitcnt vmcnt(0)
	v_cvt_f32_f16_e32 v9, v20
	v_dot4c_i32_i8_e32 v8, v17, v19
	v_mul_f32_e32 v7, v7, v9
	s_nop 1
	v_cvt_f32_i32_e32 v8, v8
	v_fmac_f32_e32 v4, v7, v8
	s_andn2_b64 exec, exec, s[0:1]
	s_cbranch_execnz .LBB102_3
; %bb.4:
	s_or_b64 exec, exec, s[0:1]
.LBB102_5:
	s_or_b64 exec, exec, s[12:13]
	v_mbcnt_lo_u32_b32 v0, -1, 0
	v_mbcnt_hi_u32_b32 v1, -1, v0
	v_and_b32_e32 v0, 64, v1
	v_add_u32_e32 v5, 64, v0
	v_xor_b32_e32 v0, 32, v1
	v_cmp_lt_i32_e32 vcc, v0, v5
	v_xor_b32_e32 v6, 16, v1
	s_nop 0
	v_cndmask_b32_e32 v0, v1, v0, vcc
	v_lshlrev_b32_e32 v0, 2, v0
	ds_bpermute_b32 v0, v0, v4
	v_cmp_lt_i32_e32 vcc, v6, v5
	s_waitcnt lgkmcnt(0)
	v_add_f32_e32 v0, v4, v0
	v_cndmask_b32_e32 v4, v1, v6, vcc
	v_lshlrev_b32_e32 v4, 2, v4
	ds_bpermute_b32 v4, v4, v0
	v_xor_b32_e32 v6, 8, v1
	v_cmp_lt_i32_e32 vcc, v6, v5
	s_waitcnt lgkmcnt(0)
	v_add_f32_e32 v0, v0, v4
	v_cndmask_b32_e32 v4, v1, v6, vcc
	v_lshlrev_b32_e32 v4, 2, v4
	ds_bpermute_b32 v4, v4, v0
	v_xor_b32_e32 v6, 4, v1
	;; [unrolled: 7-line block ×4, first 2 shown]
	v_cmp_lt_i32_e32 vcc, v6, v5
	s_waitcnt lgkmcnt(0)
	v_add_f32_e32 v0, v0, v4
	v_cndmask_b32_e32 v1, v1, v6, vcc
	v_lshlrev_b32_e32 v1, 2, v1
	ds_bpermute_b32 v1, v1, v0
	v_cmp_eq_u32_e32 vcc, 0, v3
	s_and_b64 exec, exec, vcc
	s_cbranch_execz .LBB102_7
; %bb.6:
	s_waitcnt lgkmcnt(0)
	v_add_f32_e32 v0, v0, v1
	v_bfe_u32 v1, v0, 16, 1
	s_movk_i32 s0, 0x7fff
	v_add3_u32 v1, v0, v1, s0
	v_lshrrev_b32_e32 v1, 16, v1
	v_mov_b32_e32 v3, 0x7fc0
	v_cmp_o_f32_e32 vcc, v0, v0
	s_mul_i32 s3, s3, s5
	v_add_u32_e32 v0, s3, v2
	v_cndmask_b32_e32 v3, v3, v1, vcc
	v_mov_b32_e32 v1, 0
	v_lshl_add_u64 v[0:1], v[0:1], 1, s[6:7]
	global_store_short v[0:1], v3, off
.LBB102_7:
	s_endpgm
	.section	.rodata,"a",@progbits
	.p2align	6, 0x0
	.amdhsa_kernel _ZL13mul_mat_vec_qIN3c108BFloat16ELi32ELi8E10block_q8_0Li2EXadL_ZL17vec_dot_q8_0_q8_1PKvPK10block_q8_1RKiEEEvS4_S4_PT_iii
		.amdhsa_group_segment_fixed_size 0
		.amdhsa_private_segment_fixed_size 0
		.amdhsa_kernarg_size 296
		.amdhsa_user_sgpr_count 2
		.amdhsa_user_sgpr_dispatch_ptr 0
		.amdhsa_user_sgpr_queue_ptr 0
		.amdhsa_user_sgpr_kernarg_segment_ptr 1
		.amdhsa_user_sgpr_dispatch_id 0
		.amdhsa_user_sgpr_kernarg_preload_length 0
		.amdhsa_user_sgpr_kernarg_preload_offset 0
		.amdhsa_user_sgpr_private_segment_size 0
		.amdhsa_uses_dynamic_stack 0
		.amdhsa_enable_private_segment 0
		.amdhsa_system_sgpr_workgroup_id_x 1
		.amdhsa_system_sgpr_workgroup_id_y 1
		.amdhsa_system_sgpr_workgroup_id_z 0
		.amdhsa_system_sgpr_workgroup_info 0
		.amdhsa_system_vgpr_workitem_id 1
		.amdhsa_next_free_vgpr 21
		.amdhsa_next_free_sgpr 16
		.amdhsa_accum_offset 24
		.amdhsa_reserve_vcc 1
		.amdhsa_float_round_mode_32 0
		.amdhsa_float_round_mode_16_64 0
		.amdhsa_float_denorm_mode_32 3
		.amdhsa_float_denorm_mode_16_64 3
		.amdhsa_dx10_clamp 1
		.amdhsa_ieee_mode 1
		.amdhsa_fp16_overflow 0
		.amdhsa_tg_split 0
		.amdhsa_exception_fp_ieee_invalid_op 0
		.amdhsa_exception_fp_denorm_src 0
		.amdhsa_exception_fp_ieee_div_zero 0
		.amdhsa_exception_fp_ieee_overflow 0
		.amdhsa_exception_fp_ieee_underflow 0
		.amdhsa_exception_fp_ieee_inexact 0
		.amdhsa_exception_int_div_zero 0
	.end_amdhsa_kernel
	.section	.text._ZL13mul_mat_vec_qIN3c108BFloat16ELi32ELi8E10block_q8_0Li2EXadL_ZL17vec_dot_q8_0_q8_1PKvPK10block_q8_1RKiEEEvS4_S4_PT_iii,"axG",@progbits,_ZL13mul_mat_vec_qIN3c108BFloat16ELi32ELi8E10block_q8_0Li2EXadL_ZL17vec_dot_q8_0_q8_1PKvPK10block_q8_1RKiEEEvS4_S4_PT_iii,comdat
.Lfunc_end102:
	.size	_ZL13mul_mat_vec_qIN3c108BFloat16ELi32ELi8E10block_q8_0Li2EXadL_ZL17vec_dot_q8_0_q8_1PKvPK10block_q8_1RKiEEEvS4_S4_PT_iii, .Lfunc_end102-_ZL13mul_mat_vec_qIN3c108BFloat16ELi32ELi8E10block_q8_0Li2EXadL_ZL17vec_dot_q8_0_q8_1PKvPK10block_q8_1RKiEEEvS4_S4_PT_iii
                                        ; -- End function
	.section	.AMDGPU.csdata,"",@progbits
; Kernel info:
; codeLenInByte = 640
; NumSgprs: 22
; NumVgprs: 21
; NumAgprs: 0
; TotalNumVgprs: 21
; ScratchSize: 0
; MemoryBound: 0
; FloatMode: 240
; IeeeMode: 1
; LDSByteSize: 0 bytes/workgroup (compile time only)
; SGPRBlocks: 2
; VGPRBlocks: 2
; NumSGPRsForWavesPerEU: 22
; NumVGPRsForWavesPerEU: 21
; AccumOffset: 24
; Occupancy: 8
; WaveLimiterHint : 0
; COMPUTE_PGM_RSRC2:SCRATCH_EN: 0
; COMPUTE_PGM_RSRC2:USER_SGPR: 2
; COMPUTE_PGM_RSRC2:TRAP_HANDLER: 0
; COMPUTE_PGM_RSRC2:TGID_X_EN: 1
; COMPUTE_PGM_RSRC2:TGID_Y_EN: 1
; COMPUTE_PGM_RSRC2:TGID_Z_EN: 0
; COMPUTE_PGM_RSRC2:TIDIG_COMP_CNT: 1
; COMPUTE_PGM_RSRC3_GFX90A:ACCUM_OFFSET: 5
; COMPUTE_PGM_RSRC3_GFX90A:TG_SPLIT: 0
	.section	.text._ZL13mul_mat_vec_qIN3c108BFloat16ELi256ELi16E10block_q2_KLi1EXadL_ZL17vec_dot_q2_K_q8_1PKvPK10block_q8_1RKiEEEvS4_S4_PT_iii,"axG",@progbits,_ZL13mul_mat_vec_qIN3c108BFloat16ELi256ELi16E10block_q2_KLi1EXadL_ZL17vec_dot_q2_K_q8_1PKvPK10block_q8_1RKiEEEvS4_S4_PT_iii,comdat
	.globl	_ZL13mul_mat_vec_qIN3c108BFloat16ELi256ELi16E10block_q2_KLi1EXadL_ZL17vec_dot_q2_K_q8_1PKvPK10block_q8_1RKiEEEvS4_S4_PT_iii ; -- Begin function _ZL13mul_mat_vec_qIN3c108BFloat16ELi256ELi16E10block_q2_KLi1EXadL_ZL17vec_dot_q2_K_q8_1PKvPK10block_q8_1RKiEEEvS4_S4_PT_iii
	.p2align	8
	.type	_ZL13mul_mat_vec_qIN3c108BFloat16ELi256ELi16E10block_q2_KLi1EXadL_ZL17vec_dot_q2_K_q8_1PKvPK10block_q8_1RKiEEEvS4_S4_PT_iii,@function
_ZL13mul_mat_vec_qIN3c108BFloat16ELi256ELi16E10block_q2_KLi1EXadL_ZL17vec_dot_q2_K_q8_1PKvPK10block_q8_1RKiEEEvS4_S4_PT_iii: ; @_ZL13mul_mat_vec_qIN3c108BFloat16ELi256ELi16E10block_q2_KLi1EXadL_ZL17vec_dot_q2_K_q8_1PKvPK10block_q8_1RKiEEEvS4_S4_PT_iii
; %bb.0:
	s_load_dword s8, s[0:1], 0x34
	s_load_dwordx4 s[4:7], s[0:1], 0x18
	v_bfe_u32 v1, v0, 10, 10
	s_waitcnt lgkmcnt(0)
	s_lshr_b32 s7, s8, 16
	s_mul_i32 s2, s2, s7
	v_add_u32_e32 v10, s2, v1
	s_cmp_lt_u32 s3, s6
	v_cmp_gt_u32_e32 vcc, s5, v10
	s_cselect_b64 s[6:7], -1, 0
	s_and_b64 s[6:7], s[6:7], vcc
	s_and_saveexec_b64 s[8:9], s[6:7]
	s_cbranch_execz .LBB103_7
; %bb.1:
	s_load_dwordx2 s[6:7], s[0:1], 0x10
	s_ashr_i32 s2, s4, 31
	s_lshr_b32 s2, s2, 24
	s_add_i32 s2, s4, s2
	v_and_b32_e32 v11, 0x3ff, v0
	s_ashr_i32 s2, s2, 8
	v_lshrrev_b32_e32 v12, 4, v11
	v_cmp_gt_u32_e32 vcc, s2, v12
	v_mov_b32_e32 v14, 0
	s_and_saveexec_b64 s[8:9], vcc
	s_cbranch_execz .LBB103_5
; %bb.2:
	s_load_dwordx4 s[12:15], s[0:1], 0x0
	s_add_i32 s0, s4, 0x1ff
	v_and_b32_e32 v6, 15, v11
	s_ashr_i32 s1, s0, 31
	v_cmp_lt_u32_e32 vcc, 7, v6
	s_lshr_b32 s1, s1, 23
	v_mov_b32_e32 v1, 0
	v_cndmask_b32_e64 v0, 0, 1, vcc
	v_add_u32_e32 v2, -8, v6
	v_cmp_gt_u32_e32 vcc, 8, v6
	s_add_i32 s0, s0, s1
	v_mov_b32_e32 v5, v1
	v_cndmask_b32_e32 v4, v2, v6, vcc
	s_ashr_i32 s0, s0, 9
	v_lshlrev_b32_e32 v7, 2, v0
	v_lshlrev_b64 v[2:3], 2, v[4:5]
	v_sub_u32_e32 v5, v6, v4
	v_cmp_lt_u32_e32 vcc, 3, v4
	s_mul_i32 s4, s3, s0
	v_lshlrev_b32_e32 v0, 2, v6
	v_addc_co_u32_e32 v4, vcc, 0, v5, vcc
	s_waitcnt lgkmcnt(0)
	v_mad_u64_u32 v[6:7], s[0:1], v7, 36, s[14:15]
	v_lshlrev_b32_e32 v8, 3, v12
	v_mul_lo_u32 v13, v10, s2
	v_ashrrev_i32_e32 v5, 31, v4
	v_lshl_add_u32 v15, s4, 4, v8
	s_mov_b64 s[0:1], 0
	s_movk_i32 s4, 0x54
	v_mov_b64_e32 v[8:9], s[12:13]
	s_mov_b64 s[10:11], 0x48
	s_mov_b64 s[12:13], 0x6c
	s_mov_b32 s14, 0x1010101
	v_mov_b32_e32 v14, v1
.LBB103_3:                              ; =>This Inner Loop Header: Depth=1
	v_mad_i64_i32 v[16:17], s[16:17], v15, 36, v[6:7]
	v_add_u32_e32 v18, v13, v12
	global_load_dword v32, v[16:17], off
	global_load_dword v33, v[16:17], off offset:36
	global_load_dword v34, v[16:17], off offset:72
	v_mad_i64_i32 v[18:19], s[16:17], v18, s4, v[8:9]
	v_lshl_add_u64 v[20:21], v[16:17], 0, v[2:3]
	v_lshl_add_u64 v[22:23], v[16:17], 0, 36
	;; [unrolled: 1-line block ×9, first 2 shown]
	global_load_dword v35, v[20:21], off offset:4
	global_load_dword v36, v[22:23], off offset:4
	;; [unrolled: 1-line block ×6, first 2 shown]
	global_load_ubyte v41, v[30:31], off
	global_load_ubyte v42, v[30:31], off offset:2
	global_load_ubyte v43, v[30:31], off offset:4
	;; [unrolled: 1-line block ×3, first 2 shown]
	global_load_dword v45, v[18:19], off offset:80
	v_mov_b32_e32 v17, 0
	v_mov_b32_e32 v19, 0
	;; [unrolled: 1-line block ×8, first 2 shown]
	v_add_u32_e32 v12, 4, v12
	v_cmp_le_u32_e32 vcc, s2, v12
	v_add_u32_e32 v15, 32, v15
	s_or_b64 s[0:1], vcc, s[0:1]
	s_waitcnt vmcnt(13)
	v_cvt_f32_f16_e32 v16, v32
	s_waitcnt vmcnt(12)
	v_cvt_f32_f16_e32 v18, v33
	;; [unrolled: 2-line block ×4, first 2 shown]
	s_waitcnt vmcnt(5)
	v_and_b32_e32 v29, 0x3030303, v40
	s_waitcnt vmcnt(4)
	v_and_b32_e32 v31, 15, v41
	v_lshrrev_b32_e32 v32, 4, v41
	v_lshrrev_b32_e32 v33, 2, v40
	s_waitcnt vmcnt(3)
	v_lshrrev_b32_e32 v39, 4, v42
	v_lshrrev_b32_e32 v41, 4, v40
	;; [unrolled: 1-line block ×3, first 2 shown]
	v_and_b32_e32 v34, 15, v42
	s_waitcnt vmcnt(2)
	v_and_b32_e32 v42, 15, v43
	v_lshrrev_b32_e32 v43, 4, v43
	v_dot4c_i32_i8_e32 v17, v29, v35
	v_mul_lo_u32 v29, v32, s14
	v_and_b32_e32 v32, 0x3030303, v33
	v_mul_lo_u32 v33, v39, s14
	v_and_b32_e32 v39, 0x3030303, v41
	v_and_b32_e32 v40, 0x3030303, v40
	s_waitcnt vmcnt(1)
	v_and_b32_e32 v46, 15, v44
	v_lshrrev_b32_e32 v44, 4, v44
	v_mul_lo_u32 v41, v43, s14
	v_mul_lo_u32 v17, v31, v17
	v_dot4c_i32_i8_e32 v19, v29, v35
	v_dot4c_i32_i8_e32 v21, v32, v36
	;; [unrolled: 1-line block ×4, first 2 shown]
	v_mul_lo_u32 v43, v44, s14
	v_dot4c_i32_i8_e32 v23, v33, v36
	v_dot4c_i32_i8_e32 v28, v41, v37
	v_mul_lo_u32 v21, v34, v21
	v_mul_lo_u32 v32, v42, v26
	v_mul_lo_u32 v34, v46, v27
	v_cvt_f32_i32_e32 v27, v19
	v_cvt_f32_i32_e32 v26, v17
	v_dot4c_i32_i8_e32 v30, v43, v38
	v_cvt_f32_i32_e32 v29, v23
	v_cvt_f32_i32_e32 v31, v28
	;; [unrolled: 1-line block ×6, first 2 shown]
	s_waitcnt vmcnt(0)
	v_cvt_f32_f16_e32 v24, v45
	v_cvt_f32_f16_sdwa v25, v45 dst_sel:DWORD dst_unused:UNUSED_PAD src0_sel:WORD_1
	v_pk_fma_f32 v[16:17], v[16:17], v[26:27], 0 op_sel_hi:[0,1,0]
	v_pk_fma_f32 v[16:17], v[18:19], v[28:29], v[16:17] op_sel_hi:[0,1,1]
	;; [unrolled: 1-line block ×4, first 2 shown]
	v_pk_mul_f32 v[16:17], v[16:17], v[24:25]
	s_nop 0
	v_sub_f32_e32 v16, v16, v17
	v_add_f32_e32 v14, v14, v16
	s_andn2_b64 exec, exec, s[0:1]
	s_cbranch_execnz .LBB103_3
; %bb.4:
	s_or_b64 exec, exec, s[0:1]
.LBB103_5:
	s_or_b64 exec, exec, s[8:9]
	v_mbcnt_lo_u32_b32 v0, -1, 0
	v_mbcnt_hi_u32_b32 v1, -1, v0
	v_and_b32_e32 v0, 64, v1
	v_add_u32_e32 v2, 64, v0
	v_xor_b32_e32 v0, 32, v1
	v_cmp_lt_i32_e32 vcc, v0, v2
	v_xor_b32_e32 v3, 16, v1
	v_xor_b32_e32 v4, 8, v1
	v_cndmask_b32_e32 v0, v1, v0, vcc
	v_lshlrev_b32_e32 v0, 2, v0
	ds_bpermute_b32 v0, v0, v14
	v_cmp_lt_i32_e32 vcc, v3, v2
	s_waitcnt lgkmcnt(0)
	v_add_f32_e32 v0, v14, v0
	v_cndmask_b32_e32 v3, v1, v3, vcc
	v_lshlrev_b32_e32 v3, 2, v3
	ds_bpermute_b32 v3, v3, v0
	v_cmp_lt_i32_e32 vcc, v4, v2
	s_waitcnt lgkmcnt(0)
	v_add_f32_e32 v0, v0, v3
	v_cndmask_b32_e32 v3, v1, v4, vcc
	v_lshlrev_b32_e32 v3, 2, v3
	ds_bpermute_b32 v3, v3, v0
	v_xor_b32_e32 v4, 4, v1
	v_cmp_lt_i32_e32 vcc, v4, v2
	s_waitcnt lgkmcnt(0)
	v_add_f32_e32 v0, v0, v3
	v_cndmask_b32_e32 v3, v1, v4, vcc
	v_lshlrev_b32_e32 v3, 2, v3
	ds_bpermute_b32 v3, v3, v0
	v_xor_b32_e32 v4, 2, v1
	;; [unrolled: 7-line block ×3, first 2 shown]
	v_cmp_lt_i32_e32 vcc, v4, v2
	s_waitcnt lgkmcnt(0)
	v_add_f32_e32 v0, v0, v3
	v_cndmask_b32_e32 v1, v1, v4, vcc
	v_lshlrev_b32_e32 v1, 2, v1
	ds_bpermute_b32 v1, v1, v0
	v_cmp_eq_u32_e32 vcc, 0, v11
	s_and_b64 exec, exec, vcc
	s_cbranch_execz .LBB103_7
; %bb.6:
	s_waitcnt lgkmcnt(0)
	v_add_f32_e32 v0, v0, v1
	v_bfe_u32 v1, v0, 16, 1
	s_movk_i32 s0, 0x7fff
	v_add3_u32 v1, v0, v1, s0
	v_lshrrev_b32_e32 v1, 16, v1
	v_mov_b32_e32 v2, 0x7fc0
	v_cmp_o_f32_e32 vcc, v0, v0
	s_mul_i32 s3, s3, s5
	v_add_u32_e32 v0, s3, v10
	v_cndmask_b32_e32 v2, v2, v1, vcc
	v_mov_b32_e32 v1, 0
	v_lshl_add_u64 v[0:1], v[0:1], 1, s[6:7]
	global_store_short v[0:1], v2, off
.LBB103_7:
	s_endpgm
	.section	.rodata,"a",@progbits
	.p2align	6, 0x0
	.amdhsa_kernel _ZL13mul_mat_vec_qIN3c108BFloat16ELi256ELi16E10block_q2_KLi1EXadL_ZL17vec_dot_q2_K_q8_1PKvPK10block_q8_1RKiEEEvS4_S4_PT_iii
		.amdhsa_group_segment_fixed_size 0
		.amdhsa_private_segment_fixed_size 0
		.amdhsa_kernarg_size 296
		.amdhsa_user_sgpr_count 2
		.amdhsa_user_sgpr_dispatch_ptr 0
		.amdhsa_user_sgpr_queue_ptr 0
		.amdhsa_user_sgpr_kernarg_segment_ptr 1
		.amdhsa_user_sgpr_dispatch_id 0
		.amdhsa_user_sgpr_kernarg_preload_length 0
		.amdhsa_user_sgpr_kernarg_preload_offset 0
		.amdhsa_user_sgpr_private_segment_size 0
		.amdhsa_uses_dynamic_stack 0
		.amdhsa_enable_private_segment 0
		.amdhsa_system_sgpr_workgroup_id_x 1
		.amdhsa_system_sgpr_workgroup_id_y 1
		.amdhsa_system_sgpr_workgroup_id_z 0
		.amdhsa_system_sgpr_workgroup_info 0
		.amdhsa_system_vgpr_workitem_id 1
		.amdhsa_next_free_vgpr 47
		.amdhsa_next_free_sgpr 18
		.amdhsa_accum_offset 48
		.amdhsa_reserve_vcc 1
		.amdhsa_float_round_mode_32 0
		.amdhsa_float_round_mode_16_64 0
		.amdhsa_float_denorm_mode_32 3
		.amdhsa_float_denorm_mode_16_64 3
		.amdhsa_dx10_clamp 1
		.amdhsa_ieee_mode 1
		.amdhsa_fp16_overflow 0
		.amdhsa_tg_split 0
		.amdhsa_exception_fp_ieee_invalid_op 0
		.amdhsa_exception_fp_denorm_src 0
		.amdhsa_exception_fp_ieee_div_zero 0
		.amdhsa_exception_fp_ieee_overflow 0
		.amdhsa_exception_fp_ieee_underflow 0
		.amdhsa_exception_fp_ieee_inexact 0
		.amdhsa_exception_int_div_zero 0
	.end_amdhsa_kernel
	.section	.text._ZL13mul_mat_vec_qIN3c108BFloat16ELi256ELi16E10block_q2_KLi1EXadL_ZL17vec_dot_q2_K_q8_1PKvPK10block_q8_1RKiEEEvS4_S4_PT_iii,"axG",@progbits,_ZL13mul_mat_vec_qIN3c108BFloat16ELi256ELi16E10block_q2_KLi1EXadL_ZL17vec_dot_q2_K_q8_1PKvPK10block_q8_1RKiEEEvS4_S4_PT_iii,comdat
.Lfunc_end103:
	.size	_ZL13mul_mat_vec_qIN3c108BFloat16ELi256ELi16E10block_q2_KLi1EXadL_ZL17vec_dot_q2_K_q8_1PKvPK10block_q8_1RKiEEEvS4_S4_PT_iii, .Lfunc_end103-_ZL13mul_mat_vec_qIN3c108BFloat16ELi256ELi16E10block_q2_KLi1EXadL_ZL17vec_dot_q2_K_q8_1PKvPK10block_q8_1RKiEEEvS4_S4_PT_iii
                                        ; -- End function
	.section	.AMDGPU.csdata,"",@progbits
; Kernel info:
; codeLenInByte = 1184
; NumSgprs: 24
; NumVgprs: 47
; NumAgprs: 0
; TotalNumVgprs: 47
; ScratchSize: 0
; MemoryBound: 0
; FloatMode: 240
; IeeeMode: 1
; LDSByteSize: 0 bytes/workgroup (compile time only)
; SGPRBlocks: 2
; VGPRBlocks: 5
; NumSGPRsForWavesPerEU: 24
; NumVGPRsForWavesPerEU: 47
; AccumOffset: 48
; Occupancy: 8
; WaveLimiterHint : 0
; COMPUTE_PGM_RSRC2:SCRATCH_EN: 0
; COMPUTE_PGM_RSRC2:USER_SGPR: 2
; COMPUTE_PGM_RSRC2:TRAP_HANDLER: 0
; COMPUTE_PGM_RSRC2:TGID_X_EN: 1
; COMPUTE_PGM_RSRC2:TGID_Y_EN: 1
; COMPUTE_PGM_RSRC2:TGID_Z_EN: 0
; COMPUTE_PGM_RSRC2:TIDIG_COMP_CNT: 1
; COMPUTE_PGM_RSRC3_GFX90A:ACCUM_OFFSET: 11
; COMPUTE_PGM_RSRC3_GFX90A:TG_SPLIT: 0
	.section	.text._ZL13mul_mat_vec_qIN3c108BFloat16ELi256ELi16E10block_q3_KLi1EXadL_ZL17vec_dot_q3_K_q8_1PKvPK10block_q8_1RKiEEEvS4_S4_PT_iii,"axG",@progbits,_ZL13mul_mat_vec_qIN3c108BFloat16ELi256ELi16E10block_q3_KLi1EXadL_ZL17vec_dot_q3_K_q8_1PKvPK10block_q8_1RKiEEEvS4_S4_PT_iii,comdat
	.globl	_ZL13mul_mat_vec_qIN3c108BFloat16ELi256ELi16E10block_q3_KLi1EXadL_ZL17vec_dot_q3_K_q8_1PKvPK10block_q8_1RKiEEEvS4_S4_PT_iii ; -- Begin function _ZL13mul_mat_vec_qIN3c108BFloat16ELi256ELi16E10block_q3_KLi1EXadL_ZL17vec_dot_q3_K_q8_1PKvPK10block_q8_1RKiEEEvS4_S4_PT_iii
	.p2align	8
	.type	_ZL13mul_mat_vec_qIN3c108BFloat16ELi256ELi16E10block_q3_KLi1EXadL_ZL17vec_dot_q3_K_q8_1PKvPK10block_q8_1RKiEEEvS4_S4_PT_iii,@function
_ZL13mul_mat_vec_qIN3c108BFloat16ELi256ELi16E10block_q3_KLi1EXadL_ZL17vec_dot_q3_K_q8_1PKvPK10block_q8_1RKiEEEvS4_S4_PT_iii: ; @_ZL13mul_mat_vec_qIN3c108BFloat16ELi256ELi16E10block_q3_KLi1EXadL_ZL17vec_dot_q3_K_q8_1PKvPK10block_q8_1RKiEEEvS4_S4_PT_iii
; %bb.0:
	s_load_dword s8, s[0:1], 0x34
	s_load_dwordx4 s[4:7], s[0:1], 0x18
	v_bfe_u32 v1, v0, 10, 10
	s_waitcnt lgkmcnt(0)
	s_lshr_b32 s7, s8, 16
	s_mul_i32 s2, s2, s7
	v_add_u32_e32 v24, s2, v1
	s_cmp_lt_u32 s3, s6
	v_cmp_gt_u32_e32 vcc, s5, v24
	s_cselect_b64 s[6:7], -1, 0
	s_and_b64 s[6:7], s[6:7], vcc
	s_and_saveexec_b64 s[8:9], s[6:7]
	s_cbranch_execz .LBB104_7
; %bb.1:
	s_load_dwordx2 s[6:7], s[0:1], 0x10
	s_ashr_i32 s2, s4, 31
	s_lshr_b32 s2, s2, 24
	s_add_i32 s2, s4, s2
	v_and_b32_e32 v25, 0x3ff, v0
	s_ashr_i32 s2, s2, 8
	v_lshrrev_b32_e32 v26, 4, v25
	v_cmp_gt_u32_e32 vcc, s2, v26
	v_mov_b32_e32 v35, 0
	s_and_saveexec_b64 s[12:13], vcc
	s_cbranch_execz .LBB104_5
; %bb.2:
	v_and_b32_e32 v6, 15, v25
	v_cmp_lt_u32_e32 vcc, 7, v6
	v_mov_b32_e32 v1, 0
	v_mov_b32_e32 v5, v1
	v_cndmask_b32_e64 v0, 0, 1, vcc
	v_lshlrev_b32_e32 v28, 2, v0
	v_add_u32_e32 v0, -8, v6
	v_cmp_gt_u32_e32 vcc, 8, v6
	v_mov_b32_e32 v17, 7
	v_mov_b32_e32 v18, 5
	v_cndmask_b32_e32 v4, v0, v6, vcc
	v_lshlrev_b64 v[2:3], 2, v[4:5]
	v_sub_u32_e32 v5, v6, v4
	v_cmp_lt_u32_e32 vcc, 3, v4
	v_mov_b32_e32 v21, 6
	v_mov_b32_e32 v20, 2
	v_addc_co_u32_e32 v16, vcc, 0, v5, vcc
	v_add_u16_e32 v10, 2, v16
	v_lshrrev_b16_sdwa v11, v17, sext(v10) dst_sel:DWORD dst_unused:UNUSED_PAD src0_sel:DWORD src1_sel:BYTE_0
	v_lshrrev_b16_sdwa v8, v18, v11 dst_sel:DWORD dst_unused:UNUSED_PAD src0_sel:DWORD src1_sel:BYTE_0
	v_lshrrev_b16_sdwa v11, v21, v11 dst_sel:DWORD dst_unused:UNUSED_PAD src0_sel:DWORD src1_sel:BYTE_0
	v_add_u16_e32 v11, v10, v11
	v_add_u16_e32 v14, 4, v16
	v_mov_b32_e32 v22, 1
	v_ashrrev_i16_sdwa v12, v20, sext(v11) dst_sel:DWORD dst_unused:UNUSED_PAD src0_sel:DWORD src1_sel:BYTE_0
	v_lshrrev_b16_sdwa v15, v17, sext(v14) dst_sel:DWORD dst_unused:UNUSED_PAD src0_sel:DWORD src1_sel:BYTE_0
	v_lshlrev_b32_sdwa v32, v22, sext(v12) dst_sel:DWORD dst_unused:UNUSED_PAD src0_sel:DWORD src1_sel:WORD_0
	v_lshrrev_b16_sdwa v12, v18, v15 dst_sel:DWORD dst_unused:UNUSED_PAD src0_sel:DWORD src1_sel:BYTE_0
	v_lshrrev_b16_sdwa v15, v21, v15 dst_sel:DWORD dst_unused:UNUSED_PAD src0_sel:DWORD src1_sel:BYTE_0
	v_lshlrev_b32_e32 v0, 2, v6
	v_lshrrev_b16_sdwa v6, v17, sext(v16) dst_sel:DWORD dst_unused:UNUSED_PAD src0_sel:DWORD src1_sel:BYTE_0
	v_add_u16_e32 v15, v14, v15
	v_lshrrev_b16_sdwa v4, v18, v6 dst_sel:DWORD dst_unused:UNUSED_PAD src0_sel:DWORD src1_sel:BYTE_0
	v_lshrrev_b16_sdwa v6, v21, v6 dst_sel:DWORD dst_unused:UNUSED_PAD src0_sel:DWORD src1_sel:BYTE_0
	v_lshrrev_b16_sdwa v23, v20, sext(v15) dst_sel:DWORD dst_unused:UNUSED_PAD src0_sel:DWORD src1_sel:BYTE_0
	v_add_u16_e32 v4, v16, v4
	v_mov_b32_e32 v19, 3
	v_add_u16_e32 v6, v16, v6
	v_lshlrev_b32_sdwa v34, v22, v23 dst_sel:DWORD dst_unused:UNUSED_PAD src0_sel:DWORD src1_sel:BYTE_0
	v_add_u16_e32 v23, 6, v16
	s_load_dwordx4 s[8:11], s[0:1], 0x0
	s_add_i32 s0, s4, 0x1ff
	v_lshrrev_b16_sdwa v5, v19, sext(v4) dst_sel:DWORD dst_unused:UNUSED_PAD src0_sel:DWORD src1_sel:BYTE_0
	v_and_b32_e32 v4, 0xf8, v4
	v_ashrrev_i16_sdwa v7, v20, sext(v6) dst_sel:DWORD dst_unused:UNUSED_PAD src0_sel:DWORD src1_sel:BYTE_0
	v_and_b32_e32 v6, 0xfc, v6
	v_lshrrev_b16_sdwa v35, v17, sext(v23) dst_sel:DWORD dst_unused:UNUSED_PAD src0_sel:DWORD src1_sel:BYTE_0
	s_ashr_i32 s1, s0, 31
	v_sub_u16_e32 v4, v16, v4
	v_sub_u16_e32 v6, v16, v6
	v_lshrrev_b16_sdwa v16, v18, v35 dst_sel:DWORD dst_unused:UNUSED_PAD src0_sel:DWORD src1_sel:BYTE_0
	v_lshrrev_b16_sdwa v18, v21, v35 dst_sel:DWORD dst_unused:UNUSED_PAD src0_sel:DWORD src1_sel:BYTE_0
	s_lshr_b32 s1, s1, 23
	v_add_u16_e32 v8, v10, v8
	v_add_u16_e32 v12, v14, v12
	;; [unrolled: 1-line block ×4, first 2 shown]
	s_add_i32 s0, s0, s1
	v_lshrrev_b16_sdwa v9, v19, sext(v8) dst_sel:DWORD dst_unused:UNUSED_PAD src0_sel:DWORD src1_sel:BYTE_0
	v_and_b32_e32 v8, 0xf8, v8
	v_and_b32_e32 v11, 0xfc, v11
	v_lshrrev_b16_sdwa v13, v19, sext(v12) dst_sel:DWORD dst_unused:UNUSED_PAD src0_sel:DWORD src1_sel:BYTE_0
	v_and_b32_e32 v12, 0xf8, v12
	v_and_b32_e32 v15, 0xfc, v15
	v_lshrrev_b16_sdwa v17, v19, sext(v16) dst_sel:DWORD dst_unused:UNUSED_PAD src0_sel:DWORD src1_sel:BYTE_0
	v_and_b32_e32 v16, 0xf8, v16
	v_lshrrev_b16_sdwa v19, v20, sext(v18) dst_sel:DWORD dst_unused:UNUSED_PAD src0_sel:DWORD src1_sel:BYTE_0
	v_and_b32_e32 v18, 0xfc, v18
	s_ashr_i32 s0, s0, 9
	v_sub_u16_e32 v8, v10, v8
	v_sub_u16_e32 v10, v10, v11
	;; [unrolled: 1-line block ×6, first 2 shown]
	s_mul_i32 s4, s3, s0
	v_lshlrev_b32_sdwa v29, v20, v5 dst_sel:DWORD dst_unused:UNUSED_PAD src0_sel:DWORD src1_sel:BYTE_0
	v_bfe_i32 v4, v4, 0, 8
	v_lshlrev_b32_sdwa v30, v22, sext(v7) dst_sel:DWORD dst_unused:UNUSED_PAD src0_sel:DWORD src1_sel:WORD_0
	v_bfe_i32 v6, v6, 0, 8
	v_lshlrev_b32_sdwa v31, v20, v9 dst_sel:DWORD dst_unused:UNUSED_PAD src0_sel:DWORD src1_sel:BYTE_0
	v_bfe_i32 v8, v8, 0, 8
	v_bfe_i32 v10, v10, 0, 8
	v_lshlrev_b32_sdwa v33, v20, v13 dst_sel:DWORD dst_unused:UNUSED_PAD src0_sel:DWORD src1_sel:BYTE_0
	v_bfe_i32 v12, v12, 0, 8
	;; [unrolled: 3-line block ×3, first 2 shown]
	v_lshlrev_b32_sdwa v37, v22, v19 dst_sel:DWORD dst_unused:UNUSED_PAD src0_sel:DWORD src1_sel:BYTE_0
	v_bfe_i32 v18, v18, 0, 8
	s_waitcnt lgkmcnt(0)
	v_mad_u64_u32 v[20:21], s[0:1], v28, 36, s[10:11]
	v_lshlrev_b32_e32 v22, 3, v26
	v_mul_lo_u32 v27, v24, s2
	v_ashrrev_i32_e32 v5, 31, v4
	v_ashrrev_i32_e32 v7, 31, v6
	;; [unrolled: 1-line block ×8, first 2 shown]
	v_lshl_add_u32 v38, s4, 4, v22
	s_mov_b64 s[0:1], 0
	s_movk_i32 s4, 0x6e
	s_mov_b64 s[10:11], 0x48
	s_mov_b64 s[14:15], 0x6c
	v_mov_b32_e32 v35, v1
.LBB104_3:                              ; =>This Inner Loop Header: Depth=1
	v_add_u32_e32 v39, v27, v26
	v_mov_b64_e32 v[22:23], s[8:9]
	v_mad_i64_i32 v[22:23], s[16:17], v39, s4, v[22:23]
	v_lshl_add_u64 v[42:43], v[22:23], 0, v[2:3]
	global_load_ushort v39, v[22:23], off offset:108
	global_load_dword v46, v[42:43], off
	v_mad_i64_i32 v[42:43], s[16:17], v38, 36, v[20:21]
	v_lshl_add_u64 v[44:45], v[42:43], 0, v[2:3]
	global_load_dword v47, v[44:45], off offset:4
	global_load_dword v48, v[42:43], off
	v_lshl_add_u64 v[44:45], v[42:43], 0, 36
	v_lshl_add_u64 v[44:45], v[44:45], 0, v[2:3]
	global_load_dword v49, v[44:45], off offset:4
	global_load_dword v50, v[42:43], off offset:36
	v_lshl_add_u64 v[44:45], v[42:43], 0, s[10:11]
	v_lshl_add_u64 v[44:45], v[44:45], 0, v[2:3]
	global_load_dword v51, v[44:45], off offset:4
	global_load_dword v52, v[42:43], off offset:72
	v_lshl_add_u64 v[44:45], v[42:43], 0, s[14:15]
	v_lshl_add_u64 v[40:41], v[22:23], 0, v[0:1]
	;; [unrolled: 1-line block ×3, first 2 shown]
	global_load_dword v53, v[44:45], off offset:4
	global_load_dword v54, v[42:43], off offset:108
	v_add_u32_e32 v26, 4, v26
	global_load_dword v43, v[40:41], off offset:32
	v_lshl_add_u64 v[40:41], v[22:23], 0, v[4:5]
	global_load_ubyte v40, v[40:41], off offset:96
	v_cmp_le_u32_e32 vcc, s2, v26
	v_add_u32_e32 v38, 32, v38
	s_or_b64 s[0:1], vcc, s[0:1]
	s_waitcnt vmcnt(10)
	v_ashrrev_i32_e32 v42, v28, v46
	v_not_b32_e32 v42, v42
	v_lshlrev_b32_e32 v45, 2, v42
	v_and_b32_e32 v45, 0x4040404, v45
	s_waitcnt vmcnt(0)
	v_bfe_u32 v44, v40, v29, 4
	v_lshl_add_u64 v[40:41], v[22:23], 0, v[6:7]
	global_load_ubyte v40, v[40:41], off offset:104
	v_and_b32_e32 v41, 0x3030303, v43
	v_sub_u16_e32 v46, v41, v45
	v_sub_u16_sdwa v55, v41, v45 dst_sel:BYTE_1 dst_unused:UNUSED_PAD src0_sel:BYTE_1 src1_sel:BYTE_1
	v_sub_u16_sdwa v41, v41, v45 dst_sel:DWORD dst_unused:UNUSED_PAD src0_sel:WORD_1 src1_sel:WORD_1
	v_or_b32_sdwa v46, v46, v55 dst_sel:DWORD dst_unused:UNUSED_PAD src0_sel:BYTE_0 src1_sel:DWORD
	s_waitcnt vmcnt(0)
	v_lshrrev_b32_e32 v40, v30, v40
	v_lshlrev_b32_e32 v40, 4, v40
	v_and_or_b32 v40, v40, 48, v44
	v_bfe_u32 v44, v43, 24, 2
	v_sub_u16_sdwa v44, v44, v45 dst_sel:BYTE_1 dst_unused:UNUSED_PAD src0_sel:DWORD src1_sel:BYTE_3
	v_subrev_u32_e32 v40, 32, v40
	v_or_b32_sdwa v41, v41, v44 dst_sel:WORD_1 dst_unused:UNUSED_PAD src0_sel:BYTE_0 src1_sel:DWORD
	v_mov_b32_e32 v44, 0
	v_or_b32_sdwa v41, v46, v41 dst_sel:DWORD dst_unused:UNUSED_PAD src0_sel:WORD_0 src1_sel:DWORD
	v_dot4c_i32_i8_e32 v44, v41, v47
	v_lshlrev_b32_e32 v46, 1, v42
	v_and_b32_e32 v46, 0x4040404, v46
	s_nop 0
	v_mul_lo_u32 v40, v40, v44
	v_cvt_f32_i32_e32 v40, v40
	v_fma_mix_f32 v44, v48, v40, 0 op_sel_hi:[1,0,0]
	v_lshl_add_u64 v[40:41], v[22:23], 0, v[8:9]
	global_load_ubyte v40, v[40:41], off offset:96
	s_waitcnt vmcnt(0)
	v_bfe_u32 v45, v40, v31, 4
	v_lshl_add_u64 v[40:41], v[22:23], 0, v[10:11]
	global_load_ubyte v40, v[40:41], off offset:104
	v_lshrrev_b32_e32 v41, 2, v43
	s_waitcnt vmcnt(0)
	v_lshrrev_b32_e32 v40, v32, v40
	v_lshlrev_b32_e32 v40, 4, v40
	v_and_or_b32 v40, v40, 48, v45
	v_and_b32_e32 v45, 0x3030303, v41
	v_bfe_u32 v41, v41, 24, 2
	v_sub_u16_e32 v47, v45, v46
	v_sub_u16_sdwa v48, v45, v46 dst_sel:BYTE_1 dst_unused:UNUSED_PAD src0_sel:BYTE_1 src1_sel:BYTE_1
	v_sub_u16_sdwa v41, v41, v46 dst_sel:BYTE_1 dst_unused:UNUSED_PAD src0_sel:DWORD src1_sel:BYTE_3
	v_sub_u16_sdwa v45, v45, v46 dst_sel:DWORD dst_unused:UNUSED_PAD src0_sel:WORD_1 src1_sel:WORD_1
	v_or_b32_sdwa v47, v47, v48 dst_sel:DWORD dst_unused:UNUSED_PAD src0_sel:BYTE_0 src1_sel:DWORD
	v_or_b32_sdwa v41, v45, v41 dst_sel:WORD_1 dst_unused:UNUSED_PAD src0_sel:BYTE_0 src1_sel:DWORD
	v_mov_b32_e32 v45, 0
	v_or_b32_sdwa v41, v47, v41 dst_sel:DWORD dst_unused:UNUSED_PAD src0_sel:WORD_0 src1_sel:DWORD
	v_subrev_u32_e32 v40, 32, v40
	v_dot4c_i32_i8_e32 v45, v41, v49
	v_and_b32_e32 v46, 0x4040404, v42
	s_nop 1
	v_mul_lo_u32 v40, v40, v45
	v_cvt_f32_i32_e32 v40, v40
	v_fma_mix_f32 v44, v50, v40, v44 op_sel_hi:[1,0,0]
	v_lshl_add_u64 v[40:41], v[22:23], 0, v[12:13]
	global_load_ubyte v40, v[40:41], off offset:96
	s_waitcnt vmcnt(0)
	v_bfe_u32 v45, v40, v33, 4
	v_lshl_add_u64 v[40:41], v[22:23], 0, v[14:15]
	global_load_ubyte v40, v[40:41], off offset:104
	v_lshrrev_b32_e32 v41, 4, v43
	s_waitcnt vmcnt(0)
	v_lshrrev_b32_e32 v40, v34, v40
	v_lshlrev_b32_e32 v40, 4, v40
	v_and_or_b32 v40, v40, 48, v45
	v_and_b32_e32 v45, 0x3030303, v41
	v_bfe_u32 v41, v41, 24, 2
	v_sub_u16_e32 v47, v45, v46
	v_sub_u16_sdwa v48, v45, v46 dst_sel:BYTE_1 dst_unused:UNUSED_PAD src0_sel:BYTE_1 src1_sel:BYTE_1
	v_sub_u16_sdwa v41, v41, v46 dst_sel:BYTE_1 dst_unused:UNUSED_PAD src0_sel:DWORD src1_sel:BYTE_3
	v_sub_u16_sdwa v45, v45, v46 dst_sel:DWORD dst_unused:UNUSED_PAD src0_sel:WORD_1 src1_sel:WORD_1
	v_or_b32_sdwa v47, v47, v48 dst_sel:DWORD dst_unused:UNUSED_PAD src0_sel:BYTE_0 src1_sel:DWORD
	v_or_b32_sdwa v41, v45, v41 dst_sel:WORD_1 dst_unused:UNUSED_PAD src0_sel:BYTE_0 src1_sel:DWORD
	v_mov_b32_e32 v45, 0
	v_or_b32_sdwa v41, v47, v41 dst_sel:DWORD dst_unused:UNUSED_PAD src0_sel:WORD_0 src1_sel:DWORD
	v_subrev_u32_e32 v40, 32, v40
	v_dot4c_i32_i8_e32 v45, v41, v51
	s_nop 2
	v_mul_lo_u32 v40, v40, v45
	v_cvt_f32_i32_e32 v40, v40
	v_fma_mix_f32 v44, v52, v40, v44 op_sel_hi:[1,0,0]
	v_lshl_add_u64 v[40:41], v[22:23], 0, v[16:17]
	v_lshl_add_u64 v[22:23], v[22:23], 0, v[18:19]
	global_load_ubyte v40, v[40:41], off offset:96
	s_nop 0
	global_load_ubyte v22, v[22:23], off offset:104
	v_lshrrev_b32_e32 v23, 6, v43
	v_lshrrev_b32_e32 v41, 1, v42
	v_and_b32_e32 v23, 0x3030303, v23
	v_and_b32_e32 v41, 0x4040404, v41
	v_sub_u16_e32 v42, v23, v41
	s_waitcnt vmcnt(1)
	v_bfe_u32 v40, v40, v36, 4
	s_waitcnt vmcnt(0)
	v_lshrrev_b32_e32 v22, v37, v22
	v_lshlrev_b32_e32 v22, 4, v22
	v_and_or_b32 v22, v22, 48, v40
	v_lshrrev_b32_e32 v40, 30, v43
	v_sub_u16_sdwa v43, v23, v41 dst_sel:BYTE_1 dst_unused:UNUSED_PAD src0_sel:BYTE_1 src1_sel:BYTE_1
	v_sub_u16_sdwa v40, v40, v41 dst_sel:BYTE_1 dst_unused:UNUSED_PAD src0_sel:DWORD src1_sel:BYTE_3
	v_sub_u16_sdwa v23, v23, v41 dst_sel:DWORD dst_unused:UNUSED_PAD src0_sel:WORD_1 src1_sel:WORD_1
	v_or_b32_sdwa v42, v42, v43 dst_sel:DWORD dst_unused:UNUSED_PAD src0_sel:BYTE_0 src1_sel:DWORD
	v_or_b32_sdwa v23, v23, v40 dst_sel:WORD_1 dst_unused:UNUSED_PAD src0_sel:BYTE_0 src1_sel:DWORD
	v_mov_b32_e32 v40, 0
	v_or_b32_sdwa v23, v42, v23 dst_sel:DWORD dst_unused:UNUSED_PAD src0_sel:WORD_0 src1_sel:DWORD
	v_subrev_u32_e32 v22, 32, v22
	v_dot4c_i32_i8_e32 v40, v23, v53
	s_nop 2
	v_mul_lo_u32 v22, v22, v40
	v_cvt_f32_i32_e32 v22, v22
	v_fma_mix_f32 v22, v54, v22, v44 op_sel_hi:[1,0,0]
	s_nop 0
	v_fma_mix_f32 v35, v22, v39, v35 op_sel_hi:[0,1,0]
	s_andn2_b64 exec, exec, s[0:1]
	s_cbranch_execnz .LBB104_3
; %bb.4:
	s_or_b64 exec, exec, s[0:1]
.LBB104_5:
	s_or_b64 exec, exec, s[12:13]
	v_mbcnt_lo_u32_b32 v0, -1, 0
	v_mbcnt_hi_u32_b32 v1, -1, v0
	v_and_b32_e32 v0, 64, v1
	v_add_u32_e32 v2, 64, v0
	v_xor_b32_e32 v0, 32, v1
	v_cmp_lt_i32_e32 vcc, v0, v2
	v_xor_b32_e32 v3, 16, v1
	v_xor_b32_e32 v4, 8, v1
	v_cndmask_b32_e32 v0, v1, v0, vcc
	v_lshlrev_b32_e32 v0, 2, v0
	ds_bpermute_b32 v0, v0, v35
	v_cmp_lt_i32_e32 vcc, v3, v2
	s_waitcnt lgkmcnt(0)
	v_add_f32_e32 v0, v35, v0
	v_cndmask_b32_e32 v3, v1, v3, vcc
	v_lshlrev_b32_e32 v3, 2, v3
	ds_bpermute_b32 v3, v3, v0
	v_cmp_lt_i32_e32 vcc, v4, v2
	s_waitcnt lgkmcnt(0)
	v_add_f32_e32 v0, v0, v3
	v_cndmask_b32_e32 v3, v1, v4, vcc
	v_lshlrev_b32_e32 v3, 2, v3
	ds_bpermute_b32 v3, v3, v0
	v_xor_b32_e32 v4, 4, v1
	v_cmp_lt_i32_e32 vcc, v4, v2
	s_waitcnt lgkmcnt(0)
	v_add_f32_e32 v0, v0, v3
	v_cndmask_b32_e32 v3, v1, v4, vcc
	v_lshlrev_b32_e32 v3, 2, v3
	ds_bpermute_b32 v3, v3, v0
	v_xor_b32_e32 v4, 2, v1
	;; [unrolled: 7-line block ×3, first 2 shown]
	v_cmp_lt_i32_e32 vcc, v4, v2
	s_waitcnt lgkmcnt(0)
	v_add_f32_e32 v0, v0, v3
	v_cndmask_b32_e32 v1, v1, v4, vcc
	v_lshlrev_b32_e32 v1, 2, v1
	ds_bpermute_b32 v1, v1, v0
	v_cmp_eq_u32_e32 vcc, 0, v25
	s_and_b64 exec, exec, vcc
	s_cbranch_execz .LBB104_7
; %bb.6:
	s_waitcnt lgkmcnt(0)
	v_add_f32_e32 v0, v0, v1
	v_bfe_u32 v1, v0, 16, 1
	s_movk_i32 s0, 0x7fff
	v_add3_u32 v1, v0, v1, s0
	v_lshrrev_b32_e32 v1, 16, v1
	v_mov_b32_e32 v2, 0x7fc0
	v_cmp_o_f32_e32 vcc, v0, v0
	s_mul_i32 s3, s3, s5
	v_add_u32_e32 v0, s3, v24
	v_cndmask_b32_e32 v2, v2, v1, vcc
	v_mov_b32_e32 v1, 0
	v_lshl_add_u64 v[0:1], v[0:1], 1, s[6:7]
	global_store_short v[0:1], v2, off
.LBB104_7:
	s_endpgm
	.section	.rodata,"a",@progbits
	.p2align	6, 0x0
	.amdhsa_kernel _ZL13mul_mat_vec_qIN3c108BFloat16ELi256ELi16E10block_q3_KLi1EXadL_ZL17vec_dot_q3_K_q8_1PKvPK10block_q8_1RKiEEEvS4_S4_PT_iii
		.amdhsa_group_segment_fixed_size 0
		.amdhsa_private_segment_fixed_size 0
		.amdhsa_kernarg_size 296
		.amdhsa_user_sgpr_count 2
		.amdhsa_user_sgpr_dispatch_ptr 0
		.amdhsa_user_sgpr_queue_ptr 0
		.amdhsa_user_sgpr_kernarg_segment_ptr 1
		.amdhsa_user_sgpr_dispatch_id 0
		.amdhsa_user_sgpr_kernarg_preload_length 0
		.amdhsa_user_sgpr_kernarg_preload_offset 0
		.amdhsa_user_sgpr_private_segment_size 0
		.amdhsa_uses_dynamic_stack 0
		.amdhsa_enable_private_segment 0
		.amdhsa_system_sgpr_workgroup_id_x 1
		.amdhsa_system_sgpr_workgroup_id_y 1
		.amdhsa_system_sgpr_workgroup_id_z 0
		.amdhsa_system_sgpr_workgroup_info 0
		.amdhsa_system_vgpr_workitem_id 1
		.amdhsa_next_free_vgpr 56
		.amdhsa_next_free_sgpr 18
		.amdhsa_accum_offset 56
		.amdhsa_reserve_vcc 1
		.amdhsa_float_round_mode_32 0
		.amdhsa_float_round_mode_16_64 0
		.amdhsa_float_denorm_mode_32 3
		.amdhsa_float_denorm_mode_16_64 3
		.amdhsa_dx10_clamp 1
		.amdhsa_ieee_mode 1
		.amdhsa_fp16_overflow 0
		.amdhsa_tg_split 0
		.amdhsa_exception_fp_ieee_invalid_op 0
		.amdhsa_exception_fp_denorm_src 0
		.amdhsa_exception_fp_ieee_div_zero 0
		.amdhsa_exception_fp_ieee_overflow 0
		.amdhsa_exception_fp_ieee_underflow 0
		.amdhsa_exception_fp_ieee_inexact 0
		.amdhsa_exception_int_div_zero 0
	.end_amdhsa_kernel
	.section	.text._ZL13mul_mat_vec_qIN3c108BFloat16ELi256ELi16E10block_q3_KLi1EXadL_ZL17vec_dot_q3_K_q8_1PKvPK10block_q8_1RKiEEEvS4_S4_PT_iii,"axG",@progbits,_ZL13mul_mat_vec_qIN3c108BFloat16ELi256ELi16E10block_q3_KLi1EXadL_ZL17vec_dot_q3_K_q8_1PKvPK10block_q8_1RKiEEEvS4_S4_PT_iii,comdat
.Lfunc_end104:
	.size	_ZL13mul_mat_vec_qIN3c108BFloat16ELi256ELi16E10block_q3_KLi1EXadL_ZL17vec_dot_q3_K_q8_1PKvPK10block_q8_1RKiEEEvS4_S4_PT_iii, .Lfunc_end104-_ZL13mul_mat_vec_qIN3c108BFloat16ELi256ELi16E10block_q3_KLi1EXadL_ZL17vec_dot_q3_K_q8_1PKvPK10block_q8_1RKiEEEvS4_S4_PT_iii
                                        ; -- End function
	.section	.AMDGPU.csdata,"",@progbits
; Kernel info:
; codeLenInByte = 2028
; NumSgprs: 24
; NumVgprs: 56
; NumAgprs: 0
; TotalNumVgprs: 56
; ScratchSize: 0
; MemoryBound: 0
; FloatMode: 240
; IeeeMode: 1
; LDSByteSize: 0 bytes/workgroup (compile time only)
; SGPRBlocks: 2
; VGPRBlocks: 6
; NumSGPRsForWavesPerEU: 24
; NumVGPRsForWavesPerEU: 56
; AccumOffset: 56
; Occupancy: 8
; WaveLimiterHint : 0
; COMPUTE_PGM_RSRC2:SCRATCH_EN: 0
; COMPUTE_PGM_RSRC2:USER_SGPR: 2
; COMPUTE_PGM_RSRC2:TRAP_HANDLER: 0
; COMPUTE_PGM_RSRC2:TGID_X_EN: 1
; COMPUTE_PGM_RSRC2:TGID_Y_EN: 1
; COMPUTE_PGM_RSRC2:TGID_Z_EN: 0
; COMPUTE_PGM_RSRC2:TIDIG_COMP_CNT: 1
; COMPUTE_PGM_RSRC3_GFX90A:ACCUM_OFFSET: 13
; COMPUTE_PGM_RSRC3_GFX90A:TG_SPLIT: 0
	.section	.text._ZL13mul_mat_vec_qIN3c108BFloat16ELi256ELi32E10block_q4_KLi2EXadL_ZL17vec_dot_q4_K_q8_1PKvPK10block_q8_1RKiEEEvS4_S4_PT_iii,"axG",@progbits,_ZL13mul_mat_vec_qIN3c108BFloat16ELi256ELi32E10block_q4_KLi2EXadL_ZL17vec_dot_q4_K_q8_1PKvPK10block_q8_1RKiEEEvS4_S4_PT_iii,comdat
	.globl	_ZL13mul_mat_vec_qIN3c108BFloat16ELi256ELi32E10block_q4_KLi2EXadL_ZL17vec_dot_q4_K_q8_1PKvPK10block_q8_1RKiEEEvS4_S4_PT_iii ; -- Begin function _ZL13mul_mat_vec_qIN3c108BFloat16ELi256ELi32E10block_q4_KLi2EXadL_ZL17vec_dot_q4_K_q8_1PKvPK10block_q8_1RKiEEEvS4_S4_PT_iii
	.p2align	8
	.type	_ZL13mul_mat_vec_qIN3c108BFloat16ELi256ELi32E10block_q4_KLi2EXadL_ZL17vec_dot_q4_K_q8_1PKvPK10block_q8_1RKiEEEvS4_S4_PT_iii,@function
_ZL13mul_mat_vec_qIN3c108BFloat16ELi256ELi32E10block_q4_KLi2EXadL_ZL17vec_dot_q4_K_q8_1PKvPK10block_q8_1RKiEEEvS4_S4_PT_iii: ; @_ZL13mul_mat_vec_qIN3c108BFloat16ELi256ELi32E10block_q4_KLi2EXadL_ZL17vec_dot_q4_K_q8_1PKvPK10block_q8_1RKiEEEvS4_S4_PT_iii
; %bb.0:
	s_load_dword s8, s[0:1], 0x34
	s_load_dwordx4 s[4:7], s[0:1], 0x18
	v_bfe_u32 v1, v0, 10, 10
	s_waitcnt lgkmcnt(0)
	s_lshr_b32 s7, s8, 16
	s_mul_i32 s2, s2, s7
	v_add_u32_e32 v16, s2, v1
	s_cmp_lt_u32 s3, s6
	v_cmp_gt_u32_e32 vcc, s5, v16
	s_cselect_b64 s[6:7], -1, 0
	s_and_b64 s[6:7], s[6:7], vcc
	s_and_saveexec_b64 s[8:9], s[6:7]
	s_cbranch_execz .LBB105_11
; %bb.1:
	s_load_dwordx2 s[6:7], s[0:1], 0x10
	s_ashr_i32 s2, s4, 31
	s_lshr_b32 s2, s2, 24
	s_add_i32 s2, s4, s2
	v_and_b32_e32 v17, 0x3ff, v0
	s_ashr_i32 s2, s2, 8
	v_lshrrev_b32_e32 v18, 4, v17
	v_cmp_gt_u32_e32 vcc, s2, v18
	v_mov_b32_e32 v20, 0
	s_and_saveexec_b64 s[8:9], vcc
	s_cbranch_execz .LBB105_9
; %bb.2:
	s_load_dwordx4 s[12:15], s[0:1], 0x0
	s_add_i32 s0, s4, 0x1ff
	s_ashr_i32 s1, s0, 31
	s_lshr_b32 s1, s1, 23
	s_add_i32 s0, s0, s1
	v_lshlrev_b32_e32 v0, 1, v17
	s_ashr_i32 s0, s0, 9
	v_and_b32_e32 v4, 30, v0
	v_bfe_u32 v8, v0, 3, 2
	s_mul_i32 s4, s3, s0
	v_mov_b32_e32 v1, 0
	v_and_b32_e32 v10, 3, v17
	v_cmp_lt_u32_e32 vcc, 15, v4
	v_lshlrev_b32_e32 v4, 1, v8
	v_lshlrev_b32_e32 v6, 3, v18
	v_mul_lo_u32 v19, v16, s2
	v_lshlrev_b32_e32 v0, 5, v8
	v_lshlrev_b32_e32 v2, 2, v10
	v_mov_b32_e32 v3, v1
	s_waitcnt lgkmcnt(0)
	v_mad_u64_u32 v[4:5], s[0:1], v4, 36, s[14:15]
	v_lshl_add_u32 v21, s4, 4, v6
	s_mov_b64 s[10:11], 0
	s_movk_i32 s4, 0x90
	v_mov_b64_e32 v[6:7], s[12:13]
	v_lshlrev_b32_e32 v8, 1, v8
	v_mov_b32_e32 v9, v1
	s_mov_b32 s12, 0x5040100
	s_mov_b32 s13, 0x30303030
	v_lshlrev_b32_e32 v10, 2, v10
	v_mov_b32_e32 v11, v1
	v_mov_b32_e32 v20, v1
	s_branch .LBB105_4
.LBB105_3:                              ;   in Loop: Header=BB105_4 Depth=1
	s_or_b64 exec, exec, s[0:1]
	v_mad_i64_i32 v[14:15], s[0:1], v21, 36, v[4:5]
	global_load_dword v25, v[14:15], off
	v_lshl_add_u64 v[26:27], v[14:15], 0, v[10:11]
	global_load_dword v28, v[12:13], off
	global_load_dword v29, v[26:27], off offset:20
	global_load_dword v30, v[26:27], off offset:40
	;; [unrolled: 1-line block ×5, first 2 shown]
	s_waitcnt vmcnt(8)
	v_and_b32_e32 v15, 0xf0f0f0f, v23
	v_mov_b32_e32 v27, 0
	v_mov_b32_e32 v34, 0
	v_lshrrev_b32_e32 v14, 4, v23
	v_pk_lshrrev_b16 v12, 8, v24 op_sel_hi:[0,1]
	s_waitcnt vmcnt(7)
	v_and_b32_e32 v26, 0xf0f0f0f, v22
	v_and_b32_e32 v13, 0xff00ff, v24
	v_lshrrev_b32_e32 v22, 4, v22
	v_mov_b32_e32 v23, 0
	v_mov_b32_e32 v24, 0
	v_and_b32_e32 v35, 0xf0f0f0f, v14
	v_and_b32_e32 v36, 0xf0f0f0f, v22
	v_lshrrev_b32_e32 v38, 16, v13
	v_and_b32_e32 v39, 0xff, v13
	v_lshrrev_b32_e32 v37, 16, v12
	v_and_b32_e32 v12, 0xff, v12
	v_add_u32_e32 v18, 4, v18
	v_cmp_le_u32_e64 s[0:1], s2, v18
	s_or_b64 s[10:11], s[0:1], s[10:11]
	v_add_u32_e32 v21, 32, v21
	s_waitcnt vmcnt(5)
	v_cvt_f32_f16_sdwa v13, v28 dst_sel:DWORD dst_unused:UNUSED_PAD src0_sel:WORD_1
	s_waitcnt vmcnt(3)
	v_dot4c_i32_i8_e32 v23, v35, v30
	v_dot4c_i32_i8_e32 v24, 0x1010101, v30
	v_cvt_f32_f16_e32 v14, v25
	s_waitcnt vmcnt(0)
	v_dot4c_i32_i8_e32 v27, v15, v33
	v_dot4c_i32_i8_e32 v34, 0x1010101, v33
	;; [unrolled: 1-line block ×6, first 2 shown]
	v_mul_lo_u32 v15, v27, v39
	v_mul_lo_u32 v25, v34, v38
	;; [unrolled: 1-line block ×4, first 2 shown]
	v_cvt_f32_i32_e32 v25, v25
	v_cvt_f32_i32_e32 v24, v15
	v_cvt_f32_f16_e32 v22, v32
	v_cvt_f32_i32_e32 v27, v23
	v_cvt_f32_i32_e32 v26, v12
	v_cvt_f32_f16_e32 v12, v28
	v_pk_fma_f32 v[14:15], v[14:15], v[24:25], 0 op_sel_hi:[0,1,0]
	v_pk_fma_f32 v[14:15], v[22:23], v[26:27], v[14:15] op_sel_hi:[0,1,1]
	v_pk_mul_f32 v[12:13], v[14:15], v[12:13]
	s_nop 0
	v_sub_f32_e32 v12, v12, v13
	v_add_f32_e32 v20, v20, v12
	s_andn2_b64 exec, exec, s[10:11]
	s_cbranch_execz .LBB105_8
.LBB105_4:                              ; =>This Inner Loop Header: Depth=1
	v_add_u32_e32 v12, v19, v18
	v_mad_i64_i32 v[12:13], s[0:1], v12, s4, v[6:7]
	v_lshl_add_u64 v[14:15], v[12:13], 0, v[0:1]
	v_lshl_add_u64 v[14:15], v[14:15], 0, v[2:3]
	global_load_dword v23, v[14:15], off offset:16
	global_load_dword v22, v[14:15], off offset:32
	v_lshl_add_u64 v[14:15], v[12:13], 0, v[8:9]
                                        ; implicit-def: $vgpr24
	s_and_saveexec_b64 s[0:1], vcc
	s_xor_b64 s[0:1], exec, s[0:1]
	s_cbranch_execz .LBB105_6
; %bb.5:                                ;   in Loop: Header=BB105_4 Depth=1
	global_load_ushort v24, v[14:15], off
	global_load_ushort v25, v[14:15], off offset:8
	global_load_ushort v26, v[14:15], off offset:4
	s_waitcnt vmcnt(1)
	v_lshrrev_b16_e32 v14, 4, v25
	s_waitcnt vmcnt(0)
	v_perm_b32 v15, v26, v24, s12
	v_perm_b32 v14, v14, v25, s12
	v_and_b32_e32 v14, 0xf0f0f0f, v14
	v_pk_lshrrev_b16 v15, 2, v15 op_sel_hi:[0,1]
	v_and_or_b32 v24, v15, s13, v14
                                        ; implicit-def: $vgpr14_vgpr15
.LBB105_6:                              ;   in Loop: Header=BB105_4 Depth=1
	s_andn2_saveexec_b64 s[0:1], s[0:1]
	s_cbranch_execz .LBB105_3
; %bb.7:                                ;   in Loop: Header=BB105_4 Depth=1
	global_load_ushort v24, v[14:15], off offset:4
	global_load_ushort v25, v[14:15], off offset:8
	s_waitcnt vmcnt(0)
	v_perm_b32 v14, v25, v24, s12
	v_and_b32_e32 v24, 0x3f3f3f3f, v14
	s_branch .LBB105_3
.LBB105_8:
	s_or_b64 exec, exec, s[10:11]
.LBB105_9:
	s_or_b64 exec, exec, s[8:9]
	v_mbcnt_lo_u32_b32 v0, -1, 0
	v_mbcnt_hi_u32_b32 v1, -1, v0
	v_and_b32_e32 v0, 64, v1
	v_add_u32_e32 v2, 64, v0
	v_xor_b32_e32 v0, 32, v1
	v_cmp_lt_i32_e32 vcc, v0, v2
	v_xor_b32_e32 v3, 16, v1
	v_xor_b32_e32 v4, 8, v1
	v_cndmask_b32_e32 v0, v1, v0, vcc
	v_lshlrev_b32_e32 v0, 2, v0
	ds_bpermute_b32 v0, v0, v20
	v_cmp_lt_i32_e32 vcc, v3, v2
	s_waitcnt lgkmcnt(0)
	v_add_f32_e32 v0, v20, v0
	v_cndmask_b32_e32 v3, v1, v3, vcc
	v_lshlrev_b32_e32 v3, 2, v3
	ds_bpermute_b32 v3, v3, v0
	v_cmp_lt_i32_e32 vcc, v4, v2
	s_waitcnt lgkmcnt(0)
	v_add_f32_e32 v0, v0, v3
	v_cndmask_b32_e32 v3, v1, v4, vcc
	v_lshlrev_b32_e32 v3, 2, v3
	ds_bpermute_b32 v3, v3, v0
	v_xor_b32_e32 v4, 4, v1
	v_cmp_lt_i32_e32 vcc, v4, v2
	s_waitcnt lgkmcnt(0)
	v_add_f32_e32 v0, v0, v3
	v_cndmask_b32_e32 v3, v1, v4, vcc
	v_lshlrev_b32_e32 v3, 2, v3
	ds_bpermute_b32 v3, v3, v0
	v_xor_b32_e32 v4, 2, v1
	;; [unrolled: 7-line block ×3, first 2 shown]
	v_cmp_lt_i32_e32 vcc, v4, v2
	s_waitcnt lgkmcnt(0)
	v_add_f32_e32 v0, v0, v3
	v_cndmask_b32_e32 v1, v1, v4, vcc
	v_lshlrev_b32_e32 v1, 2, v1
	ds_bpermute_b32 v1, v1, v0
	v_cmp_eq_u32_e32 vcc, 0, v17
	s_and_b64 exec, exec, vcc
	s_cbranch_execz .LBB105_11
; %bb.10:
	s_waitcnt lgkmcnt(0)
	v_add_f32_e32 v0, v0, v1
	v_bfe_u32 v1, v0, 16, 1
	s_movk_i32 s0, 0x7fff
	v_add3_u32 v1, v0, v1, s0
	v_lshrrev_b32_e32 v1, 16, v1
	v_mov_b32_e32 v2, 0x7fc0
	v_cmp_o_f32_e32 vcc, v0, v0
	s_mul_i32 s3, s3, s5
	v_add_u32_e32 v0, s3, v16
	v_cndmask_b32_e32 v2, v2, v1, vcc
	v_mov_b32_e32 v1, 0
	v_lshl_add_u64 v[0:1], v[0:1], 1, s[6:7]
	global_store_short v[0:1], v2, off
.LBB105_11:
	s_endpgm
	.section	.rodata,"a",@progbits
	.p2align	6, 0x0
	.amdhsa_kernel _ZL13mul_mat_vec_qIN3c108BFloat16ELi256ELi32E10block_q4_KLi2EXadL_ZL17vec_dot_q4_K_q8_1PKvPK10block_q8_1RKiEEEvS4_S4_PT_iii
		.amdhsa_group_segment_fixed_size 0
		.amdhsa_private_segment_fixed_size 0
		.amdhsa_kernarg_size 296
		.amdhsa_user_sgpr_count 2
		.amdhsa_user_sgpr_dispatch_ptr 0
		.amdhsa_user_sgpr_queue_ptr 0
		.amdhsa_user_sgpr_kernarg_segment_ptr 1
		.amdhsa_user_sgpr_dispatch_id 0
		.amdhsa_user_sgpr_kernarg_preload_length 0
		.amdhsa_user_sgpr_kernarg_preload_offset 0
		.amdhsa_user_sgpr_private_segment_size 0
		.amdhsa_uses_dynamic_stack 0
		.amdhsa_enable_private_segment 0
		.amdhsa_system_sgpr_workgroup_id_x 1
		.amdhsa_system_sgpr_workgroup_id_y 1
		.amdhsa_system_sgpr_workgroup_id_z 0
		.amdhsa_system_sgpr_workgroup_info 0
		.amdhsa_system_vgpr_workitem_id 1
		.amdhsa_next_free_vgpr 40
		.amdhsa_next_free_sgpr 16
		.amdhsa_accum_offset 40
		.amdhsa_reserve_vcc 1
		.amdhsa_float_round_mode_32 0
		.amdhsa_float_round_mode_16_64 0
		.amdhsa_float_denorm_mode_32 3
		.amdhsa_float_denorm_mode_16_64 3
		.amdhsa_dx10_clamp 1
		.amdhsa_ieee_mode 1
		.amdhsa_fp16_overflow 0
		.amdhsa_tg_split 0
		.amdhsa_exception_fp_ieee_invalid_op 0
		.amdhsa_exception_fp_denorm_src 0
		.amdhsa_exception_fp_ieee_div_zero 0
		.amdhsa_exception_fp_ieee_overflow 0
		.amdhsa_exception_fp_ieee_underflow 0
		.amdhsa_exception_fp_ieee_inexact 0
		.amdhsa_exception_int_div_zero 0
	.end_amdhsa_kernel
	.section	.text._ZL13mul_mat_vec_qIN3c108BFloat16ELi256ELi32E10block_q4_KLi2EXadL_ZL17vec_dot_q4_K_q8_1PKvPK10block_q8_1RKiEEEvS4_S4_PT_iii,"axG",@progbits,_ZL13mul_mat_vec_qIN3c108BFloat16ELi256ELi32E10block_q4_KLi2EXadL_ZL17vec_dot_q4_K_q8_1PKvPK10block_q8_1RKiEEEvS4_S4_PT_iii,comdat
.Lfunc_end105:
	.size	_ZL13mul_mat_vec_qIN3c108BFloat16ELi256ELi32E10block_q4_KLi2EXadL_ZL17vec_dot_q4_K_q8_1PKvPK10block_q8_1RKiEEEvS4_S4_PT_iii, .Lfunc_end105-_ZL13mul_mat_vec_qIN3c108BFloat16ELi256ELi32E10block_q4_KLi2EXadL_ZL17vec_dot_q4_K_q8_1PKvPK10block_q8_1RKiEEEvS4_S4_PT_iii
                                        ; -- End function
	.section	.AMDGPU.csdata,"",@progbits
; Kernel info:
; codeLenInByte = 1148
; NumSgprs: 22
; NumVgprs: 40
; NumAgprs: 0
; TotalNumVgprs: 40
; ScratchSize: 0
; MemoryBound: 0
; FloatMode: 240
; IeeeMode: 1
; LDSByteSize: 0 bytes/workgroup (compile time only)
; SGPRBlocks: 2
; VGPRBlocks: 4
; NumSGPRsForWavesPerEU: 22
; NumVGPRsForWavesPerEU: 40
; AccumOffset: 40
; Occupancy: 8
; WaveLimiterHint : 0
; COMPUTE_PGM_RSRC2:SCRATCH_EN: 0
; COMPUTE_PGM_RSRC2:USER_SGPR: 2
; COMPUTE_PGM_RSRC2:TRAP_HANDLER: 0
; COMPUTE_PGM_RSRC2:TGID_X_EN: 1
; COMPUTE_PGM_RSRC2:TGID_Y_EN: 1
; COMPUTE_PGM_RSRC2:TGID_Z_EN: 0
; COMPUTE_PGM_RSRC2:TIDIG_COMP_CNT: 1
; COMPUTE_PGM_RSRC3_GFX90A:ACCUM_OFFSET: 9
; COMPUTE_PGM_RSRC3_GFX90A:TG_SPLIT: 0
	.section	.text._ZL13mul_mat_vec_qIN3c108BFloat16ELi256ELi32E10block_q5_KLi2EXadL_ZL17vec_dot_q5_K_q8_1PKvPK10block_q8_1RKiEEEvS4_S4_PT_iii,"axG",@progbits,_ZL13mul_mat_vec_qIN3c108BFloat16ELi256ELi32E10block_q5_KLi2EXadL_ZL17vec_dot_q5_K_q8_1PKvPK10block_q8_1RKiEEEvS4_S4_PT_iii,comdat
	.globl	_ZL13mul_mat_vec_qIN3c108BFloat16ELi256ELi32E10block_q5_KLi2EXadL_ZL17vec_dot_q5_K_q8_1PKvPK10block_q8_1RKiEEEvS4_S4_PT_iii ; -- Begin function _ZL13mul_mat_vec_qIN3c108BFloat16ELi256ELi32E10block_q5_KLi2EXadL_ZL17vec_dot_q5_K_q8_1PKvPK10block_q8_1RKiEEEvS4_S4_PT_iii
	.p2align	8
	.type	_ZL13mul_mat_vec_qIN3c108BFloat16ELi256ELi32E10block_q5_KLi2EXadL_ZL17vec_dot_q5_K_q8_1PKvPK10block_q8_1RKiEEEvS4_S4_PT_iii,@function
_ZL13mul_mat_vec_qIN3c108BFloat16ELi256ELi32E10block_q5_KLi2EXadL_ZL17vec_dot_q5_K_q8_1PKvPK10block_q8_1RKiEEEvS4_S4_PT_iii: ; @_ZL13mul_mat_vec_qIN3c108BFloat16ELi256ELi32E10block_q5_KLi2EXadL_ZL17vec_dot_q5_K_q8_1PKvPK10block_q8_1RKiEEEvS4_S4_PT_iii
; %bb.0:
	s_load_dword s8, s[0:1], 0x34
	s_load_dwordx4 s[4:7], s[0:1], 0x18
	v_bfe_u32 v1, v0, 10, 10
	s_waitcnt lgkmcnt(0)
	s_lshr_b32 s7, s8, 16
	s_mul_i32 s2, s2, s7
	v_add_u32_e32 v16, s2, v1
	s_cmp_lt_u32 s3, s6
	v_cmp_gt_u32_e32 vcc, s5, v16
	s_cselect_b64 s[6:7], -1, 0
	s_and_b64 s[6:7], s[6:7], vcc
	s_and_saveexec_b64 s[8:9], s[6:7]
	s_cbranch_execz .LBB106_11
; %bb.1:
	s_load_dwordx2 s[6:7], s[0:1], 0x10
	s_ashr_i32 s2, s4, 31
	s_lshr_b32 s2, s2, 24
	s_add_i32 s2, s4, s2
	v_and_b32_e32 v17, 0x3ff, v0
	s_ashr_i32 s2, s2, 8
	v_lshrrev_b32_e32 v18, 4, v17
	v_cmp_gt_u32_e32 vcc, s2, v18
	v_mov_b32_e32 v20, 0
	s_and_saveexec_b64 s[8:9], vcc
	s_cbranch_execz .LBB106_9
; %bb.2:
	s_load_dwordx4 s[12:15], s[0:1], 0x0
	s_add_i32 s0, s4, 0x1ff
	s_ashr_i32 s1, s0, 31
	s_lshr_b32 s1, s1, 23
	s_add_i32 s0, s0, s1
	v_lshlrev_b32_e32 v0, 1, v17
	s_ashr_i32 s0, s0, 9
	v_bfe_u32 v8, v0, 3, 2
	s_mul_i32 s4, s3, s0
	v_and_b32_e32 v4, 30, v0
	v_mov_b32_e32 v1, 0
	v_and_b32_e32 v10, 3, v17
	v_lshlrev_b32_e32 v21, 1, v8
	v_lshlrev_b32_e32 v6, 3, v18
	v_mul_lo_u32 v19, v16, s2
	v_lshlrev_b32_e32 v0, 5, v8
	v_lshlrev_b32_e32 v2, 2, v10
	v_mov_b32_e32 v3, v1
	v_cmp_lt_u32_e32 vcc, 15, v4
	s_waitcnt lgkmcnt(0)
	v_mad_u64_u32 v[4:5], s[0:1], v21, 36, s[14:15]
	v_lshl_add_u32 v22, s4, 4, v6
	s_mov_b64 s[10:11], 0
	s_movk_i32 s4, 0xb0
	v_mov_b64_e32 v[6:7], s[12:13]
	v_lshlrev_b32_e32 v8, 1, v8
	v_mov_b32_e32 v9, v1
	s_mov_b32 s12, 0x5040100
	s_mov_b32 s13, 0x30303030
	v_lshlrev_b32_e32 v10, 2, v10
	v_mov_b32_e32 v11, v1
	s_mov_b32 s14, 0x10101010
	v_mov_b32_e32 v20, v1
	s_branch .LBB106_4
.LBB106_3:                              ;   in Loop: Header=BB106_4 Depth=1
	s_or_b64 exec, exec, s[0:1]
	v_mad_i64_i32 v[14:15], s[0:1], v22, 36, v[4:5]
	global_load_dword v30, v[14:15], off
	v_lshl_add_u64 v[28:29], v[14:15], 0, v[10:11]
	global_load_dword v31, v[12:13], off
	global_load_dword v32, v[28:29], off offset:20
	global_load_dword v33, v[28:29], off offset:40
	;; [unrolled: 1-line block ×5, first 2 shown]
	s_waitcnt vmcnt(7)
	v_ashrrev_i32_e32 v13, v21, v26
	v_ashrrev_i32_e32 v14, v21, v25
	v_and_b32_e32 v25, 0xf0f0f0f, v23
	v_lshrrev_b32_e32 v23, 4, v23
	v_lshlrev_b32_e32 v39, 4, v13
	v_and_b32_e32 v15, 0xf0f0f0f, v24
	v_mov_b32_e32 v26, 0
	v_mov_b32_e32 v28, 0
	v_lshrrev_b32_e32 v24, 4, v24
	v_lshlrev_b32_e32 v38, 4, v14
	v_and_b32_e32 v23, 0xf0f0f0f, v23
	v_lshlrev_b32_e32 v13, 3, v13
	v_and_or_b32 v25, v39, s14, v25
	v_pk_lshrrev_b16 v12, 8, v27 op_sel_hi:[0,1]
	v_and_b32_e32 v27, 0xff00ff, v27
	v_mov_b32_e32 v29, 0
	v_mov_b32_e32 v37, 0
	v_and_b32_e32 v24, 0xf0f0f0f, v24
	v_lshlrev_b32_e32 v14, 3, v14
	v_and_or_b32 v15, v38, s14, v15
	v_and_or_b32 v23, v13, s14, v23
	v_lshrrev_b32_e32 v41, 16, v27
	v_and_b32_e32 v27, 0xff, v27
	v_and_or_b32 v38, v14, s14, v24
	v_lshrrev_b32_e32 v40, 16, v12
	v_and_b32_e32 v12, 0xff, v12
	v_add_u32_e32 v18, 4, v18
	v_cmp_le_u32_e64 s[0:1], s2, v18
	s_or_b64 s[10:11], s[0:1], s[10:11]
	v_add_u32_e32 v22, 32, v22
	s_waitcnt vmcnt(5)
	v_cvt_f32_f16_sdwa v13, v31 dst_sel:DWORD dst_unused:UNUSED_PAD src0_sel:WORD_1
	s_waitcnt vmcnt(4)
	v_dot4c_i32_i8_e32 v26, v25, v32
	v_dot4c_i32_i8_e32 v28, 0x1010101, v32
	s_waitcnt vmcnt(2)
	v_dot4c_i32_i8_e32 v29, v23, v34
	v_dot4c_i32_i8_e32 v37, 0x1010101, v34
	;; [unrolled: 3-line block ×3, first 2 shown]
	v_dot4c_i32_i8_e32 v29, v38, v33
	v_dot4c_i32_i8_e32 v37, 0x1010101, v33
	v_mul_lo_u32 v15, v26, v27
	v_mul_lo_u32 v23, v28, v41
	v_cvt_f32_f16_e32 v14, v30
	v_mul_lo_u32 v12, v29, v12
	v_mul_lo_u32 v25, v37, v40
	v_cvt_f32_i32_e32 v27, v23
	v_cvt_f32_i32_e32 v26, v15
	v_cvt_f32_f16_e32 v24, v35
	v_cvt_f32_i32_e32 v29, v25
	v_cvt_f32_i32_e32 v28, v12
	v_cvt_f32_f16_e32 v12, v31
	v_pk_fma_f32 v[14:15], v[14:15], v[26:27], 0 op_sel_hi:[0,1,0]
	v_pk_fma_f32 v[14:15], v[24:25], v[28:29], v[14:15] op_sel_hi:[0,1,1]
	v_pk_mul_f32 v[12:13], v[14:15], v[12:13]
	s_nop 0
	v_sub_f32_e32 v12, v12, v13
	v_add_f32_e32 v20, v20, v12
	s_andn2_b64 exec, exec, s[10:11]
	s_cbranch_execz .LBB106_8
.LBB106_4:                              ; =>This Inner Loop Header: Depth=1
	v_add_u32_e32 v12, v19, v18
	v_mad_i64_i32 v[12:13], s[0:1], v12, s4, v[6:7]
	v_lshl_add_u64 v[14:15], v[12:13], 0, v[2:3]
	v_lshl_add_u64 v[28:29], v[14:15], 0, v[0:1]
	global_load_dword v23, v[28:29], off offset:64
	global_load_dword v25, v[14:15], off offset:16
	global_load_dword v24, v[28:29], off offset:48
	global_load_dword v26, v[14:15], off offset:32
	v_lshl_add_u64 v[14:15], v[12:13], 0, v[8:9]
                                        ; implicit-def: $vgpr27
	s_and_saveexec_b64 s[0:1], vcc
	s_xor_b64 s[0:1], exec, s[0:1]
	s_cbranch_execz .LBB106_6
; %bb.5:                                ;   in Loop: Header=BB106_4 Depth=1
	global_load_ushort v27, v[14:15], off
	global_load_ushort v28, v[14:15], off offset:8
	global_load_ushort v29, v[14:15], off offset:4
	s_waitcnt vmcnt(1)
	v_lshrrev_b16_e32 v14, 4, v28
	s_waitcnt vmcnt(0)
	v_perm_b32 v15, v29, v27, s12
	v_perm_b32 v14, v14, v28, s12
	v_and_b32_e32 v14, 0xf0f0f0f, v14
	v_pk_lshrrev_b16 v15, 2, v15 op_sel_hi:[0,1]
	v_and_or_b32 v27, v15, s13, v14
                                        ; implicit-def: $vgpr14_vgpr15
.LBB106_6:                              ;   in Loop: Header=BB106_4 Depth=1
	s_andn2_saveexec_b64 s[0:1], s[0:1]
	s_cbranch_execz .LBB106_3
; %bb.7:                                ;   in Loop: Header=BB106_4 Depth=1
	global_load_ushort v27, v[14:15], off offset:4
	global_load_ushort v28, v[14:15], off offset:8
	s_waitcnt vmcnt(0)
	v_perm_b32 v14, v28, v27, s12
	v_and_b32_e32 v27, 0x3f3f3f3f, v14
	s_branch .LBB106_3
.LBB106_8:
	s_or_b64 exec, exec, s[10:11]
.LBB106_9:
	s_or_b64 exec, exec, s[8:9]
	v_mbcnt_lo_u32_b32 v0, -1, 0
	v_mbcnt_hi_u32_b32 v1, -1, v0
	v_and_b32_e32 v0, 64, v1
	v_add_u32_e32 v2, 64, v0
	v_xor_b32_e32 v0, 32, v1
	v_cmp_lt_i32_e32 vcc, v0, v2
	v_xor_b32_e32 v3, 16, v1
	v_xor_b32_e32 v4, 8, v1
	v_cndmask_b32_e32 v0, v1, v0, vcc
	v_lshlrev_b32_e32 v0, 2, v0
	ds_bpermute_b32 v0, v0, v20
	v_cmp_lt_i32_e32 vcc, v3, v2
	s_waitcnt lgkmcnt(0)
	v_add_f32_e32 v0, v20, v0
	v_cndmask_b32_e32 v3, v1, v3, vcc
	v_lshlrev_b32_e32 v3, 2, v3
	ds_bpermute_b32 v3, v3, v0
	v_cmp_lt_i32_e32 vcc, v4, v2
	s_waitcnt lgkmcnt(0)
	v_add_f32_e32 v0, v0, v3
	v_cndmask_b32_e32 v3, v1, v4, vcc
	v_lshlrev_b32_e32 v3, 2, v3
	ds_bpermute_b32 v3, v3, v0
	v_xor_b32_e32 v4, 4, v1
	v_cmp_lt_i32_e32 vcc, v4, v2
	s_waitcnt lgkmcnt(0)
	v_add_f32_e32 v0, v0, v3
	v_cndmask_b32_e32 v3, v1, v4, vcc
	v_lshlrev_b32_e32 v3, 2, v3
	ds_bpermute_b32 v3, v3, v0
	v_xor_b32_e32 v4, 2, v1
	;; [unrolled: 7-line block ×3, first 2 shown]
	v_cmp_lt_i32_e32 vcc, v4, v2
	s_waitcnt lgkmcnt(0)
	v_add_f32_e32 v0, v0, v3
	v_cndmask_b32_e32 v1, v1, v4, vcc
	v_lshlrev_b32_e32 v1, 2, v1
	ds_bpermute_b32 v1, v1, v0
	v_cmp_eq_u32_e32 vcc, 0, v17
	s_and_b64 exec, exec, vcc
	s_cbranch_execz .LBB106_11
; %bb.10:
	s_waitcnt lgkmcnt(0)
	v_add_f32_e32 v0, v0, v1
	v_bfe_u32 v1, v0, 16, 1
	s_movk_i32 s0, 0x7fff
	v_add3_u32 v1, v0, v1, s0
	v_lshrrev_b32_e32 v1, 16, v1
	v_mov_b32_e32 v2, 0x7fc0
	v_cmp_o_f32_e32 vcc, v0, v0
	s_mul_i32 s3, s3, s5
	v_add_u32_e32 v0, s3, v16
	v_cndmask_b32_e32 v2, v2, v1, vcc
	v_mov_b32_e32 v1, 0
	v_lshl_add_u64 v[0:1], v[0:1], 1, s[6:7]
	global_store_short v[0:1], v2, off
.LBB106_11:
	s_endpgm
	.section	.rodata,"a",@progbits
	.p2align	6, 0x0
	.amdhsa_kernel _ZL13mul_mat_vec_qIN3c108BFloat16ELi256ELi32E10block_q5_KLi2EXadL_ZL17vec_dot_q5_K_q8_1PKvPK10block_q8_1RKiEEEvS4_S4_PT_iii
		.amdhsa_group_segment_fixed_size 0
		.amdhsa_private_segment_fixed_size 0
		.amdhsa_kernarg_size 296
		.amdhsa_user_sgpr_count 2
		.amdhsa_user_sgpr_dispatch_ptr 0
		.amdhsa_user_sgpr_queue_ptr 0
		.amdhsa_user_sgpr_kernarg_segment_ptr 1
		.amdhsa_user_sgpr_dispatch_id 0
		.amdhsa_user_sgpr_kernarg_preload_length 0
		.amdhsa_user_sgpr_kernarg_preload_offset 0
		.amdhsa_user_sgpr_private_segment_size 0
		.amdhsa_uses_dynamic_stack 0
		.amdhsa_enable_private_segment 0
		.amdhsa_system_sgpr_workgroup_id_x 1
		.amdhsa_system_sgpr_workgroup_id_y 1
		.amdhsa_system_sgpr_workgroup_id_z 0
		.amdhsa_system_sgpr_workgroup_info 0
		.amdhsa_system_vgpr_workitem_id 1
		.amdhsa_next_free_vgpr 42
		.amdhsa_next_free_sgpr 16
		.amdhsa_accum_offset 44
		.amdhsa_reserve_vcc 1
		.amdhsa_float_round_mode_32 0
		.amdhsa_float_round_mode_16_64 0
		.amdhsa_float_denorm_mode_32 3
		.amdhsa_float_denorm_mode_16_64 3
		.amdhsa_dx10_clamp 1
		.amdhsa_ieee_mode 1
		.amdhsa_fp16_overflow 0
		.amdhsa_tg_split 0
		.amdhsa_exception_fp_ieee_invalid_op 0
		.amdhsa_exception_fp_denorm_src 0
		.amdhsa_exception_fp_ieee_div_zero 0
		.amdhsa_exception_fp_ieee_overflow 0
		.amdhsa_exception_fp_ieee_underflow 0
		.amdhsa_exception_fp_ieee_inexact 0
		.amdhsa_exception_int_div_zero 0
	.end_amdhsa_kernel
	.section	.text._ZL13mul_mat_vec_qIN3c108BFloat16ELi256ELi32E10block_q5_KLi2EXadL_ZL17vec_dot_q5_K_q8_1PKvPK10block_q8_1RKiEEEvS4_S4_PT_iii,"axG",@progbits,_ZL13mul_mat_vec_qIN3c108BFloat16ELi256ELi32E10block_q5_KLi2EXadL_ZL17vec_dot_q5_K_q8_1PKvPK10block_q8_1RKiEEEvS4_S4_PT_iii,comdat
.Lfunc_end106:
	.size	_ZL13mul_mat_vec_qIN3c108BFloat16ELi256ELi32E10block_q5_KLi2EXadL_ZL17vec_dot_q5_K_q8_1PKvPK10block_q8_1RKiEEEvS4_S4_PT_iii, .Lfunc_end106-_ZL13mul_mat_vec_qIN3c108BFloat16ELi256ELi32E10block_q5_KLi2EXadL_ZL17vec_dot_q5_K_q8_1PKvPK10block_q8_1RKiEEEvS4_S4_PT_iii
                                        ; -- End function
	.section	.AMDGPU.csdata,"",@progbits
; Kernel info:
; codeLenInByte = 1228
; NumSgprs: 22
; NumVgprs: 42
; NumAgprs: 0
; TotalNumVgprs: 42
; ScratchSize: 0
; MemoryBound: 0
; FloatMode: 240
; IeeeMode: 1
; LDSByteSize: 0 bytes/workgroup (compile time only)
; SGPRBlocks: 2
; VGPRBlocks: 5
; NumSGPRsForWavesPerEU: 22
; NumVGPRsForWavesPerEU: 42
; AccumOffset: 44
; Occupancy: 8
; WaveLimiterHint : 0
; COMPUTE_PGM_RSRC2:SCRATCH_EN: 0
; COMPUTE_PGM_RSRC2:USER_SGPR: 2
; COMPUTE_PGM_RSRC2:TRAP_HANDLER: 0
; COMPUTE_PGM_RSRC2:TGID_X_EN: 1
; COMPUTE_PGM_RSRC2:TGID_Y_EN: 1
; COMPUTE_PGM_RSRC2:TGID_Z_EN: 0
; COMPUTE_PGM_RSRC2:TIDIG_COMP_CNT: 1
; COMPUTE_PGM_RSRC3_GFX90A:ACCUM_OFFSET: 10
; COMPUTE_PGM_RSRC3_GFX90A:TG_SPLIT: 0
	.section	.text._ZL13mul_mat_vec_qIN3c108BFloat16ELi256ELi32E10block_q6_KLi1EXadL_ZL17vec_dot_q6_K_q8_1PKvPK10block_q8_1RKiEEEvS4_S4_PT_iii,"axG",@progbits,_ZL13mul_mat_vec_qIN3c108BFloat16ELi256ELi32E10block_q6_KLi1EXadL_ZL17vec_dot_q6_K_q8_1PKvPK10block_q8_1RKiEEEvS4_S4_PT_iii,comdat
	.globl	_ZL13mul_mat_vec_qIN3c108BFloat16ELi256ELi32E10block_q6_KLi1EXadL_ZL17vec_dot_q6_K_q8_1PKvPK10block_q8_1RKiEEEvS4_S4_PT_iii ; -- Begin function _ZL13mul_mat_vec_qIN3c108BFloat16ELi256ELi32E10block_q6_KLi1EXadL_ZL17vec_dot_q6_K_q8_1PKvPK10block_q8_1RKiEEEvS4_S4_PT_iii
	.p2align	8
	.type	_ZL13mul_mat_vec_qIN3c108BFloat16ELi256ELi32E10block_q6_KLi1EXadL_ZL17vec_dot_q6_K_q8_1PKvPK10block_q8_1RKiEEEvS4_S4_PT_iii,@function
_ZL13mul_mat_vec_qIN3c108BFloat16ELi256ELi32E10block_q6_KLi1EXadL_ZL17vec_dot_q6_K_q8_1PKvPK10block_q8_1RKiEEEvS4_S4_PT_iii: ; @_ZL13mul_mat_vec_qIN3c108BFloat16ELi256ELi32E10block_q6_KLi1EXadL_ZL17vec_dot_q6_K_q8_1PKvPK10block_q8_1RKiEEEvS4_S4_PT_iii
; %bb.0:
	s_load_dword s8, s[0:1], 0x34
	s_load_dwordx4 s[4:7], s[0:1], 0x18
	v_bfe_u32 v1, v0, 10, 10
	s_waitcnt lgkmcnt(0)
	s_lshr_b32 s7, s8, 16
	s_mul_i32 s2, s2, s7
	v_add_u32_e32 v12, s2, v1
	s_cmp_lt_u32 s3, s6
	v_cmp_gt_u32_e32 vcc, s5, v12
	s_cselect_b64 s[6:7], -1, 0
	s_and_b64 s[6:7], s[6:7], vcc
	s_and_saveexec_b64 s[8:9], s[6:7]
	s_cbranch_execz .LBB107_7
; %bb.1:
	s_load_dwordx2 s[6:7], s[0:1], 0x10
	s_ashr_i32 s2, s4, 31
	s_lshr_b32 s2, s2, 24
	s_add_i32 s2, s4, s2
	v_and_b32_e32 v13, 0x3ff, v0
	s_ashr_i32 s2, s2, 8
	v_lshrrev_b32_e32 v14, 5, v13
	v_cmp_gt_u32_e32 vcc, s2, v14
	v_mov_b32_e32 v16, 0
	s_and_saveexec_b64 s[8:9], vcc
	s_cbranch_execz .LBB107_5
; %bb.2:
	v_and_b32_e32 v0, 31, v13
	v_add_u32_e32 v1, 0xf0, v0
	v_cmp_gt_u32_e32 vcc, 16, v0
	s_load_dwordx4 s[12:15], s[0:1], 0x0
	s_add_i32 s0, s4, 0x1ff
	v_cndmask_b32_e32 v8, v1, v0, vcc
	v_and_b32_e32 v1, 0xf8, v8
	s_ashr_i32 s1, s0, 31
	v_cmp_ne_u32_e32 vcc, 0, v1
	s_lshr_b32 s1, s1, 23
	s_add_i32 s0, s0, s1
	v_cndmask_b32_e64 v9, 0, 1, vcc
	v_cmp_lt_u32_e32 vcc, 15, v0
	s_ashr_i32 s0, s0, 9
	v_and_b32_e32 v4, 7, v13
	v_cndmask_b32_e64 v2, 0, 1, vcc
	v_lshl_or_b32 v6, v2, 2, v9
	v_lshlrev_b32_e32 v10, 3, v2
	v_bfe_u32 v8, v8, 2, 6
	s_mul_i32 s4, s3, s0
	v_mov_b32_e32 v1, 0
	v_or_b32_e32 v2, v10, v4
	s_waitcnt lgkmcnt(0)
	v_mad_u64_u32 v[6:7], s[0:1], v6, 36, s[14:15]
	v_add_u32_e32 v8, v8, v10
	v_lshlrev_b32_e32 v10, 3, v14
	v_mul_lo_u32 v15, v12, s2
	v_lshlrev_b32_e32 v0, 2, v0
	v_lshlrev_b32_e32 v2, 2, v2
	v_mov_b32_e32 v3, v1
	v_lshlrev_b32_e32 v4, 2, v4
	v_mov_b32_e32 v5, v1
	;; [unrolled: 2-line block ×3, first 2 shown]
	v_lshl_add_u32 v18, s4, 4, v10
	s_mov_b64 s[0:1], 0
	s_movk_i32 s4, 0xd2
	v_mov_b64_e32 v[10:11], s[12:13]
	s_mov_b32 s10, 0xf0f0f0f
	s_mov_b32 s11, 0x30303030
	s_movk_i32 s12, 0x3f00
	s_movk_i32 s13, 0xe000
	v_mov_b32_e32 v19, 8
	v_mov_b32_e32 v16, v1
.LBB107_3:                              ; =>This Inner Loop Header: Depth=1
	v_add_u32_e32 v20, v15, v14
	v_mad_i64_i32 v[20:21], s[14:15], v20, s4, v[10:11]
	v_lshl_add_u64 v[24:25], v[20:21], 0, v[2:3]
	v_lshl_add_u64 v[22:23], v[20:21], 0, v[0:1]
	global_load_dword v26, v[24:25], off offset:128
	global_load_dword v27, v[22:23], off
	v_mad_i64_i32 v[22:23], s[14:15], v18, 36, v[6:7]
	v_lshl_add_u64 v[24:25], v[22:23], 0, v[4:5]
	global_load_dword v28, v[24:25], off offset:4
	global_load_dword v29, v[24:25], off offset:76
	v_lshl_add_u64 v[24:25], v[20:21], 0, v[8:9]
	global_load_sbyte v30, v[24:25], off offset:192
	global_load_sbyte v31, v[24:25], off offset:196
	global_load_dword v32, v[22:23], off
	global_load_dword v33, v[22:23], off offset:72
	global_load_ushort v34, v[20:21], off offset:208
	v_mov_b32_e32 v20, 0
	v_mov_b32_e32 v21, 0
	v_add_u32_e32 v14, 2, v14
	v_cmp_le_u32_e32 vcc, s2, v14
	v_add_u32_e32 v18, 16, v18
	s_or_b64 s[0:1], vcc, s[0:1]
	s_waitcnt vmcnt(8)
	v_ashrrev_i32_e32 v22, v17, v26
	s_waitcnt vmcnt(7)
	v_and_b32_e32 v23, 0xf0f0f0f, v27
	v_lshlrev_b32_e32 v25, 4, v22
	v_lshrrev_b32_e32 v24, 4, v27
	v_and_b32_e32 v22, 0x30303030, v22
	v_and_or_b32 v23, v25, s11, v23
	v_and_or_b32 v22, v24, s10, v22
	v_and_b32_e32 v24, 0x3f00, v23
	v_lshlrev_b16_e32 v25, 8, v23
	v_and_b32_sdwa v26, v23, s12 dst_sel:DWORD dst_unused:UNUSED_PAD src0_sel:WORD_1 src1_sel:DWORD
	v_lshlrev_b16_sdwa v23, v19, v23 dst_sel:DWORD dst_unused:UNUSED_PAD src0_sel:DWORD src1_sel:WORD_1
	v_and_b32_e32 v27, 0x3f00, v22
	v_lshlrev_b16_e32 v35, 8, v22
	v_and_b32_sdwa v36, v22, s12 dst_sel:DWORD dst_unused:UNUSED_PAD src0_sel:WORD_1 src1_sel:DWORD
	v_lshlrev_b16_sdwa v22, v19, v22 dst_sel:DWORD dst_unused:UNUSED_PAD src0_sel:DWORD src1_sel:WORD_1
	v_add_u16_e32 v25, 0xe000, v25
	v_add_u16_e32 v23, 0xe000, v23
	;; [unrolled: 1-line block ×4, first 2 shown]
	v_or_b32_sdwa v24, v24, v25 dst_sel:DWORD dst_unused:UNUSED_PAD src0_sel:DWORD src1_sel:BYTE_1
	v_or_b32_sdwa v23, v26, v23 dst_sel:DWORD dst_unused:UNUSED_PAD src0_sel:DWORD src1_sel:BYTE_1
	;; [unrolled: 1-line block ×4, first 2 shown]
	v_add_u16_e32 v24, 0xe000, v24
	v_add_u16_sdwa v23, v23, s13 dst_sel:WORD_1 dst_unused:UNUSED_PAD src0_sel:DWORD src1_sel:DWORD
	v_add_u16_e32 v25, 0xe000, v25
	v_add_u16_sdwa v22, v22, s13 dst_sel:WORD_1 dst_unused:UNUSED_PAD src0_sel:DWORD src1_sel:DWORD
	v_or_b32_e32 v23, v24, v23
	v_or_b32_e32 v22, v25, v22
	s_waitcnt vmcnt(6)
	v_dot4c_i32_i8_e32 v20, v23, v28
	s_waitcnt vmcnt(5)
	v_dot4c_i32_i8_e32 v21, v22, v29
	s_waitcnt vmcnt(4)
	v_mul_lo_u32 v20, v20, v30
	s_waitcnt vmcnt(3)
	v_mul_lo_u32 v21, v21, v31
	v_cvt_f32_i32_e32 v20, v20
	v_cvt_f32_i32_e32 v21, v21
	s_waitcnt vmcnt(2)
	v_fma_mix_f32 v20, v32, v20, 0 op_sel_hi:[1,0,0]
	s_waitcnt vmcnt(1)
	v_fma_mix_f32 v20, v33, v21, v20 op_sel_hi:[1,0,0]
	;; [unrolled: 2-line block ×3, first 2 shown]
	s_andn2_b64 exec, exec, s[0:1]
	s_cbranch_execnz .LBB107_3
; %bb.4:
	s_or_b64 exec, exec, s[0:1]
.LBB107_5:
	s_or_b64 exec, exec, s[8:9]
	v_mbcnt_lo_u32_b32 v0, -1, 0
	v_mbcnt_hi_u32_b32 v1, -1, v0
	v_and_b32_e32 v0, 64, v1
	v_add_u32_e32 v2, 64, v0
	v_xor_b32_e32 v0, 32, v1
	v_cmp_lt_i32_e32 vcc, v0, v2
	v_xor_b32_e32 v3, 16, v1
	v_xor_b32_e32 v4, 8, v1
	v_cndmask_b32_e32 v0, v1, v0, vcc
	v_lshlrev_b32_e32 v0, 2, v0
	ds_bpermute_b32 v0, v0, v16
	v_cmp_lt_i32_e32 vcc, v3, v2
	s_waitcnt lgkmcnt(0)
	v_add_f32_e32 v0, v16, v0
	v_cndmask_b32_e32 v3, v1, v3, vcc
	v_lshlrev_b32_e32 v3, 2, v3
	ds_bpermute_b32 v3, v3, v0
	v_cmp_lt_i32_e32 vcc, v4, v2
	s_waitcnt lgkmcnt(0)
	v_add_f32_e32 v0, v0, v3
	v_cndmask_b32_e32 v3, v1, v4, vcc
	v_lshlrev_b32_e32 v3, 2, v3
	ds_bpermute_b32 v3, v3, v0
	v_xor_b32_e32 v4, 4, v1
	v_cmp_lt_i32_e32 vcc, v4, v2
	s_waitcnt lgkmcnt(0)
	v_add_f32_e32 v0, v0, v3
	v_cndmask_b32_e32 v3, v1, v4, vcc
	v_lshlrev_b32_e32 v3, 2, v3
	ds_bpermute_b32 v3, v3, v0
	v_xor_b32_e32 v4, 2, v1
	;; [unrolled: 7-line block ×3, first 2 shown]
	v_cmp_lt_i32_e32 vcc, v4, v2
	s_waitcnt lgkmcnt(0)
	v_add_f32_e32 v0, v0, v3
	v_cndmask_b32_e32 v1, v1, v4, vcc
	v_lshlrev_b32_e32 v1, 2, v1
	ds_bpermute_b32 v1, v1, v0
	v_cmp_eq_u32_e32 vcc, 0, v13
	s_and_b64 exec, exec, vcc
	s_cbranch_execz .LBB107_7
; %bb.6:
	s_waitcnt lgkmcnt(0)
	v_add_f32_e32 v0, v0, v1
	v_bfe_u32 v1, v0, 16, 1
	s_movk_i32 s0, 0x7fff
	v_add3_u32 v1, v0, v1, s0
	v_lshrrev_b32_e32 v1, 16, v1
	v_mov_b32_e32 v2, 0x7fc0
	v_cmp_o_f32_e32 vcc, v0, v0
	s_mul_i32 s3, s3, s5
	v_add_u32_e32 v0, s3, v12
	v_cndmask_b32_e32 v2, v2, v1, vcc
	v_mov_b32_e32 v1, 0
	v_lshl_add_u64 v[0:1], v[0:1], 1, s[6:7]
	global_store_short v[0:1], v2, off
.LBB107_7:
	s_endpgm
	.section	.rodata,"a",@progbits
	.p2align	6, 0x0
	.amdhsa_kernel _ZL13mul_mat_vec_qIN3c108BFloat16ELi256ELi32E10block_q6_KLi1EXadL_ZL17vec_dot_q6_K_q8_1PKvPK10block_q8_1RKiEEEvS4_S4_PT_iii
		.amdhsa_group_segment_fixed_size 0
		.amdhsa_private_segment_fixed_size 0
		.amdhsa_kernarg_size 296
		.amdhsa_user_sgpr_count 2
		.amdhsa_user_sgpr_dispatch_ptr 0
		.amdhsa_user_sgpr_queue_ptr 0
		.amdhsa_user_sgpr_kernarg_segment_ptr 1
		.amdhsa_user_sgpr_dispatch_id 0
		.amdhsa_user_sgpr_kernarg_preload_length 0
		.amdhsa_user_sgpr_kernarg_preload_offset 0
		.amdhsa_user_sgpr_private_segment_size 0
		.amdhsa_uses_dynamic_stack 0
		.amdhsa_enable_private_segment 0
		.amdhsa_system_sgpr_workgroup_id_x 1
		.amdhsa_system_sgpr_workgroup_id_y 1
		.amdhsa_system_sgpr_workgroup_id_z 0
		.amdhsa_system_sgpr_workgroup_info 0
		.amdhsa_system_vgpr_workitem_id 1
		.amdhsa_next_free_vgpr 37
		.amdhsa_next_free_sgpr 16
		.amdhsa_accum_offset 40
		.amdhsa_reserve_vcc 1
		.amdhsa_float_round_mode_32 0
		.amdhsa_float_round_mode_16_64 0
		.amdhsa_float_denorm_mode_32 3
		.amdhsa_float_denorm_mode_16_64 3
		.amdhsa_dx10_clamp 1
		.amdhsa_ieee_mode 1
		.amdhsa_fp16_overflow 0
		.amdhsa_tg_split 0
		.amdhsa_exception_fp_ieee_invalid_op 0
		.amdhsa_exception_fp_denorm_src 0
		.amdhsa_exception_fp_ieee_div_zero 0
		.amdhsa_exception_fp_ieee_overflow 0
		.amdhsa_exception_fp_ieee_underflow 0
		.amdhsa_exception_fp_ieee_inexact 0
		.amdhsa_exception_int_div_zero 0
	.end_amdhsa_kernel
	.section	.text._ZL13mul_mat_vec_qIN3c108BFloat16ELi256ELi32E10block_q6_KLi1EXadL_ZL17vec_dot_q6_K_q8_1PKvPK10block_q8_1RKiEEEvS4_S4_PT_iii,"axG",@progbits,_ZL13mul_mat_vec_qIN3c108BFloat16ELi256ELi32E10block_q6_KLi1EXadL_ZL17vec_dot_q6_K_q8_1PKvPK10block_q8_1RKiEEEvS4_S4_PT_iii,comdat
.Lfunc_end107:
	.size	_ZL13mul_mat_vec_qIN3c108BFloat16ELi256ELi32E10block_q6_KLi1EXadL_ZL17vec_dot_q6_K_q8_1PKvPK10block_q8_1RKiEEEvS4_S4_PT_iii, .Lfunc_end107-_ZL13mul_mat_vec_qIN3c108BFloat16ELi256ELi32E10block_q6_KLi1EXadL_ZL17vec_dot_q6_K_q8_1PKvPK10block_q8_1RKiEEEvS4_S4_PT_iii
                                        ; -- End function
	.section	.AMDGPU.csdata,"",@progbits
; Kernel info:
; codeLenInByte = 1104
; NumSgprs: 22
; NumVgprs: 37
; NumAgprs: 0
; TotalNumVgprs: 37
; ScratchSize: 0
; MemoryBound: 0
; FloatMode: 240
; IeeeMode: 1
; LDSByteSize: 0 bytes/workgroup (compile time only)
; SGPRBlocks: 2
; VGPRBlocks: 4
; NumSGPRsForWavesPerEU: 22
; NumVGPRsForWavesPerEU: 37
; AccumOffset: 40
; Occupancy: 8
; WaveLimiterHint : 0
; COMPUTE_PGM_RSRC2:SCRATCH_EN: 0
; COMPUTE_PGM_RSRC2:USER_SGPR: 2
; COMPUTE_PGM_RSRC2:TRAP_HANDLER: 0
; COMPUTE_PGM_RSRC2:TGID_X_EN: 1
; COMPUTE_PGM_RSRC2:TGID_Y_EN: 1
; COMPUTE_PGM_RSRC2:TGID_Z_EN: 0
; COMPUTE_PGM_RSRC2:TIDIG_COMP_CNT: 1
; COMPUTE_PGM_RSRC3_GFX90A:ACCUM_OFFSET: 9
; COMPUTE_PGM_RSRC3_GFX90A:TG_SPLIT: 0
	.section	.text._ZL13mul_mat_vec_qIN3c108BFloat16ELi256ELi8E13block_iq2_xxsLi1EXadL_ZL20vec_dot_iq2_xxs_q8_1PKvPK10block_q8_1RKiEEEvS4_S4_PT_iii,"axG",@progbits,_ZL13mul_mat_vec_qIN3c108BFloat16ELi256ELi8E13block_iq2_xxsLi1EXadL_ZL20vec_dot_iq2_xxs_q8_1PKvPK10block_q8_1RKiEEEvS4_S4_PT_iii,comdat
	.globl	_ZL13mul_mat_vec_qIN3c108BFloat16ELi256ELi8E13block_iq2_xxsLi1EXadL_ZL20vec_dot_iq2_xxs_q8_1PKvPK10block_q8_1RKiEEEvS4_S4_PT_iii ; -- Begin function _ZL13mul_mat_vec_qIN3c108BFloat16ELi256ELi8E13block_iq2_xxsLi1EXadL_ZL20vec_dot_iq2_xxs_q8_1PKvPK10block_q8_1RKiEEEvS4_S4_PT_iii
	.p2align	8
	.type	_ZL13mul_mat_vec_qIN3c108BFloat16ELi256ELi8E13block_iq2_xxsLi1EXadL_ZL20vec_dot_iq2_xxs_q8_1PKvPK10block_q8_1RKiEEEvS4_S4_PT_iii,@function
_ZL13mul_mat_vec_qIN3c108BFloat16ELi256ELi8E13block_iq2_xxsLi1EXadL_ZL20vec_dot_iq2_xxs_q8_1PKvPK10block_q8_1RKiEEEvS4_S4_PT_iii: ; @_ZL13mul_mat_vec_qIN3c108BFloat16ELi256ELi8E13block_iq2_xxsLi1EXadL_ZL20vec_dot_iq2_xxs_q8_1PKvPK10block_q8_1RKiEEEvS4_S4_PT_iii
; %bb.0:
	s_load_dword s8, s[0:1], 0x34
	s_load_dwordx4 s[4:7], s[0:1], 0x18
	v_bfe_u32 v1, v0, 10, 10
	s_waitcnt lgkmcnt(0)
	s_lshr_b32 s7, s8, 16
	s_mul_i32 s2, s2, s7
	v_add_u32_e32 v10, s2, v1
	s_cmp_lt_u32 s3, s6
	v_cmp_gt_u32_e32 vcc, s5, v10
	s_cselect_b64 s[6:7], -1, 0
	s_and_b64 s[6:7], s[6:7], vcc
	s_and_saveexec_b64 s[8:9], s[6:7]
	s_cbranch_execz .LBB108_7
; %bb.1:
	s_load_dwordx2 s[6:7], s[0:1], 0x10
	s_ashr_i32 s2, s4, 31
	s_lshr_b32 s2, s2, 24
	s_add_i32 s2, s4, s2
	v_and_b32_e32 v11, 0x3ff, v0
	s_ashr_i32 s2, s2, 8
	v_lshrrev_b32_e32 v12, 3, v11
	v_cmp_gt_u32_e32 vcc, s2, v12
	v_mov_b32_e32 v13, 0
	s_and_saveexec_b64 s[8:9], vcc
	s_cbranch_execz .LBB108_5
; %bb.2:
	s_load_dwordx4 s[12:15], s[0:1], 0x0
	s_add_i32 s0, s4, 0x1ff
	s_ashr_i32 s1, s0, 31
	s_lshr_b32 s1, s1, 23
	s_add_i32 s0, s0, s1
	s_ashr_i32 s0, s0, 9
	v_and_b32_e32 v2, 7, v11
	s_mul_i32 s4, s3, s0
	v_lshlrev_b32_e32 v0, 2, v2
	v_mov_b32_e32 v1, 0
	s_waitcnt lgkmcnt(0)
	v_mad_u64_u32 v[2:3], s[0:1], v2, 36, s[14:15]
	v_lshlrev_b32_e32 v4, 3, v12
	v_mul_lo_u32 v14, v10, s2
	v_lshl_add_u32 v15, s4, 4, v4
	s_mov_b64 s[0:1], 0
	s_movk_i32 s4, 0x42
	v_mov_b64_e32 v[4:5], s[12:13]
	v_lshlrev_b32_e32 v0, 1, v0
	s_mov_b32 s14, 0xffff
	v_mov_b32_e32 v16, 3
	v_mov_b32_e32 v13, v1
	s_getpc_b64 s[12:13]
	s_add_u32 s12, s12, _ZL12ksigns_iq2xs@rel32@lo+4
	s_addc_u32 s13, s13, _ZL12ksigns_iq2xs@rel32@hi+12
.LBB108_3:                              ; =>This Inner Loop Header: Depth=1
	v_add_u32_e32 v6, v14, v12
	v_mad_i64_i32 v[8:9], s[10:11], v6, s4, v[4:5]
	v_lshl_add_u64 v[18:19], v[8:9], 0, v[0:1]
	global_load_dword v17, v[18:19], off offset:6
	global_load_dword v25, v[18:19], off offset:2
	v_mad_i64_i32 v[6:7], s[10:11], v15, 36, v[2:3]
	s_getpc_b64 s[10:11]
	s_add_u32 s10, s10, _ZL11iq2xxs_grid@rel32@lo+4
	s_addc_u32 s11, s11, _ZL11iq2xxs_grid@rel32@hi+12
	v_add_u32_e32 v12, 8, v12
	v_add_u32_e32 v15, 64, v15
	s_waitcnt vmcnt(1)
	v_and_b32_e32 v20, 0xffff0000, v17
	v_and_b32_e32 v27, 0x7f, v17
	v_and_or_b32 v24, v17, s14, v20
	s_waitcnt vmcnt(0)
	v_lshlrev_b32_sdwa v26, v16, v25 dst_sel:DWORD dst_unused:UNUSED_PAD src0_sel:DWORD src1_sel:BYTE_0
	global_load_sbyte v28, v27, s[12:13]
	global_load_dwordx4 v[18:21], v[6:7], off offset:4
	global_load_dwordx2 v[22:23], v26, s[10:11]
	v_bfe_u32 v24, v24, 14, 7
	s_waitcnt vmcnt(2)
	v_and_b32_e32 v29, 1, v28
	v_cmp_eq_u16_e32 vcc, 0, v29
	s_waitcnt vmcnt(0)
	v_mul_i32_i24_sdwa v26, v22, sext(v18) dst_sel:DWORD dst_unused:UNUSED_PAD src0_sel:BYTE_0 src1_sel:BYTE_0
	v_sub_u32_e32 v29, 0, v26
	v_cndmask_b32_e32 v26, v29, v26, vcc
	v_mul_i32_i24_sdwa v29, v22, sext(v18) dst_sel:DWORD dst_unused:UNUSED_PAD src0_sel:BYTE_1 src1_sel:BYTE_1
	v_and_b32_e32 v30, 2, v28
	v_cmp_eq_u16_e32 vcc, 0, v30
	v_sub_u32_e32 v30, 0, v29
	s_nop 0
	v_cndmask_b32_e32 v29, v30, v29, vcc
	v_add_u32_e32 v26, v29, v26
	v_mul_i32_i24_sdwa v29, v22, sext(v18) dst_sel:DWORD dst_unused:UNUSED_PAD src0_sel:BYTE_2 src1_sel:BYTE_2
	v_and_b32_e32 v30, 4, v28
	v_cmp_eq_u16_e32 vcc, 0, v30
	v_sub_u32_e32 v30, 0, v29
	v_mul_i32_i24_sdwa v18, v22, sext(v18) dst_sel:DWORD dst_unused:UNUSED_PAD src0_sel:BYTE_3 src1_sel:BYTE_3
	v_and_b32_e32 v22, 8, v28
	v_cndmask_b32_e32 v29, v30, v29, vcc
	v_cmp_eq_u16_e32 vcc, 0, v22
	v_sub_u32_e32 v22, 0, v18
	s_nop 0
	v_cndmask_b32_e32 v18, v22, v18, vcc
	v_add3_u32 v18, v26, v29, v18
	v_mul_i32_i24_sdwa v22, v23, sext(v19) dst_sel:DWORD dst_unused:UNUSED_PAD src0_sel:BYTE_0 src1_sel:BYTE_0
	v_and_b32_e32 v26, 16, v28
	v_cmp_eq_u16_e32 vcc, 0, v26
	v_sub_u32_e32 v26, 0, v22
	v_and_b32_e32 v29, 32, v28
	v_cndmask_b32_e32 v22, v26, v22, vcc
	v_mul_i32_i24_sdwa v26, v23, sext(v19) dst_sel:DWORD dst_unused:UNUSED_PAD src0_sel:BYTE_1 src1_sel:BYTE_1
	v_cmp_eq_u16_e32 vcc, 0, v29
	v_sub_u32_e32 v29, 0, v26
	s_nop 0
	v_cndmask_b32_e32 v26, v29, v26, vcc
	v_add3_u32 v18, v18, v22, v26
	v_mul_i32_i24_sdwa v22, v23, sext(v19) dst_sel:DWORD dst_unused:UNUSED_PAD src0_sel:BYTE_2 src1_sel:BYTE_2
	v_cmp_gt_u32_e32 vcc, 64, v27
	v_sub_u32_e32 v26, 0, v22
	v_mul_i32_i24_sdwa v19, v23, sext(v19) dst_sel:DWORD dst_unused:UNUSED_PAD src0_sel:BYTE_3 src1_sel:BYTE_3
	v_cndmask_b32_e32 v22, v26, v22, vcc
	v_sub_u32_e32 v23, 0, v19
	v_cmp_gt_i16_e32 vcc, 0, v28
	v_bfe_u32 v26, v17, 7, 7
	s_nop 0
	v_cndmask_b32_e32 v19, v19, v23, vcc
	v_add3_u32 v22, v18, v22, v19
	v_lshlrev_b32_sdwa v23, v16, v25 dst_sel:DWORD dst_unused:UNUSED_PAD src0_sel:DWORD src1_sel:BYTE_1
	global_load_sbyte v27, v26, s[12:13]
	global_load_dwordx2 v[18:19], v23, s[10:11]
	s_waitcnt vmcnt(1)
	v_and_b32_e32 v28, 1, v27
	s_waitcnt vmcnt(0)
	v_mul_i32_i24_sdwa v23, v18, sext(v20) dst_sel:DWORD dst_unused:UNUSED_PAD src0_sel:BYTE_0 src1_sel:BYTE_0
	v_cmp_eq_u16_e32 vcc, 0, v28
	v_sub_u32_e32 v28, 0, v23
	v_and_b32_e32 v29, 2, v27
	v_cndmask_b32_e32 v23, v28, v23, vcc
	v_mul_i32_i24_sdwa v28, v18, sext(v20) dst_sel:DWORD dst_unused:UNUSED_PAD src0_sel:BYTE_1 src1_sel:BYTE_1
	v_cmp_eq_u16_e32 vcc, 0, v29
	v_sub_u32_e32 v29, 0, v28
	s_nop 0
	v_cndmask_b32_e32 v28, v29, v28, vcc
	v_add3_u32 v22, v22, v23, v28
	v_mul_i32_i24_sdwa v23, v18, sext(v20) dst_sel:DWORD dst_unused:UNUSED_PAD src0_sel:BYTE_2 src1_sel:BYTE_2
	v_and_b32_e32 v28, 4, v27
	v_cmp_eq_u16_e32 vcc, 0, v28
	v_sub_u32_e32 v28, 0, v23
	v_mul_i32_i24_sdwa v18, v18, sext(v20) dst_sel:DWORD dst_unused:UNUSED_PAD src0_sel:BYTE_3 src1_sel:BYTE_3
	v_and_b32_e32 v20, 8, v27
	v_cndmask_b32_e32 v23, v28, v23, vcc
	v_cmp_eq_u16_e32 vcc, 0, v20
	v_sub_u32_e32 v20, 0, v18
	s_nop 0
	v_cndmask_b32_e32 v18, v20, v18, vcc
	v_add3_u32 v18, v22, v23, v18
	v_mul_i32_i24_sdwa v20, v19, sext(v21) dst_sel:DWORD dst_unused:UNUSED_PAD src0_sel:BYTE_0 src1_sel:BYTE_0
	v_and_b32_e32 v22, 16, v27
	v_cmp_eq_u16_e32 vcc, 0, v22
	v_sub_u32_e32 v22, 0, v20
	v_and_b32_e32 v23, 32, v27
	v_cndmask_b32_e32 v20, v22, v20, vcc
	v_mul_i32_i24_sdwa v22, v19, sext(v21) dst_sel:DWORD dst_unused:UNUSED_PAD src0_sel:BYTE_1 src1_sel:BYTE_1
	v_cmp_eq_u16_e32 vcc, 0, v23
	v_sub_u32_e32 v23, 0, v22
	s_nop 0
	v_cndmask_b32_e32 v22, v23, v22, vcc
	v_add3_u32 v18, v18, v20, v22
	v_mul_i32_i24_sdwa v20, v19, sext(v21) dst_sel:DWORD dst_unused:UNUSED_PAD src0_sel:BYTE_2 src1_sel:BYTE_2
	v_cmp_gt_u32_e32 vcc, 64, v26
	v_sub_u32_e32 v22, 0, v20
	v_mul_i32_i24_sdwa v19, v19, sext(v21) dst_sel:DWORD dst_unused:UNUSED_PAD src0_sel:BYTE_3 src1_sel:BYTE_3
	v_cndmask_b32_e32 v20, v22, v20, vcc
	v_sub_u32_e32 v21, 0, v19
	v_cmp_gt_i16_e32 vcc, 0, v27
	v_lshlrev_b32_sdwa v27, v16, v25 dst_sel:DWORD dst_unused:UNUSED_PAD src0_sel:DWORD src1_sel:BYTE_2
	s_nop 0
	v_cndmask_b32_e32 v19, v19, v21, vcc
	v_add3_u32 v26, v18, v20, v19
	global_load_sbyte v28, v24, s[12:13]
	global_load_dwordx4 v[18:21], v[6:7], off offset:20
	global_load_dwordx2 v[22:23], v27, s[10:11]
	s_waitcnt vmcnt(2)
	v_and_b32_e32 v29, 1, v28
	v_cmp_eq_u16_e32 vcc, 0, v29
	s_waitcnt vmcnt(0)
	v_mul_i32_i24_sdwa v27, v22, sext(v18) dst_sel:DWORD dst_unused:UNUSED_PAD src0_sel:BYTE_0 src1_sel:BYTE_0
	v_sub_u32_e32 v29, 0, v27
	v_cndmask_b32_e32 v27, v29, v27, vcc
	v_mul_i32_i24_sdwa v29, v22, sext(v18) dst_sel:DWORD dst_unused:UNUSED_PAD src0_sel:BYTE_1 src1_sel:BYTE_1
	v_and_b32_e32 v30, 2, v28
	v_cmp_eq_u16_e32 vcc, 0, v30
	v_sub_u32_e32 v30, 0, v29
	s_nop 0
	v_cndmask_b32_e32 v29, v30, v29, vcc
	v_add3_u32 v26, v26, v27, v29
	v_mul_i32_i24_sdwa v27, v22, sext(v18) dst_sel:DWORD dst_unused:UNUSED_PAD src0_sel:BYTE_2 src1_sel:BYTE_2
	v_and_b32_e32 v29, 4, v28
	v_cmp_eq_u16_e32 vcc, 0, v29
	v_sub_u32_e32 v29, 0, v27
	v_mul_i32_i24_sdwa v18, v22, sext(v18) dst_sel:DWORD dst_unused:UNUSED_PAD src0_sel:BYTE_3 src1_sel:BYTE_3
	v_and_b32_e32 v22, 8, v28
	v_cndmask_b32_e32 v27, v29, v27, vcc
	v_cmp_eq_u16_e32 vcc, 0, v22
	v_sub_u32_e32 v22, 0, v18
	s_nop 0
	v_cndmask_b32_e32 v18, v22, v18, vcc
	v_add3_u32 v18, v26, v27, v18
	v_mul_i32_i24_sdwa v22, v23, sext(v19) dst_sel:DWORD dst_unused:UNUSED_PAD src0_sel:BYTE_0 src1_sel:BYTE_0
	v_and_b32_e32 v26, 16, v28
	v_cmp_eq_u16_e32 vcc, 0, v26
	v_sub_u32_e32 v26, 0, v22
	v_and_b32_e32 v27, 32, v28
	v_cndmask_b32_e32 v22, v26, v22, vcc
	v_mul_i32_i24_sdwa v26, v23, sext(v19) dst_sel:DWORD dst_unused:UNUSED_PAD src0_sel:BYTE_1 src1_sel:BYTE_1
	v_cmp_eq_u16_e32 vcc, 0, v27
	v_sub_u32_e32 v27, 0, v26
	s_nop 0
	v_cndmask_b32_e32 v26, v27, v26, vcc
	v_add3_u32 v18, v18, v22, v26
	v_mul_i32_i24_sdwa v22, v23, sext(v19) dst_sel:DWORD dst_unused:UNUSED_PAD src0_sel:BYTE_2 src1_sel:BYTE_2
	v_cmp_gt_u32_e32 vcc, 64, v24
	v_sub_u32_e32 v24, 0, v22
	v_mul_i32_i24_sdwa v19, v23, sext(v19) dst_sel:DWORD dst_unused:UNUSED_PAD src0_sel:BYTE_3 src1_sel:BYTE_3
	v_cndmask_b32_e32 v22, v24, v22, vcc
	v_sub_u32_e32 v23, 0, v19
	v_cmp_gt_i16_e32 vcc, 0, v28
	v_bfe_u32 v24, v17, 21, 7
	v_lshrrev_b32_e32 v17, 28, v17
	v_cndmask_b32_e32 v19, v19, v23, vcc
	v_add3_u32 v22, v18, v22, v19
	v_lshlrev_b32_sdwa v23, v16, v25 dst_sel:DWORD dst_unused:UNUSED_PAD src0_sel:DWORD src1_sel:BYTE_3
	global_load_sbyte v25, v24, s[12:13]
	global_load_dwordx2 v[18:19], v23, s[10:11]
	s_waitcnt vmcnt(1)
	v_and_b32_e32 v26, 1, v25
	global_load_ushort v8, v[8:9], off
	s_waitcnt vmcnt(1)
	v_mul_i32_i24_sdwa v23, v18, sext(v20) dst_sel:DWORD dst_unused:UNUSED_PAD src0_sel:BYTE_0 src1_sel:BYTE_0
	global_load_ushort v6, v[6:7], off
	v_cmp_eq_u16_e32 vcc, 0, v26
	v_sub_u32_e32 v26, 0, v23
	v_and_b32_e32 v27, 2, v25
	v_cndmask_b32_e32 v23, v26, v23, vcc
	v_mul_i32_i24_sdwa v26, v18, sext(v20) dst_sel:DWORD dst_unused:UNUSED_PAD src0_sel:BYTE_1 src1_sel:BYTE_1
	v_cmp_eq_u16_e32 vcc, 0, v27
	v_sub_u32_e32 v27, 0, v26
	v_cvt_f32_ubyte0_e32 v9, v17
	v_cndmask_b32_e32 v26, v27, v26, vcc
	v_add3_u32 v22, v22, v23, v26
	v_mul_i32_i24_sdwa v23, v18, sext(v20) dst_sel:DWORD dst_unused:UNUSED_PAD src0_sel:BYTE_2 src1_sel:BYTE_2
	v_and_b32_e32 v26, 4, v25
	v_cmp_eq_u16_e32 vcc, 0, v26
	v_sub_u32_e32 v26, 0, v23
	v_mul_i32_i24_sdwa v18, v18, sext(v20) dst_sel:DWORD dst_unused:UNUSED_PAD src0_sel:BYTE_3 src1_sel:BYTE_3
	v_and_b32_e32 v20, 8, v25
	v_cndmask_b32_e32 v23, v26, v23, vcc
	v_cmp_eq_u16_e32 vcc, 0, v20
	v_sub_u32_e32 v20, 0, v18
	v_add_f32_e32 v9, 0.5, v9
	v_cndmask_b32_e32 v18, v20, v18, vcc
	v_add3_u32 v18, v22, v23, v18
	v_mul_i32_i24_sdwa v20, v19, sext(v21) dst_sel:DWORD dst_unused:UNUSED_PAD src0_sel:BYTE_0 src1_sel:BYTE_0
	v_and_b32_e32 v22, 16, v25
	v_cmp_eq_u16_e32 vcc, 0, v22
	v_sub_u32_e32 v22, 0, v20
	v_and_b32_e32 v23, 32, v25
	v_cndmask_b32_e32 v20, v22, v20, vcc
	v_mul_i32_i24_sdwa v22, v19, sext(v21) dst_sel:DWORD dst_unused:UNUSED_PAD src0_sel:BYTE_1 src1_sel:BYTE_1
	v_cmp_eq_u16_e32 vcc, 0, v23
	v_sub_u32_e32 v23, 0, v22
	s_waitcnt vmcnt(1)
	v_cvt_f32_f16_e32 v8, v8
	v_cndmask_b32_e32 v22, v23, v22, vcc
	v_add3_u32 v18, v18, v20, v22
	v_mul_i32_i24_sdwa v20, v19, sext(v21) dst_sel:DWORD dst_unused:UNUSED_PAD src0_sel:BYTE_2 src1_sel:BYTE_2
	v_cmp_gt_u32_e32 vcc, 64, v24
	v_sub_u32_e32 v22, 0, v20
	v_mul_i32_i24_sdwa v19, v19, sext(v21) dst_sel:DWORD dst_unused:UNUSED_PAD src0_sel:BYTE_3 src1_sel:BYTE_3
	v_cndmask_b32_e32 v20, v22, v20, vcc
	v_sub_u32_e32 v21, 0, v19
	v_cmp_gt_i16_e32 vcc, 0, v25
	s_waitcnt vmcnt(0)
	v_cvt_f32_f16_e32 v6, v6
	v_mul_f32_e32 v8, v9, v8
	v_cndmask_b32_e32 v19, v19, v21, vcc
	v_add3_u32 v18, v18, v20, v19
	v_cvt_f32_i32_e32 v7, v18
	v_mul_f32_e32 v6, v8, v6
	v_mul_f32_e32 v6, 0x3e800000, v6
	v_cmp_le_u32_e32 vcc, s2, v12
	v_fmac_f32_e32 v13, v6, v7
	s_or_b64 s[0:1], vcc, s[0:1]
	s_andn2_b64 exec, exec, s[0:1]
	s_cbranch_execnz .LBB108_3
; %bb.4:
	s_or_b64 exec, exec, s[0:1]
.LBB108_5:
	s_or_b64 exec, exec, s[8:9]
	v_mbcnt_lo_u32_b32 v0, -1, 0
	v_mbcnt_hi_u32_b32 v1, -1, v0
	v_and_b32_e32 v0, 64, v1
	v_add_u32_e32 v2, 64, v0
	v_xor_b32_e32 v0, 32, v1
	v_cmp_lt_i32_e32 vcc, v0, v2
	v_xor_b32_e32 v3, 16, v1
	v_xor_b32_e32 v4, 8, v1
	v_cndmask_b32_e32 v0, v1, v0, vcc
	v_lshlrev_b32_e32 v0, 2, v0
	ds_bpermute_b32 v0, v0, v13
	v_cmp_lt_i32_e32 vcc, v3, v2
	s_waitcnt lgkmcnt(0)
	v_add_f32_e32 v0, v13, v0
	v_cndmask_b32_e32 v3, v1, v3, vcc
	v_lshlrev_b32_e32 v3, 2, v3
	ds_bpermute_b32 v3, v3, v0
	v_cmp_lt_i32_e32 vcc, v4, v2
	s_waitcnt lgkmcnt(0)
	v_add_f32_e32 v0, v0, v3
	v_cndmask_b32_e32 v3, v1, v4, vcc
	v_lshlrev_b32_e32 v3, 2, v3
	ds_bpermute_b32 v3, v3, v0
	v_xor_b32_e32 v4, 4, v1
	v_cmp_lt_i32_e32 vcc, v4, v2
	s_waitcnt lgkmcnt(0)
	v_add_f32_e32 v0, v0, v3
	v_cndmask_b32_e32 v3, v1, v4, vcc
	v_lshlrev_b32_e32 v3, 2, v3
	ds_bpermute_b32 v3, v3, v0
	v_xor_b32_e32 v4, 2, v1
	;; [unrolled: 7-line block ×3, first 2 shown]
	v_cmp_lt_i32_e32 vcc, v4, v2
	s_waitcnt lgkmcnt(0)
	v_add_f32_e32 v0, v0, v3
	v_cndmask_b32_e32 v1, v1, v4, vcc
	v_lshlrev_b32_e32 v1, 2, v1
	ds_bpermute_b32 v1, v1, v0
	v_cmp_eq_u32_e32 vcc, 0, v11
	s_and_b64 exec, exec, vcc
	s_cbranch_execz .LBB108_7
; %bb.6:
	s_waitcnt lgkmcnt(0)
	v_add_f32_e32 v0, v0, v1
	v_bfe_u32 v1, v0, 16, 1
	s_movk_i32 s0, 0x7fff
	v_add3_u32 v1, v0, v1, s0
	v_lshrrev_b32_e32 v1, 16, v1
	v_mov_b32_e32 v2, 0x7fc0
	v_cmp_o_f32_e32 vcc, v0, v0
	s_mul_i32 s3, s3, s5
	v_add_u32_e32 v0, s3, v10
	v_cndmask_b32_e32 v2, v2, v1, vcc
	v_mov_b32_e32 v1, 0
	v_lshl_add_u64 v[0:1], v[0:1], 1, s[6:7]
	global_store_short v[0:1], v2, off
.LBB108_7:
	s_endpgm
	.section	.rodata,"a",@progbits
	.p2align	6, 0x0
	.amdhsa_kernel _ZL13mul_mat_vec_qIN3c108BFloat16ELi256ELi8E13block_iq2_xxsLi1EXadL_ZL20vec_dot_iq2_xxs_q8_1PKvPK10block_q8_1RKiEEEvS4_S4_PT_iii
		.amdhsa_group_segment_fixed_size 0
		.amdhsa_private_segment_fixed_size 0
		.amdhsa_kernarg_size 296
		.amdhsa_user_sgpr_count 2
		.amdhsa_user_sgpr_dispatch_ptr 0
		.amdhsa_user_sgpr_queue_ptr 0
		.amdhsa_user_sgpr_kernarg_segment_ptr 1
		.amdhsa_user_sgpr_dispatch_id 0
		.amdhsa_user_sgpr_kernarg_preload_length 0
		.amdhsa_user_sgpr_kernarg_preload_offset 0
		.amdhsa_user_sgpr_private_segment_size 0
		.amdhsa_uses_dynamic_stack 0
		.amdhsa_enable_private_segment 0
		.amdhsa_system_sgpr_workgroup_id_x 1
		.amdhsa_system_sgpr_workgroup_id_y 1
		.amdhsa_system_sgpr_workgroup_id_z 0
		.amdhsa_system_sgpr_workgroup_info 0
		.amdhsa_system_vgpr_workitem_id 1
		.amdhsa_next_free_vgpr 31
		.amdhsa_next_free_sgpr 16
		.amdhsa_accum_offset 32
		.amdhsa_reserve_vcc 1
		.amdhsa_float_round_mode_32 0
		.amdhsa_float_round_mode_16_64 0
		.amdhsa_float_denorm_mode_32 3
		.amdhsa_float_denorm_mode_16_64 3
		.amdhsa_dx10_clamp 1
		.amdhsa_ieee_mode 1
		.amdhsa_fp16_overflow 0
		.amdhsa_tg_split 0
		.amdhsa_exception_fp_ieee_invalid_op 0
		.amdhsa_exception_fp_denorm_src 0
		.amdhsa_exception_fp_ieee_div_zero 0
		.amdhsa_exception_fp_ieee_overflow 0
		.amdhsa_exception_fp_ieee_underflow 0
		.amdhsa_exception_fp_ieee_inexact 0
		.amdhsa_exception_int_div_zero 0
	.end_amdhsa_kernel
	.section	.text._ZL13mul_mat_vec_qIN3c108BFloat16ELi256ELi8E13block_iq2_xxsLi1EXadL_ZL20vec_dot_iq2_xxs_q8_1PKvPK10block_q8_1RKiEEEvS4_S4_PT_iii,"axG",@progbits,_ZL13mul_mat_vec_qIN3c108BFloat16ELi256ELi8E13block_iq2_xxsLi1EXadL_ZL20vec_dot_iq2_xxs_q8_1PKvPK10block_q8_1RKiEEEvS4_S4_PT_iii,comdat
.Lfunc_end108:
	.size	_ZL13mul_mat_vec_qIN3c108BFloat16ELi256ELi8E13block_iq2_xxsLi1EXadL_ZL20vec_dot_iq2_xxs_q8_1PKvPK10block_q8_1RKiEEEvS4_S4_PT_iii, .Lfunc_end108-_ZL13mul_mat_vec_qIN3c108BFloat16ELi256ELi8E13block_iq2_xxsLi1EXadL_ZL20vec_dot_iq2_xxs_q8_1PKvPK10block_q8_1RKiEEEvS4_S4_PT_iii
                                        ; -- End function
	.section	.AMDGPU.csdata,"",@progbits
; Kernel info:
; codeLenInByte = 1816
; NumSgprs: 22
; NumVgprs: 31
; NumAgprs: 0
; TotalNumVgprs: 31
; ScratchSize: 0
; MemoryBound: 0
; FloatMode: 240
; IeeeMode: 1
; LDSByteSize: 0 bytes/workgroup (compile time only)
; SGPRBlocks: 2
; VGPRBlocks: 3
; NumSGPRsForWavesPerEU: 22
; NumVGPRsForWavesPerEU: 31
; AccumOffset: 32
; Occupancy: 8
; WaveLimiterHint : 0
; COMPUTE_PGM_RSRC2:SCRATCH_EN: 0
; COMPUTE_PGM_RSRC2:USER_SGPR: 2
; COMPUTE_PGM_RSRC2:TRAP_HANDLER: 0
; COMPUTE_PGM_RSRC2:TGID_X_EN: 1
; COMPUTE_PGM_RSRC2:TGID_Y_EN: 1
; COMPUTE_PGM_RSRC2:TGID_Z_EN: 0
; COMPUTE_PGM_RSRC2:TIDIG_COMP_CNT: 1
; COMPUTE_PGM_RSRC3_GFX90A:ACCUM_OFFSET: 7
; COMPUTE_PGM_RSRC3_GFX90A:TG_SPLIT: 0
	.section	.text._ZL13mul_mat_vec_qIN3c108BFloat16ELi256ELi8E12block_iq2_xsLi1EXadL_ZL19vec_dot_iq2_xs_q8_1PKvPK10block_q8_1RKiEEEvS4_S4_PT_iii,"axG",@progbits,_ZL13mul_mat_vec_qIN3c108BFloat16ELi256ELi8E12block_iq2_xsLi1EXadL_ZL19vec_dot_iq2_xs_q8_1PKvPK10block_q8_1RKiEEEvS4_S4_PT_iii,comdat
	.globl	_ZL13mul_mat_vec_qIN3c108BFloat16ELi256ELi8E12block_iq2_xsLi1EXadL_ZL19vec_dot_iq2_xs_q8_1PKvPK10block_q8_1RKiEEEvS4_S4_PT_iii ; -- Begin function _ZL13mul_mat_vec_qIN3c108BFloat16ELi256ELi8E12block_iq2_xsLi1EXadL_ZL19vec_dot_iq2_xs_q8_1PKvPK10block_q8_1RKiEEEvS4_S4_PT_iii
	.p2align	8
	.type	_ZL13mul_mat_vec_qIN3c108BFloat16ELi256ELi8E12block_iq2_xsLi1EXadL_ZL19vec_dot_iq2_xs_q8_1PKvPK10block_q8_1RKiEEEvS4_S4_PT_iii,@function
_ZL13mul_mat_vec_qIN3c108BFloat16ELi256ELi8E12block_iq2_xsLi1EXadL_ZL19vec_dot_iq2_xs_q8_1PKvPK10block_q8_1RKiEEEvS4_S4_PT_iii: ; @_ZL13mul_mat_vec_qIN3c108BFloat16ELi256ELi8E12block_iq2_xsLi1EXadL_ZL19vec_dot_iq2_xs_q8_1PKvPK10block_q8_1RKiEEEvS4_S4_PT_iii
; %bb.0:
	s_load_dword s8, s[0:1], 0x34
	s_load_dwordx4 s[4:7], s[0:1], 0x18
	v_bfe_u32 v1, v0, 10, 10
	s_waitcnt lgkmcnt(0)
	s_lshr_b32 s7, s8, 16
	s_mul_i32 s2, s2, s7
	v_add_u32_e32 v14, s2, v1
	s_cmp_lt_u32 s3, s6
	v_cmp_gt_u32_e32 vcc, s5, v14
	s_cselect_b64 s[6:7], -1, 0
	s_and_b64 s[6:7], s[6:7], vcc
	s_and_saveexec_b64 s[8:9], s[6:7]
	s_cbranch_execz .LBB109_7
; %bb.1:
	s_load_dwordx2 s[6:7], s[0:1], 0x10
	s_ashr_i32 s2, s4, 31
	s_lshr_b32 s2, s2, 24
	s_add_i32 s2, s4, s2
	v_and_b32_e32 v15, 0x3ff, v0
	s_ashr_i32 s2, s2, 8
	v_lshrrev_b32_e32 v16, 3, v15
	v_cmp_gt_u32_e32 vcc, s2, v16
	v_mov_b32_e32 v17, 0
	s_and_saveexec_b64 s[8:9], vcc
	s_cbranch_execz .LBB109_5
; %bb.2:
	s_load_dwordx4 s[12:15], s[0:1], 0x0
	s_add_i32 s0, s4, 0x1ff
	s_ashr_i32 s1, s0, 31
	s_lshr_b32 s1, s1, 23
	s_add_i32 s0, s0, s1
	s_ashr_i32 s0, s0, 9
	v_and_b32_e32 v0, 7, v15
	s_mul_i32 s4, s3, s0
	v_lshlrev_b32_e32 v6, 2, v0
	v_mov_b32_e32 v1, 0
	s_waitcnt lgkmcnt(0)
	v_mad_u64_u32 v[2:3], s[0:1], v0, 36, s[14:15]
	v_lshlrev_b32_e32 v4, 3, v16
	v_mul_lo_u32 v18, v14, s2
	v_lshl_add_u32 v19, s4, 4, v4
	s_mov_b64 s[0:1], 0
	s_movk_i32 s4, 0x4a
	v_mov_b64_e32 v[4:5], s[12:13]
	v_lshlrev_b32_e32 v6, 1, v6
	v_mov_b32_e32 v7, v1
	v_mov_b32_e32 v17, v1
	s_getpc_b64 s[12:13]
	s_add_u32 s12, s12, _ZL12ksigns_iq2xs@rel32@lo+4
	s_addc_u32 s13, s13, _ZL12ksigns_iq2xs@rel32@hi+12
.LBB109_3:                              ; =>This Inner Loop Header: Depth=1
	v_add_u32_e32 v8, v18, v16
	v_mad_i64_i32 v[10:11], s[10:11], v8, s4, v[4:5]
	v_lshl_add_u64 v[24:25], v[10:11], 0, v[0:1]
	v_lshl_add_u64 v[22:23], v[10:11], 0, v[6:7]
	global_load_ubyte v20, v[24:25], off offset:66
	global_load_dwordx2 v[12:13], v[22:23], off offset:2
	v_mad_i64_i32 v[8:9], s[10:11], v19, 36, v[2:3]
	s_getpc_b64 s[10:11]
	s_add_u32 s10, s10, _ZL10iq2xs_grid@rel32@lo+4
	s_addc_u32 s11, s11, _ZL10iq2xs_grid@rel32@hi+12
	v_add_u32_e32 v16, 8, v16
	v_add_u32_e32 v19, 64, v19
	s_waitcnt vmcnt(0)
	v_and_b32_e32 v21, 0x1ff, v12
	v_bfe_u32 v28, v12, 9, 7
	v_lshlrev_b32_e32 v21, 3, v21
	global_load_sbyte v29, v28, s[12:13]
	global_load_dwordx4 v[22:25], v[8:9], off offset:4
	global_load_dwordx2 v[26:27], v21, s[10:11]
	v_bfe_u32 v36, v13, 9, 7
	s_waitcnt vmcnt(2)
	v_and_b32_e32 v28, 1, v29
	v_cmp_eq_u16_e32 vcc, 0, v28
	s_waitcnt vmcnt(0)
	v_mul_i32_i24_sdwa v21, v26, sext(v22) dst_sel:DWORD dst_unused:UNUSED_PAD src0_sel:BYTE_0 src1_sel:BYTE_0
	v_sub_u32_e32 v28, 0, v21
	v_cndmask_b32_e32 v21, v28, v21, vcc
	v_mul_i32_i24_sdwa v28, v26, sext(v22) dst_sel:DWORD dst_unused:UNUSED_PAD src0_sel:BYTE_1 src1_sel:BYTE_1
	v_and_b32_e32 v30, 2, v29
	v_cmp_eq_u16_e32 vcc, 0, v30
	v_sub_u32_e32 v30, 0, v28
	s_nop 0
	v_cndmask_b32_e32 v28, v30, v28, vcc
	v_add_u32_e32 v21, v28, v21
	v_mul_i32_i24_sdwa v28, v26, sext(v22) dst_sel:DWORD dst_unused:UNUSED_PAD src0_sel:BYTE_2 src1_sel:BYTE_2
	v_and_b32_e32 v30, 4, v29
	v_cmp_eq_u16_e32 vcc, 0, v30
	v_sub_u32_e32 v30, 0, v28
	v_mul_i32_i24_sdwa v22, v26, sext(v22) dst_sel:DWORD dst_unused:UNUSED_PAD src0_sel:BYTE_3 src1_sel:BYTE_3
	v_and_b32_e32 v26, 8, v29
	v_cndmask_b32_e32 v28, v30, v28, vcc
	v_cmp_eq_u16_e32 vcc, 0, v26
	v_sub_u32_e32 v26, 0, v22
	s_nop 0
	v_cndmask_b32_e32 v22, v26, v22, vcc
	v_add3_u32 v21, v21, v28, v22
	v_mul_i32_i24_sdwa v22, v27, sext(v23) dst_sel:DWORD dst_unused:UNUSED_PAD src0_sel:BYTE_0 src1_sel:BYTE_0
	v_and_b32_e32 v26, 16, v29
	v_cmp_eq_u16_e32 vcc, 0, v26
	v_sub_u32_e32 v26, 0, v22
	v_and_b32_e32 v28, 32, v29
	v_cndmask_b32_e32 v22, v26, v22, vcc
	v_mul_i32_i24_sdwa v26, v27, sext(v23) dst_sel:DWORD dst_unused:UNUSED_PAD src0_sel:BYTE_1 src1_sel:BYTE_1
	v_cmp_eq_u16_e32 vcc, 0, v28
	v_sub_u32_e32 v28, 0, v26
	s_nop 0
	v_cndmask_b32_e32 v26, v28, v26, vcc
	v_add3_u32 v21, v21, v22, v26
	v_mul_i32_i24_sdwa v22, v27, sext(v23) dst_sel:DWORD dst_unused:UNUSED_PAD src0_sel:BYTE_2 src1_sel:BYTE_2
	v_sub_u32_e32 v26, 0, v22
	v_cmp_gt_i16_e32 vcc, 0, v12
	v_mul_i32_i24_sdwa v23, v27, sext(v23) dst_sel:DWORD dst_unused:UNUSED_PAD src0_sel:BYTE_3 src1_sel:BYTE_3
	v_lshrrev_b32_e32 v27, 25, v12
	v_cndmask_b32_e32 v22, v22, v26, vcc
	v_sub_u32_e32 v26, 0, v23
	v_cmp_gt_i16_e32 vcc, 0, v29
	s_nop 1
	v_cndmask_b32_e32 v23, v23, v26, vcc
	v_add3_u32 v21, v21, v22, v23
	v_lshrrev_b32_e32 v22, 13, v12
	v_and_b32_e32 v26, 0xff8, v22
	global_load_sbyte v28, v27, s[12:13]
	global_load_dwordx2 v[22:23], v26, s[10:11]
	s_waitcnt vmcnt(1)
	v_and_b32_e32 v27, 1, v28
	s_waitcnt vmcnt(0)
	v_mul_i32_i24_sdwa v26, v22, sext(v24) dst_sel:DWORD dst_unused:UNUSED_PAD src0_sel:BYTE_0 src1_sel:BYTE_0
	v_cmp_eq_u16_e32 vcc, 0, v27
	v_sub_u32_e32 v27, 0, v26
	s_nop 0
	v_cndmask_b32_e32 v29, v27, v26, vcc
	v_mul_i32_i24_sdwa v26, v22, sext(v24) dst_sel:DWORD dst_unused:UNUSED_PAD src0_sel:BYTE_1 src1_sel:BYTE_1
	v_and_b32_e32 v27, 2, v28
	v_cmp_eq_u16_e32 vcc, 0, v27
	v_sub_u32_e32 v27, 0, v26
	s_nop 0
	v_cndmask_b32_e32 v30, v27, v26, vcc
	v_mul_i32_i24_sdwa v26, v22, sext(v24) dst_sel:DWORD dst_unused:UNUSED_PAD src0_sel:BYTE_2 src1_sel:BYTE_2
	v_and_b32_e32 v27, 4, v28
	v_cmp_eq_u16_e32 vcc, 0, v27
	v_sub_u32_e32 v27, 0, v26
	v_mul_i32_i24_sdwa v22, v22, sext(v24) dst_sel:DWORD dst_unused:UNUSED_PAD src0_sel:BYTE_3 src1_sel:BYTE_3
	v_and_b32_e32 v24, 8, v28
	v_cndmask_b32_e32 v31, v27, v26, vcc
	v_cmp_eq_u16_e32 vcc, 0, v24
	v_sub_u32_e32 v24, 0, v22
	v_add3_u32 v21, v21, v29, v30
	v_cndmask_b32_e32 v32, v24, v22, vcc
	v_mul_i32_i24_sdwa v22, v23, sext(v25) dst_sel:DWORD dst_unused:UNUSED_PAD src0_sel:BYTE_0 src1_sel:BYTE_0
	v_and_b32_e32 v24, 16, v28
	v_cmp_eq_u16_e32 vcc, 0, v24
	v_sub_u32_e32 v24, 0, v22
	v_add3_u32 v21, v21, v31, v32
	v_cndmask_b32_e32 v33, v24, v22, vcc
	v_mul_i32_i24_sdwa v22, v23, sext(v25) dst_sel:DWORD dst_unused:UNUSED_PAD src0_sel:BYTE_1 src1_sel:BYTE_1
	v_and_b32_e32 v24, 32, v28
	v_cmp_eq_u16_e32 vcc, 0, v24
	v_sub_u32_e32 v24, 0, v22
	s_nop 0
	v_cndmask_b32_e32 v34, v24, v22, vcc
	v_mul_i32_i24_sdwa v22, v23, sext(v25) dst_sel:DWORD dst_unused:UNUSED_PAD src0_sel:BYTE_2 src1_sel:BYTE_2
	v_sub_u32_e32 v24, 0, v22
	v_cmp_lt_i16_sdwa vcc, v12, v1 src0_sel:WORD_1 src1_sel:DWORD
	v_add3_u32 v21, v21, v33, v34
	s_nop 0
	v_cndmask_b32_e32 v12, v22, v24, vcc
	v_mul_i32_i24_sdwa v22, v23, sext(v25) dst_sel:DWORD dst_unused:UNUSED_PAD src0_sel:BYTE_3 src1_sel:BYTE_3
	v_sub_u32_e32 v23, 0, v22
	v_cmp_gt_i16_e32 vcc, 0, v28
	s_nop 1
	v_cndmask_b32_e32 v28, v22, v23, vcc
	v_and_b32_e32 v22, 0x1ff, v13
	v_lshlrev_b32_e32 v35, 3, v22
	global_load_sbyte v37, v36, s[12:13]
	global_load_dwordx4 v[22:25], v[8:9], off offset:20
	global_load_dwordx2 v[26:27], v35, s[10:11]
	v_add3_u32 v12, v21, v12, v28
	v_lshrrev_b16_e32 v21, 4, v20
	v_and_b32_e32 v20, 15, v20
	s_waitcnt vmcnt(2)
	v_and_b32_e32 v36, 1, v37
	v_cmp_eq_u16_e32 vcc, 0, v36
	s_waitcnt vmcnt(0)
	v_mul_i32_i24_sdwa v35, v26, sext(v22) dst_sel:DWORD dst_unused:UNUSED_PAD src0_sel:BYTE_0 src1_sel:BYTE_0
	v_sub_u32_e32 v36, 0, v35
	v_cndmask_b32_e32 v35, v36, v35, vcc
	v_mul_i32_i24_sdwa v36, v26, sext(v22) dst_sel:DWORD dst_unused:UNUSED_PAD src0_sel:BYTE_1 src1_sel:BYTE_1
	v_and_b32_e32 v38, 2, v37
	v_cmp_eq_u16_e32 vcc, 0, v38
	v_sub_u32_e32 v38, 0, v36
	s_nop 0
	v_cndmask_b32_e32 v36, v38, v36, vcc
	v_add_u32_e32 v35, v36, v35
	v_mul_i32_i24_sdwa v36, v26, sext(v22) dst_sel:DWORD dst_unused:UNUSED_PAD src0_sel:BYTE_2 src1_sel:BYTE_2
	v_and_b32_e32 v38, 4, v37
	v_cmp_eq_u16_e32 vcc, 0, v38
	v_sub_u32_e32 v38, 0, v36
	v_mul_i32_i24_sdwa v22, v26, sext(v22) dst_sel:DWORD dst_unused:UNUSED_PAD src0_sel:BYTE_3 src1_sel:BYTE_3
	v_and_b32_e32 v26, 8, v37
	v_cndmask_b32_e32 v36, v38, v36, vcc
	v_cmp_eq_u16_e32 vcc, 0, v26
	v_sub_u32_e32 v26, 0, v22
	s_nop 0
	v_cndmask_b32_e32 v22, v26, v22, vcc
	v_add3_u32 v22, v35, v36, v22
	v_mul_i32_i24_sdwa v26, v27, sext(v23) dst_sel:DWORD dst_unused:UNUSED_PAD src0_sel:BYTE_0 src1_sel:BYTE_0
	v_and_b32_e32 v35, 16, v37
	v_cmp_eq_u16_e32 vcc, 0, v35
	v_sub_u32_e32 v35, 0, v26
	v_and_b32_e32 v36, 32, v37
	v_cndmask_b32_e32 v26, v35, v26, vcc
	v_mul_i32_i24_sdwa v35, v27, sext(v23) dst_sel:DWORD dst_unused:UNUSED_PAD src0_sel:BYTE_1 src1_sel:BYTE_1
	v_cmp_eq_u16_e32 vcc, 0, v36
	v_sub_u32_e32 v36, 0, v35
	s_nop 0
	v_cndmask_b32_e32 v35, v36, v35, vcc
	v_add3_u32 v22, v22, v26, v35
	v_mul_i32_i24_sdwa v26, v27, sext(v23) dst_sel:DWORD dst_unused:UNUSED_PAD src0_sel:BYTE_2 src1_sel:BYTE_2
	v_sub_u32_e32 v35, 0, v26
	v_cmp_gt_i16_e32 vcc, 0, v13
	v_mul_i32_i24_sdwa v23, v27, sext(v23) dst_sel:DWORD dst_unused:UNUSED_PAD src0_sel:BYTE_3 src1_sel:BYTE_3
	v_sub_u32_e32 v27, 0, v23
	v_cndmask_b32_e32 v26, v26, v35, vcc
	v_cmp_gt_i16_e32 vcc, 0, v37
	v_lshrrev_b32_e32 v35, 25, v13
	s_nop 0
	v_cndmask_b32_e32 v23, v23, v27, vcc
	v_add3_u32 v26, v22, v26, v23
	v_lshrrev_b32_e32 v22, 13, v13
	v_and_b32_e32 v27, 0xff8, v22
	global_load_sbyte v36, v35, s[12:13]
	global_load_dwordx2 v[22:23], v27, s[10:11]
	s_waitcnt vmcnt(1)
	v_and_b32_e32 v35, 1, v36
	global_load_ushort v10, v[10:11], off
	s_waitcnt vmcnt(1)
	v_mul_i32_i24_sdwa v27, v22, sext(v24) dst_sel:DWORD dst_unused:UNUSED_PAD src0_sel:BYTE_0 src1_sel:BYTE_0
	global_load_ushort v8, v[8:9], off
	v_cmp_eq_u16_e32 vcc, 0, v35
	v_sub_u32_e32 v35, 0, v27
	v_and_b32_e32 v37, 2, v36
	v_cndmask_b32_e32 v27, v35, v27, vcc
	v_mul_i32_i24_sdwa v35, v22, sext(v24) dst_sel:DWORD dst_unused:UNUSED_PAD src0_sel:BYTE_1 src1_sel:BYTE_1
	v_cmp_eq_u16_e32 vcc, 0, v37
	v_sub_u32_e32 v37, 0, v35
	v_cvt_f32_ubyte0_e32 v11, v21
	v_cndmask_b32_e32 v35, v37, v35, vcc
	v_add3_u32 v26, v26, v27, v35
	v_mul_i32_i24_sdwa v27, v22, sext(v24) dst_sel:DWORD dst_unused:UNUSED_PAD src0_sel:BYTE_2 src1_sel:BYTE_2
	v_and_b32_e32 v35, 4, v36
	v_cmp_eq_u16_e32 vcc, 0, v35
	v_sub_u32_e32 v35, 0, v27
	v_mul_i32_i24_sdwa v22, v22, sext(v24) dst_sel:DWORD dst_unused:UNUSED_PAD src0_sel:BYTE_3 src1_sel:BYTE_3
	v_and_b32_e32 v24, 8, v36
	v_cndmask_b32_e32 v27, v35, v27, vcc
	v_cmp_eq_u16_e32 vcc, 0, v24
	v_sub_u32_e32 v24, 0, v22
	v_cvt_f32_ubyte0_e32 v9, v20
	v_cndmask_b32_e32 v22, v24, v22, vcc
	v_add3_u32 v22, v26, v27, v22
	v_mul_i32_i24_sdwa v24, v23, sext(v25) dst_sel:DWORD dst_unused:UNUSED_PAD src0_sel:BYTE_0 src1_sel:BYTE_0
	v_and_b32_e32 v26, 16, v36
	v_cmp_eq_u16_e32 vcc, 0, v26
	v_sub_u32_e32 v26, 0, v24
	v_and_b32_e32 v27, 32, v36
	v_cndmask_b32_e32 v24, v26, v24, vcc
	v_mul_i32_i24_sdwa v26, v23, sext(v25) dst_sel:DWORD dst_unused:UNUSED_PAD src0_sel:BYTE_1 src1_sel:BYTE_1
	v_cmp_eq_u16_e32 vcc, 0, v27
	v_sub_u32_e32 v27, 0, v26
	v_add_f32_e32 v11, 0.5, v11
	v_cndmask_b32_e32 v26, v27, v26, vcc
	v_add3_u32 v22, v22, v24, v26
	v_mul_i32_i24_sdwa v24, v23, sext(v25) dst_sel:DWORD dst_unused:UNUSED_PAD src0_sel:BYTE_2 src1_sel:BYTE_2
	v_sub_u32_e32 v26, 0, v24
	v_cmp_lt_i16_sdwa vcc, v13, v1 src0_sel:WORD_1 src1_sel:DWORD
	v_mul_i32_i24_sdwa v23, v23, sext(v25) dst_sel:DWORD dst_unused:UNUSED_PAD src0_sel:BYTE_3 src1_sel:BYTE_3
	v_add_f32_e32 v9, 0.5, v9
	v_cndmask_b32_e32 v13, v24, v26, vcc
	v_sub_u32_e32 v24, 0, v23
	v_cmp_gt_i16_e32 vcc, 0, v36
	s_waitcnt vmcnt(1)
	v_cvt_f32_f16_e32 v10, v10
	v_cndmask_b32_e32 v23, v23, v24, vcc
	s_waitcnt vmcnt(0)
	v_cvt_f32_f16_e32 v8, v8
	v_add3_u32 v13, v22, v13, v23
	v_cmp_le_u32_e32 vcc, s2, v16
	s_or_b64 s[0:1], vcc, s[0:1]
	v_mul_f32_e32 v8, v10, v8
	v_cvt_f32_i32_e32 v10, v12
	v_cvt_f32_i32_e32 v12, v13
	v_mul_f32_e32 v8, 0x3e800000, v8
	v_mul_f32_e32 v11, v11, v12
	v_fmac_f32_e32 v11, v9, v10
	v_fmac_f32_e32 v17, v8, v11
	s_andn2_b64 exec, exec, s[0:1]
	s_cbranch_execnz .LBB109_3
; %bb.4:
	s_or_b64 exec, exec, s[0:1]
.LBB109_5:
	s_or_b64 exec, exec, s[8:9]
	v_mbcnt_lo_u32_b32 v0, -1, 0
	v_mbcnt_hi_u32_b32 v1, -1, v0
	v_and_b32_e32 v0, 64, v1
	v_add_u32_e32 v2, 64, v0
	v_xor_b32_e32 v0, 32, v1
	v_cmp_lt_i32_e32 vcc, v0, v2
	v_xor_b32_e32 v3, 16, v1
	v_xor_b32_e32 v4, 8, v1
	v_cndmask_b32_e32 v0, v1, v0, vcc
	v_lshlrev_b32_e32 v0, 2, v0
	ds_bpermute_b32 v0, v0, v17
	v_cmp_lt_i32_e32 vcc, v3, v2
	s_waitcnt lgkmcnt(0)
	v_add_f32_e32 v0, v17, v0
	v_cndmask_b32_e32 v3, v1, v3, vcc
	v_lshlrev_b32_e32 v3, 2, v3
	ds_bpermute_b32 v3, v3, v0
	v_cmp_lt_i32_e32 vcc, v4, v2
	s_waitcnt lgkmcnt(0)
	v_add_f32_e32 v0, v0, v3
	v_cndmask_b32_e32 v3, v1, v4, vcc
	v_lshlrev_b32_e32 v3, 2, v3
	ds_bpermute_b32 v3, v3, v0
	v_xor_b32_e32 v4, 4, v1
	v_cmp_lt_i32_e32 vcc, v4, v2
	s_waitcnt lgkmcnt(0)
	v_add_f32_e32 v0, v0, v3
	v_cndmask_b32_e32 v3, v1, v4, vcc
	v_lshlrev_b32_e32 v3, 2, v3
	ds_bpermute_b32 v3, v3, v0
	v_xor_b32_e32 v4, 2, v1
	;; [unrolled: 7-line block ×3, first 2 shown]
	v_cmp_lt_i32_e32 vcc, v4, v2
	s_waitcnt lgkmcnt(0)
	v_add_f32_e32 v0, v0, v3
	v_cndmask_b32_e32 v1, v1, v4, vcc
	v_lshlrev_b32_e32 v1, 2, v1
	ds_bpermute_b32 v1, v1, v0
	v_cmp_eq_u32_e32 vcc, 0, v15
	s_and_b64 exec, exec, vcc
	s_cbranch_execz .LBB109_7
; %bb.6:
	s_waitcnt lgkmcnt(0)
	v_add_f32_e32 v0, v0, v1
	v_bfe_u32 v1, v0, 16, 1
	s_movk_i32 s0, 0x7fff
	v_add3_u32 v1, v0, v1, s0
	v_lshrrev_b32_e32 v1, 16, v1
	v_mov_b32_e32 v2, 0x7fc0
	v_cmp_o_f32_e32 vcc, v0, v0
	s_mul_i32 s3, s3, s5
	v_add_u32_e32 v0, s3, v14
	v_cndmask_b32_e32 v2, v2, v1, vcc
	v_mov_b32_e32 v1, 0
	v_lshl_add_u64 v[0:1], v[0:1], 1, s[6:7]
	global_store_short v[0:1], v2, off
.LBB109_7:
	s_endpgm
	.section	.rodata,"a",@progbits
	.p2align	6, 0x0
	.amdhsa_kernel _ZL13mul_mat_vec_qIN3c108BFloat16ELi256ELi8E12block_iq2_xsLi1EXadL_ZL19vec_dot_iq2_xs_q8_1PKvPK10block_q8_1RKiEEEvS4_S4_PT_iii
		.amdhsa_group_segment_fixed_size 0
		.amdhsa_private_segment_fixed_size 0
		.amdhsa_kernarg_size 296
		.amdhsa_user_sgpr_count 2
		.amdhsa_user_sgpr_dispatch_ptr 0
		.amdhsa_user_sgpr_queue_ptr 0
		.amdhsa_user_sgpr_kernarg_segment_ptr 1
		.amdhsa_user_sgpr_dispatch_id 0
		.amdhsa_user_sgpr_kernarg_preload_length 0
		.amdhsa_user_sgpr_kernarg_preload_offset 0
		.amdhsa_user_sgpr_private_segment_size 0
		.amdhsa_uses_dynamic_stack 0
		.amdhsa_enable_private_segment 0
		.amdhsa_system_sgpr_workgroup_id_x 1
		.amdhsa_system_sgpr_workgroup_id_y 1
		.amdhsa_system_sgpr_workgroup_id_z 0
		.amdhsa_system_sgpr_workgroup_info 0
		.amdhsa_system_vgpr_workitem_id 1
		.amdhsa_next_free_vgpr 39
		.amdhsa_next_free_sgpr 16
		.amdhsa_accum_offset 40
		.amdhsa_reserve_vcc 1
		.amdhsa_float_round_mode_32 0
		.amdhsa_float_round_mode_16_64 0
		.amdhsa_float_denorm_mode_32 3
		.amdhsa_float_denorm_mode_16_64 3
		.amdhsa_dx10_clamp 1
		.amdhsa_ieee_mode 1
		.amdhsa_fp16_overflow 0
		.amdhsa_tg_split 0
		.amdhsa_exception_fp_ieee_invalid_op 0
		.amdhsa_exception_fp_denorm_src 0
		.amdhsa_exception_fp_ieee_div_zero 0
		.amdhsa_exception_fp_ieee_overflow 0
		.amdhsa_exception_fp_ieee_underflow 0
		.amdhsa_exception_fp_ieee_inexact 0
		.amdhsa_exception_int_div_zero 0
	.end_amdhsa_kernel
	.section	.text._ZL13mul_mat_vec_qIN3c108BFloat16ELi256ELi8E12block_iq2_xsLi1EXadL_ZL19vec_dot_iq2_xs_q8_1PKvPK10block_q8_1RKiEEEvS4_S4_PT_iii,"axG",@progbits,_ZL13mul_mat_vec_qIN3c108BFloat16ELi256ELi8E12block_iq2_xsLi1EXadL_ZL19vec_dot_iq2_xs_q8_1PKvPK10block_q8_1RKiEEEvS4_S4_PT_iii,comdat
.Lfunc_end109:
	.size	_ZL13mul_mat_vec_qIN3c108BFloat16ELi256ELi8E12block_iq2_xsLi1EXadL_ZL19vec_dot_iq2_xs_q8_1PKvPK10block_q8_1RKiEEEvS4_S4_PT_iii, .Lfunc_end109-_ZL13mul_mat_vec_qIN3c108BFloat16ELi256ELi8E12block_iq2_xsLi1EXadL_ZL19vec_dot_iq2_xs_q8_1PKvPK10block_q8_1RKiEEEvS4_S4_PT_iii
                                        ; -- End function
	.section	.AMDGPU.csdata,"",@progbits
; Kernel info:
; codeLenInByte = 1836
; NumSgprs: 22
; NumVgprs: 39
; NumAgprs: 0
; TotalNumVgprs: 39
; ScratchSize: 0
; MemoryBound: 0
; FloatMode: 240
; IeeeMode: 1
; LDSByteSize: 0 bytes/workgroup (compile time only)
; SGPRBlocks: 2
; VGPRBlocks: 4
; NumSGPRsForWavesPerEU: 22
; NumVGPRsForWavesPerEU: 39
; AccumOffset: 40
; Occupancy: 8
; WaveLimiterHint : 0
; COMPUTE_PGM_RSRC2:SCRATCH_EN: 0
; COMPUTE_PGM_RSRC2:USER_SGPR: 2
; COMPUTE_PGM_RSRC2:TRAP_HANDLER: 0
; COMPUTE_PGM_RSRC2:TGID_X_EN: 1
; COMPUTE_PGM_RSRC2:TGID_Y_EN: 1
; COMPUTE_PGM_RSRC2:TGID_Z_EN: 0
; COMPUTE_PGM_RSRC2:TIDIG_COMP_CNT: 1
; COMPUTE_PGM_RSRC3_GFX90A:ACCUM_OFFSET: 9
; COMPUTE_PGM_RSRC3_GFX90A:TG_SPLIT: 0
	.section	.text._ZL13mul_mat_vec_qIN3c108BFloat16ELi256ELi8E13block_iq3_xxsLi1EXadL_ZL20vec_dot_iq3_xxs_q8_1PKvPK10block_q8_1RKiEEEvS4_S4_PT_iii,"axG",@progbits,_ZL13mul_mat_vec_qIN3c108BFloat16ELi256ELi8E13block_iq3_xxsLi1EXadL_ZL20vec_dot_iq3_xxs_q8_1PKvPK10block_q8_1RKiEEEvS4_S4_PT_iii,comdat
	.globl	_ZL13mul_mat_vec_qIN3c108BFloat16ELi256ELi8E13block_iq3_xxsLi1EXadL_ZL20vec_dot_iq3_xxs_q8_1PKvPK10block_q8_1RKiEEEvS4_S4_PT_iii ; -- Begin function _ZL13mul_mat_vec_qIN3c108BFloat16ELi256ELi8E13block_iq3_xxsLi1EXadL_ZL20vec_dot_iq3_xxs_q8_1PKvPK10block_q8_1RKiEEEvS4_S4_PT_iii
	.p2align	8
	.type	_ZL13mul_mat_vec_qIN3c108BFloat16ELi256ELi8E13block_iq3_xxsLi1EXadL_ZL20vec_dot_iq3_xxs_q8_1PKvPK10block_q8_1RKiEEEvS4_S4_PT_iii,@function
_ZL13mul_mat_vec_qIN3c108BFloat16ELi256ELi8E13block_iq3_xxsLi1EXadL_ZL20vec_dot_iq3_xxs_q8_1PKvPK10block_q8_1RKiEEEvS4_S4_PT_iii: ; @_ZL13mul_mat_vec_qIN3c108BFloat16ELi256ELi8E13block_iq3_xxsLi1EXadL_ZL20vec_dot_iq3_xxs_q8_1PKvPK10block_q8_1RKiEEEvS4_S4_PT_iii
; %bb.0:
	s_load_dword s8, s[0:1], 0x34
	s_load_dwordx4 s[4:7], s[0:1], 0x18
	v_bfe_u32 v1, v0, 10, 10
	s_waitcnt lgkmcnt(0)
	s_lshr_b32 s7, s8, 16
	s_mul_i32 s2, s2, s7
	v_add_u32_e32 v18, s2, v1
	s_cmp_lt_u32 s3, s6
	v_cmp_gt_u32_e32 vcc, s5, v18
	s_cselect_b64 s[6:7], -1, 0
	s_and_b64 s[6:7], s[6:7], vcc
	s_and_saveexec_b64 s[8:9], s[6:7]
	s_cbranch_execz .LBB110_7
; %bb.1:
	s_load_dwordx2 s[6:7], s[0:1], 0x10
	s_ashr_i32 s2, s4, 31
	s_lshr_b32 s2, s2, 24
	s_add_i32 s2, s4, s2
	v_and_b32_e32 v19, 0x3ff, v0
	s_ashr_i32 s2, s2, 8
	v_lshrrev_b32_e32 v20, 3, v19
	v_cmp_gt_u32_e32 vcc, s2, v20
	v_mov_b32_e32 v21, 0
	s_and_saveexec_b64 s[8:9], vcc
	s_cbranch_execz .LBB110_5
; %bb.2:
	s_load_dwordx4 s[12:15], s[0:1], 0x0
	s_add_i32 s0, s4, 0x1ff
	s_ashr_i32 s1, s0, 31
	s_lshr_b32 s1, s1, 23
	s_add_i32 s0, s0, s1
	s_ashr_i32 s0, s0, 9
	v_and_b32_e32 v1, 7, v19
	s_mul_i32 s4, s3, s0
	v_lshlrev_b32_e32 v8, 3, v1
	v_mov_b32_e32 v9, 0
	v_lshlrev_b32_e32 v0, 1, v1
	s_waitcnt lgkmcnt(0)
	v_mad_u64_u32 v[10:11], s[0:1], v1, 36, s[14:15]
	v_lshlrev_b32_e32 v1, 3, v20
	v_mul_lo_u32 v22, v18, s2
	v_lshl_add_u32 v23, s4, 4, v1
	s_mov_b64 s[0:1], 0
	s_movk_i32 s4, 0x62
	v_mov_b64_e32 v[12:13], s[12:13]
	v_lshlrev_b32_e32 v14, 1, v0
	v_mov_b32_e32 v15, v9
	s_mov_b32 s14, 0xffff
	s_mov_b32 s15, 0xc060c00
	v_mov_b32_e32 v24, 2
	v_mov_b32_e32 v21, v9
	s_getpc_b64 s[12:13]
	s_add_u32 s12, s12, _ZL11iq3xxs_grid@rel32@lo+4
	s_addc_u32 s13, s13, _ZL11iq3xxs_grid@rel32@hi+12
.LBB110_3:                              ; =>This Inner Loop Header: Depth=1
	v_add_u32_e32 v0, v22, v20
	v_mad_i64_i32 v[26:27], s[16:17], v0, s4, v[12:13]
	v_mad_i64_i32 v[16:17], s[10:11], v23, 36, v[10:11]
	v_lshl_add_u64 v[28:29], v[26:27], 0, v[14:15]
	global_load_dword v32, v[16:17], off offset:32
	global_load_dwordx4 v[4:7], v[16:17], off
	global_load_dwordx4 v[0:3], v[16:17], off offset:16
	v_lshl_add_u64 v[16:17], v[26:27], 0, v[8:9]
	global_load_dword v33, v[28:29], off offset:66
	global_load_dwordx2 v[30:31], v[16:17], off offset:2
	global_load_ushort v34, v[26:27], off
	s_getpc_b64 s[10:11]
	s_add_u32 s10, s10, _ZL8ksigns64@rel32@lo+4
	s_addc_u32 s11, s11, _ZL8ksigns64@rel32@hi+12
	v_mov_b32_e32 v25, 0
	v_add_u32_e32 v20, 8, v20
	v_cmp_le_u32_e32 vcc, s2, v20
	v_add_u32_e32 v23, 64, v23
	s_or_b64 s[0:1], vcc, s[0:1]
	s_waitcnt vmcnt(4)
	v_cvt_f32_f16_e32 v4, v4
	s_waitcnt vmcnt(2)
	v_and_b32_e32 v27, 0x7f, v33
	v_and_b32_e32 v16, 0xffff0000, v33
	s_waitcnt vmcnt(1)
	v_lshlrev_b32_sdwa v17, v24, v30 dst_sel:DWORD dst_unused:UNUSED_PAD src0_sel:DWORD src1_sel:BYTE_0
	v_lshlrev_b32_sdwa v26, v24, v30 dst_sel:DWORD dst_unused:UNUSED_PAD src0_sel:DWORD src1_sel:BYTE_1
	v_lshlrev_b32_sdwa v28, v24, v30 dst_sel:DWORD dst_unused:UNUSED_PAD src0_sel:DWORD src1_sel:BYTE_2
	v_lshlrev_b32_sdwa v29, v24, v30 dst_sel:DWORD dst_unused:UNUSED_PAD src0_sel:DWORD src1_sel:BYTE_3
	v_lshrrev_b32_e32 v30, 4, v33
	v_lshlrev_b32_sdwa v35, v24, v31 dst_sel:DWORD dst_unused:UNUSED_PAD src0_sel:DWORD src1_sel:BYTE_0
	v_lshlrev_b32_sdwa v36, v24, v31 dst_sel:DWORD dst_unused:UNUSED_PAD src0_sel:DWORD src1_sel:BYTE_1
	v_lshlrev_b32_sdwa v37, v24, v31 dst_sel:DWORD dst_unused:UNUSED_PAD src0_sel:DWORD src1_sel:BYTE_2
	v_lshrrev_b32_e32 v38, 18, v33
	v_lshlrev_b32_e32 v40, 3, v27
	v_lshlrev_b32_sdwa v31, v24, v31 dst_sel:DWORD dst_unused:UNUSED_PAD src0_sel:DWORD src1_sel:BYTE_3
	v_lshrrev_b32_e32 v39, 28, v33
	v_and_or_b32 v33, v33, s14, v16
	global_load_dword v41, v17, s[12:13]
	global_load_dword v42, v26, s[12:13]
	v_and_b32_e32 v30, 0x3f8, v30
	global_load_dword v43, v28, s[12:13]
	global_load_dword v44, v29, s[12:13]
	;; [unrolled: 1-line block ×4, first 2 shown]
	v_and_b32_e32 v35, 0x3f8, v38
	global_load_dword v36, v37, s[12:13]
	global_load_dword v38, v31, s[12:13]
	global_load_dwordx2 v[16:17], v40, s[10:11]
	global_load_dwordx2 v[26:27], v30, s[10:11]
	global_load_dwordx2 v[28:29], v35, s[10:11]
	v_lshrrev_b32_e32 v30, 11, v33
	v_cvt_f32_ubyte0_e32 v31, v39
	v_and_b32_e32 v30, 0x3f8, v30
	v_add_f32_e32 v33, 0.5, v31
	global_load_dwordx2 v[30:31], v30, s[10:11]
	s_waitcnt vmcnt(12)
	v_cvt_f32_f16_e32 v34, v34
	s_waitcnt vmcnt(3)
	v_and_b32_e32 v37, 0xff000000, v16
	v_xor_b32_e32 v35, v16, v41
	v_and_b32_e32 v39, 0xff0000, v16
	v_and_b32_e32 v40, 0xff00, v16
	v_xor_b32_e32 v41, v17, v42
	v_and_b32_e32 v42, 0xff000000, v17
	v_and_b32_e32 v47, 0xff0000, v17
	;; [unrolled: 1-line block ×3, first 2 shown]
	s_waitcnt vmcnt(2)
	v_xor_b32_e32 v43, v26, v43
	v_and_b32_e32 v49, 0xff000000, v26
	v_and_b32_e32 v50, 0xff0000, v26
	;; [unrolled: 1-line block ×3, first 2 shown]
	v_xor_b32_e32 v44, v27, v44
	v_and_b32_e32 v52, 0xff000000, v27
	v_and_b32_e32 v53, 0xff0000, v27
	;; [unrolled: 1-line block ×3, first 2 shown]
	s_waitcnt vmcnt(1)
	v_xor_b32_e32 v36, v28, v36
	v_and_b32_e32 v55, 0xff000000, v28
	v_and_b32_e32 v56, 0xff0000, v28
	;; [unrolled: 1-line block ×3, first 2 shown]
	v_xor_b32_e32 v38, v29, v38
	v_and_b32_e32 v58, 0xff000000, v29
	v_and_b32_e32 v59, 0xff0000, v29
	;; [unrolled: 1-line block ×3, first 2 shown]
	v_sub_u32_e32 v37, v35, v37
	v_sub_u32_e32 v39, v35, v39
	;; [unrolled: 1-line block ×24, first 2 shown]
	v_and_b32_e32 v37, 0xff000000, v37
	v_and_b32_e32 v38, 0xff00, v40
	v_perm_b32 v16, v39, v16, s15
	v_and_b32_e32 v35, 0xff000000, v35
	v_and_b32_e32 v39, 0xff00, v47
	v_perm_b32 v17, v42, v17, s15
	v_or3_b32 v16, v16, v37, v38
	v_and_b32_e32 v40, 0xff000000, v41
	v_and_b32_e32 v41, 0xff00, v49
	v_perm_b32 v26, v48, v26, s15
	s_waitcnt vmcnt(0)
	v_xor_b32_e32 v45, v30, v45
	v_and_b32_e32 v47, 0xff000000, v30
	v_and_b32_e32 v48, 0xff0000, v30
	;; [unrolled: 1-line block ×3, first 2 shown]
	v_or3_b32 v17, v17, v35, v39
	v_dot4c_i32_i8_e32 v25, v16, v5
	v_and_b32_e32 v42, 0xff000000, v43
	v_and_b32_e32 v43, 0xff00, v51
	v_perm_b32 v27, v50, v27, s15
	v_xor_b32_e32 v46, v31, v46
	v_and_b32_e32 v50, 0xff000000, v31
	v_and_b32_e32 v51, 0xff0000, v31
	;; [unrolled: 1-line block ×3, first 2 shown]
	v_or3_b32 v26, v26, v40, v41
	v_sub_u32_e32 v35, v45, v47
	v_sub_u32_e32 v37, v45, v48
	;; [unrolled: 1-line block ×4, first 2 shown]
	v_dot4c_i32_i8_e32 v25, v17, v6
	v_perm_b32 v28, v52, v28, s15
	v_and_b32_e32 v36, 0xff000000, v36
	v_and_b32_e32 v52, 0xff00, v55
	v_perm_b32 v29, v54, v29, s15
	v_or3_b32 v27, v27, v42, v43
	v_sub_u32_e32 v39, v46, v50
	v_sub_u32_e32 v40, v46, v51
	;; [unrolled: 1-line block ×4, first 2 shown]
	v_and_b32_e32 v5, 0xff000000, v35
	v_and_b32_e32 v16, 0xff00, v38
	v_perm_b32 v30, v37, v30, s15
	v_dot4c_i32_i8_e32 v25, v26, v7
	v_or3_b32 v29, v29, v36, v52
	v_and_b32_e32 v35, 0xff000000, v39
	v_and_b32_e32 v36, 0xff00, v41
	v_perm_b32 v31, v40, v31, s15
	v_or3_b32 v5, v30, v5, v16
	v_dot4c_i32_i8_e32 v25, v27, v0
	v_and_b32_e32 v44, 0xff000000, v44
	v_and_b32_e32 v53, 0xff00, v53
	v_or3_b32 v6, v31, v35, v36
	v_dot4c_i32_i8_e32 v25, v5, v1
	v_or3_b32 v28, v28, v44, v53
	v_dot4c_i32_i8_e32 v25, v6, v2
	v_dot4c_i32_i8_e32 v25, v28, v3
	;; [unrolled: 1-line block ×3, first 2 shown]
	v_mul_f32_e32 v1, v33, v34
	v_mul_f32_e32 v1, v1, v4
	v_mul_f32_e32 v1, 0.5, v1
	v_cvt_f32_i32_e32 v0, v25
	v_fmac_f32_e32 v21, v1, v0
	s_andn2_b64 exec, exec, s[0:1]
	s_cbranch_execnz .LBB110_3
; %bb.4:
	s_or_b64 exec, exec, s[0:1]
.LBB110_5:
	s_or_b64 exec, exec, s[8:9]
	v_mbcnt_lo_u32_b32 v0, -1, 0
	v_mbcnt_hi_u32_b32 v1, -1, v0
	v_and_b32_e32 v0, 64, v1
	v_add_u32_e32 v2, 64, v0
	v_xor_b32_e32 v0, 32, v1
	v_cmp_lt_i32_e32 vcc, v0, v2
	v_xor_b32_e32 v3, 16, v1
	v_xor_b32_e32 v4, 8, v1
	v_cndmask_b32_e32 v0, v1, v0, vcc
	v_lshlrev_b32_e32 v0, 2, v0
	ds_bpermute_b32 v0, v0, v21
	v_cmp_lt_i32_e32 vcc, v3, v2
	s_waitcnt lgkmcnt(0)
	v_add_f32_e32 v0, v21, v0
	v_cndmask_b32_e32 v3, v1, v3, vcc
	v_lshlrev_b32_e32 v3, 2, v3
	ds_bpermute_b32 v3, v3, v0
	v_cmp_lt_i32_e32 vcc, v4, v2
	s_waitcnt lgkmcnt(0)
	v_add_f32_e32 v0, v0, v3
	v_cndmask_b32_e32 v3, v1, v4, vcc
	v_lshlrev_b32_e32 v3, 2, v3
	ds_bpermute_b32 v3, v3, v0
	v_xor_b32_e32 v4, 4, v1
	v_cmp_lt_i32_e32 vcc, v4, v2
	s_waitcnt lgkmcnt(0)
	v_add_f32_e32 v0, v0, v3
	v_cndmask_b32_e32 v3, v1, v4, vcc
	v_lshlrev_b32_e32 v3, 2, v3
	ds_bpermute_b32 v3, v3, v0
	v_xor_b32_e32 v4, 2, v1
	;; [unrolled: 7-line block ×3, first 2 shown]
	v_cmp_lt_i32_e32 vcc, v4, v2
	s_waitcnt lgkmcnt(0)
	v_add_f32_e32 v0, v0, v3
	v_cndmask_b32_e32 v1, v1, v4, vcc
	v_lshlrev_b32_e32 v1, 2, v1
	ds_bpermute_b32 v1, v1, v0
	v_cmp_eq_u32_e32 vcc, 0, v19
	s_and_b64 exec, exec, vcc
	s_cbranch_execz .LBB110_7
; %bb.6:
	s_waitcnt lgkmcnt(0)
	v_add_f32_e32 v0, v0, v1
	v_bfe_u32 v1, v0, 16, 1
	s_movk_i32 s0, 0x7fff
	v_add3_u32 v1, v0, v1, s0
	v_lshrrev_b32_e32 v1, 16, v1
	v_mov_b32_e32 v2, 0x7fc0
	v_cmp_o_f32_e32 vcc, v0, v0
	s_mul_i32 s3, s3, s5
	v_add_u32_e32 v0, s3, v18
	v_cndmask_b32_e32 v2, v2, v1, vcc
	v_mov_b32_e32 v1, 0
	v_lshl_add_u64 v[0:1], v[0:1], 1, s[6:7]
	global_store_short v[0:1], v2, off
.LBB110_7:
	s_endpgm
	.section	.rodata,"a",@progbits
	.p2align	6, 0x0
	.amdhsa_kernel _ZL13mul_mat_vec_qIN3c108BFloat16ELi256ELi8E13block_iq3_xxsLi1EXadL_ZL20vec_dot_iq3_xxs_q8_1PKvPK10block_q8_1RKiEEEvS4_S4_PT_iii
		.amdhsa_group_segment_fixed_size 0
		.amdhsa_private_segment_fixed_size 0
		.amdhsa_kernarg_size 296
		.amdhsa_user_sgpr_count 2
		.amdhsa_user_sgpr_dispatch_ptr 0
		.amdhsa_user_sgpr_queue_ptr 0
		.amdhsa_user_sgpr_kernarg_segment_ptr 1
		.amdhsa_user_sgpr_dispatch_id 0
		.amdhsa_user_sgpr_kernarg_preload_length 0
		.amdhsa_user_sgpr_kernarg_preload_offset 0
		.amdhsa_user_sgpr_private_segment_size 0
		.amdhsa_uses_dynamic_stack 0
		.amdhsa_enable_private_segment 0
		.amdhsa_system_sgpr_workgroup_id_x 1
		.amdhsa_system_sgpr_workgroup_id_y 1
		.amdhsa_system_sgpr_workgroup_id_z 0
		.amdhsa_system_sgpr_workgroup_info 0
		.amdhsa_system_vgpr_workitem_id 1
		.amdhsa_next_free_vgpr 61
		.amdhsa_next_free_sgpr 18
		.amdhsa_accum_offset 64
		.amdhsa_reserve_vcc 1
		.amdhsa_float_round_mode_32 0
		.amdhsa_float_round_mode_16_64 0
		.amdhsa_float_denorm_mode_32 3
		.amdhsa_float_denorm_mode_16_64 3
		.amdhsa_dx10_clamp 1
		.amdhsa_ieee_mode 1
		.amdhsa_fp16_overflow 0
		.amdhsa_tg_split 0
		.amdhsa_exception_fp_ieee_invalid_op 0
		.amdhsa_exception_fp_denorm_src 0
		.amdhsa_exception_fp_ieee_div_zero 0
		.amdhsa_exception_fp_ieee_overflow 0
		.amdhsa_exception_fp_ieee_underflow 0
		.amdhsa_exception_fp_ieee_inexact 0
		.amdhsa_exception_int_div_zero 0
	.end_amdhsa_kernel
	.section	.text._ZL13mul_mat_vec_qIN3c108BFloat16ELi256ELi8E13block_iq3_xxsLi1EXadL_ZL20vec_dot_iq3_xxs_q8_1PKvPK10block_q8_1RKiEEEvS4_S4_PT_iii,"axG",@progbits,_ZL13mul_mat_vec_qIN3c108BFloat16ELi256ELi8E13block_iq3_xxsLi1EXadL_ZL20vec_dot_iq3_xxs_q8_1PKvPK10block_q8_1RKiEEEvS4_S4_PT_iii,comdat
.Lfunc_end110:
	.size	_ZL13mul_mat_vec_qIN3c108BFloat16ELi256ELi8E13block_iq3_xxsLi1EXadL_ZL20vec_dot_iq3_xxs_q8_1PKvPK10block_q8_1RKiEEEvS4_S4_PT_iii, .Lfunc_end110-_ZL13mul_mat_vec_qIN3c108BFloat16ELi256ELi8E13block_iq3_xxsLi1EXadL_ZL20vec_dot_iq3_xxs_q8_1PKvPK10block_q8_1RKiEEEvS4_S4_PT_iii
                                        ; -- End function
	.section	.AMDGPU.csdata,"",@progbits
; Kernel info:
; codeLenInByte = 1640
; NumSgprs: 24
; NumVgprs: 61
; NumAgprs: 0
; TotalNumVgprs: 61
; ScratchSize: 0
; MemoryBound: 0
; FloatMode: 240
; IeeeMode: 1
; LDSByteSize: 0 bytes/workgroup (compile time only)
; SGPRBlocks: 2
; VGPRBlocks: 7
; NumSGPRsForWavesPerEU: 24
; NumVGPRsForWavesPerEU: 61
; AccumOffset: 64
; Occupancy: 8
; WaveLimiterHint : 0
; COMPUTE_PGM_RSRC2:SCRATCH_EN: 0
; COMPUTE_PGM_RSRC2:USER_SGPR: 2
; COMPUTE_PGM_RSRC2:TRAP_HANDLER: 0
; COMPUTE_PGM_RSRC2:TGID_X_EN: 1
; COMPUTE_PGM_RSRC2:TGID_Y_EN: 1
; COMPUTE_PGM_RSRC2:TGID_Z_EN: 0
; COMPUTE_PGM_RSRC2:TIDIG_COMP_CNT: 1
; COMPUTE_PGM_RSRC3_GFX90A:ACCUM_OFFSET: 15
; COMPUTE_PGM_RSRC3_GFX90A:TG_SPLIT: 0
	.section	.text._ZL13mul_mat_vec_qIN3c108BFloat16ELi256ELi8E11block_iq1_sLi1EXadL_ZL18vec_dot_iq1_s_q8_1PKvPK10block_q8_1RKiEEEvS4_S4_PT_iii,"axG",@progbits,_ZL13mul_mat_vec_qIN3c108BFloat16ELi256ELi8E11block_iq1_sLi1EXadL_ZL18vec_dot_iq1_s_q8_1PKvPK10block_q8_1RKiEEEvS4_S4_PT_iii,comdat
	.globl	_ZL13mul_mat_vec_qIN3c108BFloat16ELi256ELi8E11block_iq1_sLi1EXadL_ZL18vec_dot_iq1_s_q8_1PKvPK10block_q8_1RKiEEEvS4_S4_PT_iii ; -- Begin function _ZL13mul_mat_vec_qIN3c108BFloat16ELi256ELi8E11block_iq1_sLi1EXadL_ZL18vec_dot_iq1_s_q8_1PKvPK10block_q8_1RKiEEEvS4_S4_PT_iii
	.p2align	8
	.type	_ZL13mul_mat_vec_qIN3c108BFloat16ELi256ELi8E11block_iq1_sLi1EXadL_ZL18vec_dot_iq1_s_q8_1PKvPK10block_q8_1RKiEEEvS4_S4_PT_iii,@function
_ZL13mul_mat_vec_qIN3c108BFloat16ELi256ELi8E11block_iq1_sLi1EXadL_ZL18vec_dot_iq1_s_q8_1PKvPK10block_q8_1RKiEEEvS4_S4_PT_iii: ; @_ZL13mul_mat_vec_qIN3c108BFloat16ELi256ELi8E11block_iq1_sLi1EXadL_ZL18vec_dot_iq1_s_q8_1PKvPK10block_q8_1RKiEEEvS4_S4_PT_iii
; %bb.0:
	s_load_dword s8, s[0:1], 0x34
	s_load_dwordx4 s[4:7], s[0:1], 0x18
	v_bfe_u32 v1, v0, 10, 10
	s_waitcnt lgkmcnt(0)
	s_lshr_b32 s7, s8, 16
	s_mul_i32 s2, s2, s7
	v_add_u32_e32 v1, s2, v1
	s_cmp_lt_u32 s3, s6
	v_cmp_gt_u32_e32 vcc, s5, v1
	s_cselect_b64 s[6:7], -1, 0
	s_and_b64 s[6:7], s[6:7], vcc
	s_and_saveexec_b64 s[8:9], s[6:7]
	s_cbranch_execz .LBB111_7
; %bb.1:
	s_load_dwordx2 s[6:7], s[0:1], 0x10
	s_ashr_i32 s2, s4, 31
	s_lshr_b32 s2, s2, 24
	s_add_i32 s2, s4, s2
	v_and_b32_e32 v6, 0x3ff, v0
	s_ashr_i32 s2, s2, 8
	v_lshrrev_b32_e32 v7, 3, v6
	v_cmp_gt_u32_e32 vcc, s2, v7
	v_mov_b32_e32 v8, 0
	s_and_saveexec_b64 s[12:13], vcc
	s_cbranch_execz .LBB111_5
; %bb.2:
	s_load_dwordx4 s[8:11], s[0:1], 0x0
	s_add_i32 s0, s4, 0x1ff
	s_ashr_i32 s1, s0, 31
	s_lshr_b32 s1, s1, 23
	s_add_i32 s0, s0, s1
	s_ashr_i32 s0, s0, 9
	v_and_b32_e32 v0, 7, v6
	s_mul_i32 s0, s3, s0
	v_lshlrev_b32_e32 v2, 1, v0
	v_mov_b32_e32 v3, 0
	v_lshlrev_b32_e32 v4, 3, v7
	v_mul_lo_u32 v9, v1, s2
	v_lshl_add_u32 v10, s0, 4, v4
	s_mov_b64 s[0:1], 0
	v_lshlrev_b32_e32 v2, 1, v2
	v_lshlrev_b32_e32 v4, 1, v0
	s_movk_i32 s4, 0x700
	v_mov_b32_e32 v11, 0xbf600000
	v_mov_b32_e32 v5, v3
	;; [unrolled: 1-line block ×3, first 2 shown]
.LBB111_3:                              ; =>This Inner Loop Header: Depth=1
	v_add_u32_e32 v12, v9, v7
	s_waitcnt lgkmcnt(0)
	v_mad_i64_i32 v[20:21], s[14:15], v12, 50, s[8:9]
	v_lshl_add_u64 v[12:13], v[20:21], 0, v[2:3]
	v_lshl_add_u64 v[14:15], v[20:21], 0, v[4:5]
	global_load_dword v24, v[12:13], off offset:2
	global_load_ushort v25, v[14:15], off offset:34
	v_mad_i64_i32 v[12:13], s[14:15], v10, 36, s[10:11]
	v_mad_u64_u32 v[22:23], s[16:17], v0, 36, v[12:13]
	global_load_dwordx4 v[12:15], v[22:23], off
	global_load_dwordx4 v[16:19], v[22:23], off offset:16
	global_load_ushort v26, v[20:21], off
	s_getpc_b64 s[14:15]
	s_add_u32 s14, s14, _ZL13iq1s_grid_gpu@rel32@lo+4
	s_addc_u32 s15, s15, _ZL13iq1s_grid_gpu@rel32@hi+12
	v_add_u32_e32 v7, 8, v7
	v_cmp_le_u32_e32 vcc, s2, v7
	v_add_u32_e32 v10, 64, v10
	s_or_b64 s[0:1], vcc, s[0:1]
	s_waitcnt vmcnt(4)
	v_and_b32_e32 v27, 0xff, v24
	s_waitcnt vmcnt(3)
	v_lshlrev_b32_e32 v28, 8, v25
	v_lshrrev_b16_e32 v20, 8, v24
	v_lshrrev_b32_e32 v21, 24, v24
	v_lshlrev_b32_e32 v29, 5, v25
	v_bfe_u32 v24, v24, 16, 8
	v_lshlrev_b32_e32 v30, 2, v25
	v_lshrrev_b32_e32 v31, 1, v25
	v_and_or_b32 v27, v28, s4, v27
	v_and_or_b32 v20, v29, s4, v20
	;; [unrolled: 1-line block ×4, first 2 shown]
	v_lshlrev_b32_e32 v27, 3, v27
	v_lshlrev_b32_e32 v20, 3, v20
	;; [unrolled: 1-line block ×4, first 2 shown]
	global_load_dword v28, v27, s[14:15]
	global_load_dword v29, v20, s[14:15]
	;; [unrolled: 1-line block ×4, first 2 shown]
	global_load_dword v32, v[22:23], off offset:32
	s_waitcnt vmcnt(7)
	v_cvt_f32_f16_e32 v20, v12
	v_cvt_f32_f16_sdwa v21, v12 dst_sel:DWORD dst_unused:UNUSED_PAD src0_sel:WORD_1
	v_lshrrev_b32_e32 v12, 11, v25
	v_mov_b32_e32 v22, 0
	s_waitcnt vmcnt(5)
	v_cvt_f32_f16_e32 v23, v26
	v_and_b32_e32 v24, 0x8000, v25
	v_and_or_b32 v25, v12, 14, 1
	v_cvt_f32_u32_e32 v24, v24
	s_waitcnt vmcnt(4)
	v_and_b32_e32 v12, 0xf0f0f0f, v28
	v_lshrrev_b32_e32 v26, 4, v28
	v_and_b32_e32 v26, 0xf0f0f0f, v26
	v_dot4c_i32_i8_e32 v22, v12, v13
	s_waitcnt vmcnt(3)
	v_and_b32_e32 v27, 0xf0f0f0f, v29
	v_lshrrev_b32_e32 v28, 4, v29
	v_dot4c_i32_i8_e32 v22, v26, v14
	v_and_b32_e32 v12, 0xf0f0f0f, v28
	v_dot4c_i32_i8_e32 v22, v27, v15
	s_waitcnt vmcnt(2)
	v_and_b32_e32 v29, 0xf0f0f0f, v30
	v_lshrrev_b32_e32 v30, 4, v30
	v_dot4c_i32_i8_e32 v22, v12, v16
	;; [unrolled: 6-line block ×3, first 2 shown]
	v_and_b32_e32 v28, 0xf0f0f0f, v31
	v_dot4c_i32_i8_e32 v22, v33, v19
	s_waitcnt vmcnt(0)
	v_dot4c_i32_i8_e32 v22, v28, v32
	v_cvt_f32_ubyte0_e32 v13, v25
	v_mul_f32_e32 v14, v13, v23
	v_fmamk_f32 v13, v24, 0xb7000000, v11
	v_cvt_f32_i32_e32 v12, v22
	v_pk_mul_f32 v[12:13], v[12:13], v[20:21]
	s_nop 0
	v_add_f32_e32 v12, v12, v13
	v_fmac_f32_e32 v8, v14, v12
	s_andn2_b64 exec, exec, s[0:1]
	s_cbranch_execnz .LBB111_3
; %bb.4:
	s_or_b64 exec, exec, s[0:1]
.LBB111_5:
	s_or_b64 exec, exec, s[12:13]
	v_mbcnt_lo_u32_b32 v0, -1, 0
	v_mbcnt_hi_u32_b32 v2, -1, v0
	v_and_b32_e32 v0, 64, v2
	v_add_u32_e32 v3, 64, v0
	v_xor_b32_e32 v0, 32, v2
	v_cmp_lt_i32_e32 vcc, v0, v3
	v_xor_b32_e32 v4, 16, v2
	v_xor_b32_e32 v5, 8, v2
	v_cndmask_b32_e32 v0, v2, v0, vcc
	v_lshlrev_b32_e32 v0, 2, v0
	ds_bpermute_b32 v0, v0, v8
	v_cmp_lt_i32_e32 vcc, v4, v3
	s_waitcnt lgkmcnt(0)
	v_add_f32_e32 v0, v8, v0
	v_cndmask_b32_e32 v4, v2, v4, vcc
	v_lshlrev_b32_e32 v4, 2, v4
	ds_bpermute_b32 v4, v4, v0
	v_cmp_lt_i32_e32 vcc, v5, v3
	s_waitcnt lgkmcnt(0)
	v_add_f32_e32 v0, v0, v4
	v_cndmask_b32_e32 v4, v2, v5, vcc
	v_lshlrev_b32_e32 v4, 2, v4
	ds_bpermute_b32 v4, v4, v0
	v_xor_b32_e32 v5, 4, v2
	v_cmp_lt_i32_e32 vcc, v5, v3
	s_waitcnt lgkmcnt(0)
	v_add_f32_e32 v0, v0, v4
	v_cndmask_b32_e32 v4, v2, v5, vcc
	v_lshlrev_b32_e32 v4, 2, v4
	ds_bpermute_b32 v4, v4, v0
	v_xor_b32_e32 v5, 2, v2
	;; [unrolled: 7-line block ×3, first 2 shown]
	v_cmp_lt_i32_e32 vcc, v5, v3
	s_waitcnt lgkmcnt(0)
	v_add_f32_e32 v0, v0, v4
	v_cndmask_b32_e32 v2, v2, v5, vcc
	v_lshlrev_b32_e32 v2, 2, v2
	ds_bpermute_b32 v2, v2, v0
	v_cmp_eq_u32_e32 vcc, 0, v6
	s_and_b64 exec, exec, vcc
	s_cbranch_execz .LBB111_7
; %bb.6:
	s_waitcnt lgkmcnt(0)
	v_add_f32_e32 v0, v0, v2
	v_bfe_u32 v2, v0, 16, 1
	s_movk_i32 s0, 0x7fff
	v_add3_u32 v2, v0, v2, s0
	s_mul_i32 s3, s3, s5
	v_lshrrev_b32_e32 v2, 16, v2
	v_mov_b32_e32 v3, 0x7fc0
	v_cmp_o_f32_e32 vcc, v0, v0
	v_add_u32_e32 v0, s3, v1
	v_mov_b32_e32 v1, 0
	v_cndmask_b32_e32 v2, v3, v2, vcc
	v_lshl_add_u64 v[0:1], v[0:1], 1, s[6:7]
	global_store_short v[0:1], v2, off
.LBB111_7:
	s_endpgm
	.section	.rodata,"a",@progbits
	.p2align	6, 0x0
	.amdhsa_kernel _ZL13mul_mat_vec_qIN3c108BFloat16ELi256ELi8E11block_iq1_sLi1EXadL_ZL18vec_dot_iq1_s_q8_1PKvPK10block_q8_1RKiEEEvS4_S4_PT_iii
		.amdhsa_group_segment_fixed_size 0
		.amdhsa_private_segment_fixed_size 0
		.amdhsa_kernarg_size 296
		.amdhsa_user_sgpr_count 2
		.amdhsa_user_sgpr_dispatch_ptr 0
		.amdhsa_user_sgpr_queue_ptr 0
		.amdhsa_user_sgpr_kernarg_segment_ptr 1
		.amdhsa_user_sgpr_dispatch_id 0
		.amdhsa_user_sgpr_kernarg_preload_length 0
		.amdhsa_user_sgpr_kernarg_preload_offset 0
		.amdhsa_user_sgpr_private_segment_size 0
		.amdhsa_uses_dynamic_stack 0
		.amdhsa_enable_private_segment 0
		.amdhsa_system_sgpr_workgroup_id_x 1
		.amdhsa_system_sgpr_workgroup_id_y 1
		.amdhsa_system_sgpr_workgroup_id_z 0
		.amdhsa_system_sgpr_workgroup_info 0
		.amdhsa_system_vgpr_workitem_id 1
		.amdhsa_next_free_vgpr 34
		.amdhsa_next_free_sgpr 18
		.amdhsa_accum_offset 36
		.amdhsa_reserve_vcc 1
		.amdhsa_float_round_mode_32 0
		.amdhsa_float_round_mode_16_64 0
		.amdhsa_float_denorm_mode_32 3
		.amdhsa_float_denorm_mode_16_64 3
		.amdhsa_dx10_clamp 1
		.amdhsa_ieee_mode 1
		.amdhsa_fp16_overflow 0
		.amdhsa_tg_split 0
		.amdhsa_exception_fp_ieee_invalid_op 0
		.amdhsa_exception_fp_denorm_src 0
		.amdhsa_exception_fp_ieee_div_zero 0
		.amdhsa_exception_fp_ieee_overflow 0
		.amdhsa_exception_fp_ieee_underflow 0
		.amdhsa_exception_fp_ieee_inexact 0
		.amdhsa_exception_int_div_zero 0
	.end_amdhsa_kernel
	.section	.text._ZL13mul_mat_vec_qIN3c108BFloat16ELi256ELi8E11block_iq1_sLi1EXadL_ZL18vec_dot_iq1_s_q8_1PKvPK10block_q8_1RKiEEEvS4_S4_PT_iii,"axG",@progbits,_ZL13mul_mat_vec_qIN3c108BFloat16ELi256ELi8E11block_iq1_sLi1EXadL_ZL18vec_dot_iq1_s_q8_1PKvPK10block_q8_1RKiEEEvS4_S4_PT_iii,comdat
.Lfunc_end111:
	.size	_ZL13mul_mat_vec_qIN3c108BFloat16ELi256ELi8E11block_iq1_sLi1EXadL_ZL18vec_dot_iq1_s_q8_1PKvPK10block_q8_1RKiEEEvS4_S4_PT_iii, .Lfunc_end111-_ZL13mul_mat_vec_qIN3c108BFloat16ELi256ELi8E11block_iq1_sLi1EXadL_ZL18vec_dot_iq1_s_q8_1PKvPK10block_q8_1RKiEEEvS4_S4_PT_iii
                                        ; -- End function
	.section	.AMDGPU.csdata,"",@progbits
; Kernel info:
; codeLenInByte = 1016
; NumSgprs: 24
; NumVgprs: 34
; NumAgprs: 0
; TotalNumVgprs: 34
; ScratchSize: 0
; MemoryBound: 0
; FloatMode: 240
; IeeeMode: 1
; LDSByteSize: 0 bytes/workgroup (compile time only)
; SGPRBlocks: 2
; VGPRBlocks: 4
; NumSGPRsForWavesPerEU: 24
; NumVGPRsForWavesPerEU: 34
; AccumOffset: 36
; Occupancy: 8
; WaveLimiterHint : 0
; COMPUTE_PGM_RSRC2:SCRATCH_EN: 0
; COMPUTE_PGM_RSRC2:USER_SGPR: 2
; COMPUTE_PGM_RSRC2:TRAP_HANDLER: 0
; COMPUTE_PGM_RSRC2:TGID_X_EN: 1
; COMPUTE_PGM_RSRC2:TGID_Y_EN: 1
; COMPUTE_PGM_RSRC2:TGID_Z_EN: 0
; COMPUTE_PGM_RSRC2:TIDIG_COMP_CNT: 1
; COMPUTE_PGM_RSRC3_GFX90A:ACCUM_OFFSET: 8
; COMPUTE_PGM_RSRC3_GFX90A:TG_SPLIT: 0
	.section	.text._ZL13mul_mat_vec_qIN3c108BFloat16ELi32ELi4E12block_iq4_nlLi2EXadL_ZL19vec_dot_iq4_nl_q8_1PKvPK10block_q8_1RKiEEEvS4_S4_PT_iii,"axG",@progbits,_ZL13mul_mat_vec_qIN3c108BFloat16ELi32ELi4E12block_iq4_nlLi2EXadL_ZL19vec_dot_iq4_nl_q8_1PKvPK10block_q8_1RKiEEEvS4_S4_PT_iii,comdat
	.globl	_ZL13mul_mat_vec_qIN3c108BFloat16ELi32ELi4E12block_iq4_nlLi2EXadL_ZL19vec_dot_iq4_nl_q8_1PKvPK10block_q8_1RKiEEEvS4_S4_PT_iii ; -- Begin function _ZL13mul_mat_vec_qIN3c108BFloat16ELi32ELi4E12block_iq4_nlLi2EXadL_ZL19vec_dot_iq4_nl_q8_1PKvPK10block_q8_1RKiEEEvS4_S4_PT_iii
	.p2align	8
	.type	_ZL13mul_mat_vec_qIN3c108BFloat16ELi32ELi4E12block_iq4_nlLi2EXadL_ZL19vec_dot_iq4_nl_q8_1PKvPK10block_q8_1RKiEEEvS4_S4_PT_iii,@function
_ZL13mul_mat_vec_qIN3c108BFloat16ELi32ELi4E12block_iq4_nlLi2EXadL_ZL19vec_dot_iq4_nl_q8_1PKvPK10block_q8_1RKiEEEvS4_S4_PT_iii: ; @_ZL13mul_mat_vec_qIN3c108BFloat16ELi32ELi4E12block_iq4_nlLi2EXadL_ZL19vec_dot_iq4_nl_q8_1PKvPK10block_q8_1RKiEEEvS4_S4_PT_iii
; %bb.0:
	s_load_dword s8, s[0:1], 0x34
	s_load_dwordx4 s[4:7], s[0:1], 0x18
	v_bfe_u32 v1, v0, 10, 10
	s_waitcnt lgkmcnt(0)
	s_lshr_b32 s7, s8, 16
	s_mul_i32 s2, s2, s7
	v_add_u32_e32 v4, s2, v1
	s_cmp_lt_u32 s3, s6
	v_cmp_gt_u32_e32 vcc, s5, v4
	s_cselect_b64 s[6:7], -1, 0
	s_and_b64 s[6:7], s[6:7], vcc
	s_and_saveexec_b64 s[8:9], s[6:7]
	s_cbranch_execz .LBB112_7
; %bb.1:
	s_load_dwordx2 s[6:7], s[0:1], 0x10
	s_ashr_i32 s2, s4, 31
	s_lshr_b32 s2, s2, 27
	s_add_i32 s2, s4, s2
	v_and_b32_e32 v5, 0x3ff, v0
	s_ashr_i32 s2, s2, 5
	v_lshrrev_b32_e32 v6, 1, v5
	v_cmp_gt_u32_e32 vcc, s2, v6
	v_mov_b32_e32 v7, 0
	s_and_saveexec_b64 s[12:13], vcc
	s_cbranch_execz .LBB112_5
; %bb.2:
	s_load_dwordx4 s[8:11], s[0:1], 0x0
	s_add_i32 s0, s4, 0x1ff
	s_ashr_i32 s1, s0, 31
	s_lshr_b32 s1, s1, 23
	s_add_i32 s0, s0, s1
	v_lshlrev_b32_e32 v0, 1, v5
	s_ashr_i32 s0, s0, 9
	v_and_b32_e32 v2, 2, v0
	s_mul_i32 s0, s3, s0
	v_lshlrev_b32_e32 v0, 1, v2
	v_mov_b32_e32 v1, 0
	v_mul_lo_u32 v8, v4, s2
	s_lshl_b32 s4, s0, 4
	s_mov_b64 s[0:1], 0
	v_lshlrev_b32_e32 v0, 1, v0
	v_lshlrev_b32_e32 v2, 2, v2
	v_mov_b32_e32 v3, v1
	v_mov_b32_e32 v7, v1
.LBB112_3:                              ; =>This Inner Loop Header: Depth=1
	v_add_u32_e32 v9, v8, v6
	s_waitcnt lgkmcnt(0)
	v_mad_i64_i32 v[10:11], s[14:15], v9, 18, s[8:9]
	v_lshl_add_u64 v[12:13], v[10:11], 0, v[0:1]
	global_load_dwordx2 v[12:13], v[12:13], off offset:2
	v_add_u32_e32 v9, s4, v6
	v_mad_i64_i32 v[14:15], s[16:17], v9, 36, s[10:11]
	v_lshl_add_u64 v[16:17], v[14:15], 0, v[2:3]
	s_getpc_b64 s[14:15]
	s_add_u32 s14, s14, _ZL13kvalues_iq4nl@rel32@lo+4
	s_addc_u32 s15, s15, _ZL13kvalues_iq4nl@rel32@hi+12
	global_load_ushort v9, v[10:11], off
	global_load_dwordx2 v[18:19], v[16:17], off offset:4
	global_load_dwordx2 v[20:21], v[16:17], off offset:20
	v_add_u32_e32 v6, 32, v6
	v_cmp_le_u32_e32 vcc, s2, v6
	s_or_b64 s[0:1], vcc, s[0:1]
	s_waitcnt vmcnt(3)
	v_bfe_u32 v10, v12, 24, 4
	v_and_b32_e32 v11, 15, v12
	v_bfe_u32 v16, v12, 8, 4
	v_bfe_u32 v17, v12, 16, 4
	;; [unrolled: 1-line block ×4, first 2 shown]
	v_lshrrev_b32_e32 v24, 28, v12
	v_bfe_u32 v12, v12, 4, 4
	v_bfe_u32 v25, v13, 24, 4
	v_and_b32_e32 v26, 15, v13
	v_bfe_u32 v27, v13, 8, 4
	v_bfe_u32 v28, v13, 16, 4
	;; [unrolled: 1-line block ×4, first 2 shown]
	v_lshrrev_b32_e32 v31, 28, v13
	v_bfe_u32 v13, v13, 4, 4
	global_load_ubyte v32, v16, s[14:15]
	global_load_ubyte v33, v17, s[14:15]
	;; [unrolled: 1-line block ×15, first 2 shown]
                                        ; kill: killed $vgpr28
                                        ; kill: killed $vgpr23
                                        ; kill: killed $vgpr27
                                        ; kill: killed $vgpr13
                                        ; kill: killed $vgpr11
                                        ; kill: killed $vgpr12
                                        ; kill: killed $vgpr26
                                        ; kill: killed $vgpr30
                                        ; kill: killed $vgpr17
                                        ; kill: killed $vgpr10
                                        ; kill: killed $vgpr16
                                        ; kill: killed $vgpr22
                                        ; kill: killed $vgpr31
                                        ; kill: killed $vgpr24
                                        ; kill: killed $vgpr29
	global_load_ubyte v10, v25, s[14:15]
	global_load_dword v11, v[14:15], off
	v_mov_b32_e32 v12, 0
	v_mov_b32_e32 v13, 0
	s_waitcnt vmcnt(19)
	v_cvt_f32_f16_e32 v9, v9
	s_waitcnt vmcnt(15)
	v_lshlrev_b32_e32 v15, 16, v33
	s_waitcnt vmcnt(13)
	v_lshlrev_b32_e32 v22, 16, v35
	s_waitcnt vmcnt(12)
	v_lshl_or_b32 v23, v34, 8, v36
	s_waitcnt vmcnt(11)
	v_lshlrev_b32_e32 v17, 24, v37
	s_waitcnt vmcnt(10)
	v_lshl_or_b32 v16, v32, 8, v38
	s_waitcnt vmcnt(9)
	v_lshlrev_b32_e32 v14, 24, v39
	v_or3_b32 v14, v16, v15, v14
	s_waitcnt vmcnt(7)
	v_lshlrev_b32_e32 v24, 16, v41
	v_or3_b32 v15, v23, v22, v17
	s_waitcnt vmcnt(5)
	v_lshlrev_b32_e32 v27, 16, v43
	s_waitcnt vmcnt(4)
	v_lshl_or_b32 v28, v42, 8, v44
	s_waitcnt vmcnt(3)
	v_lshlrev_b32_e32 v26, 24, v45
	s_waitcnt vmcnt(2)
	v_lshl_or_b32 v25, v40, 8, v46
	v_or3_b32 v16, v28, v27, v26
	v_dot4c_i32_i8_e32 v12, v14, v18
	v_dot4c_i32_i8_e32 v13, v15, v20
	;; [unrolled: 1-line block ×3, first 2 shown]
	s_waitcnt vmcnt(1)
	v_lshlrev_b32_e32 v10, 24, v10
	v_or3_b32 v10, v25, v24, v10
	v_dot4c_i32_i8_e32 v12, v10, v19
	s_waitcnt vmcnt(0)
	v_cvt_f32_f16_e32 v11, v11
	v_mul_f32_e32 v9, v9, v11
	v_add_u32_e32 v10, v13, v12
	v_cvt_f32_i32_e32 v10, v10
	v_fmac_f32_e32 v7, v9, v10
	s_andn2_b64 exec, exec, s[0:1]
	s_cbranch_execnz .LBB112_3
; %bb.4:
	s_or_b64 exec, exec, s[0:1]
.LBB112_5:
	s_or_b64 exec, exec, s[12:13]
	v_mbcnt_lo_u32_b32 v0, -1, 0
	v_mbcnt_hi_u32_b32 v1, -1, v0
	v_and_b32_e32 v0, 64, v1
	v_add_u32_e32 v2, 64, v0
	v_xor_b32_e32 v0, 32, v1
	v_cmp_lt_i32_e32 vcc, v0, v2
	v_xor_b32_e32 v3, 16, v1
	v_xor_b32_e32 v6, 8, v1
	v_cndmask_b32_e32 v0, v1, v0, vcc
	v_lshlrev_b32_e32 v0, 2, v0
	ds_bpermute_b32 v0, v0, v7
	v_cmp_lt_i32_e32 vcc, v3, v2
	s_waitcnt lgkmcnt(0)
	v_add_f32_e32 v0, v7, v0
	v_cndmask_b32_e32 v3, v1, v3, vcc
	v_lshlrev_b32_e32 v3, 2, v3
	ds_bpermute_b32 v3, v3, v0
	v_cmp_lt_i32_e32 vcc, v6, v2
	s_waitcnt lgkmcnt(0)
	v_add_f32_e32 v0, v0, v3
	v_cndmask_b32_e32 v3, v1, v6, vcc
	v_lshlrev_b32_e32 v3, 2, v3
	ds_bpermute_b32 v3, v3, v0
	v_xor_b32_e32 v6, 4, v1
	v_cmp_lt_i32_e32 vcc, v6, v2
	s_waitcnt lgkmcnt(0)
	v_add_f32_e32 v0, v0, v3
	v_cndmask_b32_e32 v3, v1, v6, vcc
	v_lshlrev_b32_e32 v3, 2, v3
	ds_bpermute_b32 v3, v3, v0
	v_xor_b32_e32 v6, 2, v1
	;; [unrolled: 7-line block ×3, first 2 shown]
	v_cmp_lt_i32_e32 vcc, v6, v2
	s_waitcnt lgkmcnt(0)
	v_add_f32_e32 v0, v0, v3
	v_cndmask_b32_e32 v1, v1, v6, vcc
	v_lshlrev_b32_e32 v1, 2, v1
	ds_bpermute_b32 v1, v1, v0
	v_cmp_eq_u32_e32 vcc, 0, v5
	s_and_b64 exec, exec, vcc
	s_cbranch_execz .LBB112_7
; %bb.6:
	s_waitcnt lgkmcnt(0)
	v_add_f32_e32 v0, v0, v1
	v_bfe_u32 v1, v0, 16, 1
	s_movk_i32 s0, 0x7fff
	v_add3_u32 v1, v0, v1, s0
	v_lshrrev_b32_e32 v1, 16, v1
	v_mov_b32_e32 v2, 0x7fc0
	v_cmp_o_f32_e32 vcc, v0, v0
	s_mul_i32 s3, s3, s5
	v_add_u32_e32 v0, s3, v4
	v_cndmask_b32_e32 v2, v2, v1, vcc
	v_mov_b32_e32 v1, 0
	v_lshl_add_u64 v[0:1], v[0:1], 1, s[6:7]
	global_store_short v[0:1], v2, off
.LBB112_7:
	s_endpgm
	.section	.rodata,"a",@progbits
	.p2align	6, 0x0
	.amdhsa_kernel _ZL13mul_mat_vec_qIN3c108BFloat16ELi32ELi4E12block_iq4_nlLi2EXadL_ZL19vec_dot_iq4_nl_q8_1PKvPK10block_q8_1RKiEEEvS4_S4_PT_iii
		.amdhsa_group_segment_fixed_size 0
		.amdhsa_private_segment_fixed_size 0
		.amdhsa_kernarg_size 296
		.amdhsa_user_sgpr_count 2
		.amdhsa_user_sgpr_dispatch_ptr 0
		.amdhsa_user_sgpr_queue_ptr 0
		.amdhsa_user_sgpr_kernarg_segment_ptr 1
		.amdhsa_user_sgpr_dispatch_id 0
		.amdhsa_user_sgpr_kernarg_preload_length 0
		.amdhsa_user_sgpr_kernarg_preload_offset 0
		.amdhsa_user_sgpr_private_segment_size 0
		.amdhsa_uses_dynamic_stack 0
		.amdhsa_enable_private_segment 0
		.amdhsa_system_sgpr_workgroup_id_x 1
		.amdhsa_system_sgpr_workgroup_id_y 1
		.amdhsa_system_sgpr_workgroup_id_z 0
		.amdhsa_system_sgpr_workgroup_info 0
		.amdhsa_system_vgpr_workitem_id 1
		.amdhsa_next_free_vgpr 47
		.amdhsa_next_free_sgpr 18
		.amdhsa_accum_offset 48
		.amdhsa_reserve_vcc 1
		.amdhsa_float_round_mode_32 0
		.amdhsa_float_round_mode_16_64 0
		.amdhsa_float_denorm_mode_32 3
		.amdhsa_float_denorm_mode_16_64 3
		.amdhsa_dx10_clamp 1
		.amdhsa_ieee_mode 1
		.amdhsa_fp16_overflow 0
		.amdhsa_tg_split 0
		.amdhsa_exception_fp_ieee_invalid_op 0
		.amdhsa_exception_fp_denorm_src 0
		.amdhsa_exception_fp_ieee_div_zero 0
		.amdhsa_exception_fp_ieee_overflow 0
		.amdhsa_exception_fp_ieee_underflow 0
		.amdhsa_exception_fp_ieee_inexact 0
		.amdhsa_exception_int_div_zero 0
	.end_amdhsa_kernel
	.section	.text._ZL13mul_mat_vec_qIN3c108BFloat16ELi32ELi4E12block_iq4_nlLi2EXadL_ZL19vec_dot_iq4_nl_q8_1PKvPK10block_q8_1RKiEEEvS4_S4_PT_iii,"axG",@progbits,_ZL13mul_mat_vec_qIN3c108BFloat16ELi32ELi4E12block_iq4_nlLi2EXadL_ZL19vec_dot_iq4_nl_q8_1PKvPK10block_q8_1RKiEEEvS4_S4_PT_iii,comdat
.Lfunc_end112:
	.size	_ZL13mul_mat_vec_qIN3c108BFloat16ELi32ELi4E12block_iq4_nlLi2EXadL_ZL19vec_dot_iq4_nl_q8_1PKvPK10block_q8_1RKiEEEvS4_S4_PT_iii, .Lfunc_end112-_ZL13mul_mat_vec_qIN3c108BFloat16ELi32ELi4E12block_iq4_nlLi2EXadL_ZL19vec_dot_iq4_nl_q8_1PKvPK10block_q8_1RKiEEEvS4_S4_PT_iii
                                        ; -- End function
	.section	.AMDGPU.csdata,"",@progbits
; Kernel info:
; codeLenInByte = 1076
; NumSgprs: 24
; NumVgprs: 47
; NumAgprs: 0
; TotalNumVgprs: 47
; ScratchSize: 0
; MemoryBound: 0
; FloatMode: 240
; IeeeMode: 1
; LDSByteSize: 0 bytes/workgroup (compile time only)
; SGPRBlocks: 2
; VGPRBlocks: 5
; NumSGPRsForWavesPerEU: 24
; NumVGPRsForWavesPerEU: 47
; AccumOffset: 48
; Occupancy: 8
; WaveLimiterHint : 0
; COMPUTE_PGM_RSRC2:SCRATCH_EN: 0
; COMPUTE_PGM_RSRC2:USER_SGPR: 2
; COMPUTE_PGM_RSRC2:TRAP_HANDLER: 0
; COMPUTE_PGM_RSRC2:TGID_X_EN: 1
; COMPUTE_PGM_RSRC2:TGID_Y_EN: 1
; COMPUTE_PGM_RSRC2:TGID_Z_EN: 0
; COMPUTE_PGM_RSRC2:TIDIG_COMP_CNT: 1
; COMPUTE_PGM_RSRC3_GFX90A:ACCUM_OFFSET: 11
; COMPUTE_PGM_RSRC3_GFX90A:TG_SPLIT: 0
	.section	.text._ZL13mul_mat_vec_qIN3c108BFloat16ELi256ELi8E11block_iq3_sLi1EXadL_ZL18vec_dot_iq3_s_q8_1PKvPK10block_q8_1RKiEEEvS4_S4_PT_iii,"axG",@progbits,_ZL13mul_mat_vec_qIN3c108BFloat16ELi256ELi8E11block_iq3_sLi1EXadL_ZL18vec_dot_iq3_s_q8_1PKvPK10block_q8_1RKiEEEvS4_S4_PT_iii,comdat
	.globl	_ZL13mul_mat_vec_qIN3c108BFloat16ELi256ELi8E11block_iq3_sLi1EXadL_ZL18vec_dot_iq3_s_q8_1PKvPK10block_q8_1RKiEEEvS4_S4_PT_iii ; -- Begin function _ZL13mul_mat_vec_qIN3c108BFloat16ELi256ELi8E11block_iq3_sLi1EXadL_ZL18vec_dot_iq3_s_q8_1PKvPK10block_q8_1RKiEEEvS4_S4_PT_iii
	.p2align	8
	.type	_ZL13mul_mat_vec_qIN3c108BFloat16ELi256ELi8E11block_iq3_sLi1EXadL_ZL18vec_dot_iq3_s_q8_1PKvPK10block_q8_1RKiEEEvS4_S4_PT_iii,@function
_ZL13mul_mat_vec_qIN3c108BFloat16ELi256ELi8E11block_iq3_sLi1EXadL_ZL18vec_dot_iq3_s_q8_1PKvPK10block_q8_1RKiEEEvS4_S4_PT_iii: ; @_ZL13mul_mat_vec_qIN3c108BFloat16ELi256ELi8E11block_iq3_sLi1EXadL_ZL18vec_dot_iq3_s_q8_1PKvPK10block_q8_1RKiEEEvS4_S4_PT_iii
; %bb.0:
	s_load_dword s8, s[0:1], 0x34
	s_load_dwordx4 s[4:7], s[0:1], 0x18
	v_bfe_u32 v1, v0, 10, 10
	s_waitcnt lgkmcnt(0)
	s_lshr_b32 s7, s8, 16
	s_mul_i32 s2, s2, s7
	v_add_u32_e32 v24, s2, v1
	s_cmp_lt_u32 s3, s6
	v_cmp_gt_u32_e32 vcc, s5, v24
	s_cselect_b64 s[6:7], -1, 0
	s_and_b64 s[6:7], s[6:7], vcc
	s_and_saveexec_b64 s[8:9], s[6:7]
	s_cbranch_execz .LBB113_9
; %bb.1:
	s_load_dwordx2 s[6:7], s[0:1], 0x10
	s_ashr_i32 s2, s4, 31
	s_lshr_b32 s2, s2, 24
	s_add_i32 s2, s4, s2
	v_and_b32_e32 v25, 0x3ff, v0
	s_ashr_i32 s2, s2, 8
	v_lshrrev_b32_e32 v26, 3, v25
	v_cmp_gt_u32_e32 vcc, s2, v26
	v_mov_b32_e32 v1, 0
	s_and_saveexec_b64 s[8:9], vcc
	s_cbranch_execz .LBB113_7
; %bb.2:
	s_load_dwordx4 s[12:15], s[0:1], 0x0
	s_add_i32 s0, s4, 0x1ff
	s_ashr_i32 s1, s0, 31
	s_lshr_b32 s1, s1, 23
	s_add_i32 s0, s0, s1
	s_ashr_i32 s0, s0, 9
	s_mul_i32 s0, s3, s0
	v_and_b32_e32 v2, 7, v25
	v_mov_b32_e32 v1, 0
	v_lshlrev_b32_e32 v8, 2, v25
	s_lshl_b32 s4, s0, 4
	v_lshlrev_b32_e32 v0, 3, v2
	s_waitcnt lgkmcnt(0)
	v_mad_u64_u32 v[4:5], s[0:1], v2, 36, s[14:15]
	v_and_b32_e32 v28, 4, v8
	v_lshlrev_b32_e32 v8, 2, v2
	v_mov_b32_e32 v9, v1
	v_mul_lo_u32 v27, v24, s2
	v_lshl_add_u64 v[8:9], v[8:9], 0, s[12:13]
	s_mov_b64 s[0:1], 0x4a
	v_lshl_add_u64 v[10:11], v[0:1], 0, s[12:13]
	v_mov_b32_e32 v3, v1
	v_bfe_u32 v6, v25, 1, 2
	v_mov_b32_e32 v7, v1
	v_lshl_add_u64 v[8:9], v[8:9], 0, s[0:1]
	v_add_u32_e32 v29, v26, v27
	v_lshl_add_u64 v[10:11], v[10:11], 0, 2
	s_mov_b64 s[0:1], 0
	s_movk_i32 s10, 0x6e
	v_mov_b64_e32 v[12:13], s[12:13]
	s_movk_i32 s11, 0x100
	s_mov_b32 s12, 0x1010101
	s_mov_b32 s13, 0x1000000
	v_mov_b32_e32 v0, 0xff0000
	v_mov_b32_e32 v30, 0xff00
	;; [unrolled: 1-line block ×3, first 2 shown]
	s_mov_b32 s14, 0xc060c00
.LBB113_3:                              ; =>This Loop Header: Depth=1
                                        ;     Child Loop BB113_4 Depth 2
	v_add_u32_e32 v14, v26, v27
	v_mad_i64_i32 v[16:17], s[16:17], v14, s10, v[12:13]
	v_lshl_add_u64 v[14:15], v[16:17], 0, v[2:3]
	global_load_ubyte v33, v[14:15], off offset:66
	v_lshl_add_u32 v14, v26, 3, s4
	v_mad_i64_i32 v[14:15], s[16:17], v14, 36, v[4:5]
	v_mad_i64_i32 v[18:19], s[16:17], v29, s10, v[8:9]
	;; [unrolled: 1-line block ×3, first 2 shown]
	v_lshl_add_u64 v[22:23], v[14:15], 0, 4
	s_mov_b32 s15, 7
	v_mov_b32_e32 v32, 0
.LBB113_4:                              ;   Parent Loop BB113_3 Depth=1
                                        ; =>  This Inner Loop Header: Depth=2
	global_load_ushort v34, v[20:21], off
	global_load_ubyte v36, v[18:19], off
	s_add_i32 s18, s15, 1
	s_waitcnt vmcnt(2)
	v_lshlrev_b32_e32 v37, s18, v33
	v_lshlrev_b32_e32 v35, s15, v33
	s_getpc_b64 s[16:17]
	s_add_u32 s16, s16, _ZL10iq3xs_grid@rel32@lo+4
	s_addc_u32 s17, s17, _ZL10iq3xs_grid@rel32@hi+12
	s_add_i32 s15, s15, -2
	v_lshl_add_u64 v[18:19], v[18:19], 0, 1
	v_lshl_add_u64 v[20:21], v[20:21], 0, 2
	s_cmp_lg_u32 s15, -1
	s_waitcnt vmcnt(1)
	v_and_b32_e32 v38, 0xff, v34
	v_lshrrev_b16_e32 v34, 8, v34
	v_and_or_b32 v37, v37, s11, v38
	v_and_or_b32 v34, v35, s11, v34
	v_lshlrev_b32_e32 v37, 2, v37
	v_lshlrev_b32_e32 v38, 2, v34
	global_load_dword v39, v37, s[16:17]
	global_load_dword v40, v38, s[16:17]
	global_load_dwordx2 v[34:35], v[22:23], off
	s_waitcnt vmcnt(3)
	v_and_b32_e32 v37, 15, v36
	v_lshrrev_b16_e32 v36, 4, v36
	v_mul_lo_u32 v36, v36, s12
	v_not_b32_e32 v36, v36
	v_and_b32_e32 v38, 0x8040201, v36
	v_and_b32_e32 v37, 0xffff, v37
	v_and_b32_e32 v41, 0x40000, v36
	v_cmp_gt_u32_e32 vcc, s13, v38
	v_mul_lo_u32 v37, v37, s12
	v_and_b32_e32 v42, 0x200, v36
	v_cndmask_b32_e64 v38, 0, -1, vcc
	v_cmp_eq_u32_e32 vcc, 0, v41
	v_not_b32_e32 v37, v37
	v_and_b32_e32 v36, 1, v36
	v_cndmask_b32_e32 v41, 0, v0, vcc
	v_cmp_eq_u32_e32 vcc, 0, v42
	v_and_b32_e32 v43, 0x8040201, v37
	v_and_b32_e32 v44, 0x40000, v37
	v_cndmask_b32_e32 v42, 0, v30, vcc
	v_cmp_eq_u32_e32 vcc, 0, v36
	v_and_b32_e32 v45, 0x200, v37
	v_and_b32_e32 v37, 1, v37
	v_cndmask_b32_e32 v36, 0, v31, vcc
	v_cmp_gt_u32_e32 vcc, s13, v43
	v_lshlrev_b32_e32 v38, 24, v38
	v_or_b32_e32 v46, v42, v36
	v_cndmask_b32_e64 v43, 0, -1, vcc
	v_cmp_eq_u32_e32 vcc, 0, v44
	v_lshlrev_b32_e32 v43, 24, v43
	v_or3_b32 v46, v46, v41, v38
	v_cndmask_b32_e32 v44, 0, v0, vcc
	v_cmp_eq_u32_e32 vcc, 0, v45
	v_lshl_add_u64 v[22:23], v[22:23], 0, 8
	s_waitcnt vmcnt(1)
	v_xor_b32_e32 v40, v46, v40
	v_cndmask_b32_e32 v45, 0, v30, vcc
	v_cmp_eq_u32_e32 vcc, 0, v37
	v_sub_u32_e32 v38, v40, v38
	v_sub_u32_e32 v36, v40, v36
	v_cndmask_b32_e32 v37, 0, v31, vcc
	v_or_b32_e32 v47, v45, v37
	v_or3_b32 v47, v47, v44, v43
	v_xor_b32_e32 v39, v47, v39
	v_sub_u32_e32 v43, v39, v43
	v_sub_u32_e32 v44, v39, v44
	;; [unrolled: 1-line block ×6, first 2 shown]
	v_and_b32_e32 v40, 0xff000000, v43
	v_and_b32_e32 v42, 0xff00, v45
	v_perm_b32 v37, v44, v37, s14
	v_and_b32_e32 v38, 0xff000000, v38
	v_and_b32_e32 v41, 0xff00, v41
	v_perm_b32 v36, v39, v36, s14
	v_or3_b32 v37, v37, v40, v42
	v_or3_b32 v36, v36, v38, v41
	s_waitcnt vmcnt(0)
	v_dot4c_i32_i8_e32 v32, v37, v34
	v_dot4c_i32_i8_e32 v32, v36, v35
	s_cbranch_scc1 .LBB113_4
; %bb.5:                                ;   in Loop: Header=BB113_3 Depth=1
	global_load_ushort v18, v[16:17], off
	v_lshl_add_u64 v[16:17], v[16:17], 0, v[6:7]
	global_load_dword v19, v[14:15], off
	global_load_ubyte v20, v[16:17], off offset:106
	v_cvt_f32_i32_e32 v14, v32
	v_add_u32_e32 v26, 8, v26
	v_cmp_le_u32_e32 vcc, s2, v26
	s_or_b64 s[0:1], vcc, s[0:1]
	v_add_u32_e32 v29, 8, v29
	s_waitcnt vmcnt(2)
	v_cvt_f32_f16_e32 v15, v18
	s_waitcnt vmcnt(1)
	v_cvt_f32_f16_e32 v16, v19
	s_waitcnt vmcnt(0)
	v_bfe_u32 v17, v20, v28, 4
	v_cvt_f32_ubyte0_e32 v17, v17
	v_add_f32_e32 v17, 0.5, v17
	v_mul_f32_e32 v15, v17, v15
	v_mul_f32_e32 v15, v15, v16
	v_mul_f32_e32 v15, 0.5, v15
	v_fmac_f32_e32 v1, v15, v14
	s_andn2_b64 exec, exec, s[0:1]
	s_cbranch_execnz .LBB113_3
; %bb.6:
	s_or_b64 exec, exec, s[0:1]
.LBB113_7:
	s_or_b64 exec, exec, s[8:9]
	v_mbcnt_lo_u32_b32 v0, -1, 0
	v_mbcnt_hi_u32_b32 v2, -1, v0
	v_and_b32_e32 v0, 64, v2
	v_add_u32_e32 v3, 64, v0
	v_xor_b32_e32 v0, 32, v2
	v_cmp_lt_i32_e32 vcc, v0, v3
	v_xor_b32_e32 v4, 16, v2
	s_nop 0
	v_cndmask_b32_e32 v0, v2, v0, vcc
	v_lshlrev_b32_e32 v0, 2, v0
	ds_bpermute_b32 v0, v0, v1
	v_cmp_lt_i32_e32 vcc, v4, v3
	s_waitcnt lgkmcnt(0)
	v_add_f32_e32 v0, v1, v0
	v_cndmask_b32_e32 v1, v2, v4, vcc
	v_lshlrev_b32_e32 v1, 2, v1
	ds_bpermute_b32 v1, v1, v0
	v_xor_b32_e32 v4, 8, v2
	v_cmp_lt_i32_e32 vcc, v4, v3
	s_waitcnt lgkmcnt(0)
	v_add_f32_e32 v0, v0, v1
	v_cndmask_b32_e32 v1, v2, v4, vcc
	v_lshlrev_b32_e32 v1, 2, v1
	ds_bpermute_b32 v1, v1, v0
	v_xor_b32_e32 v4, 4, v2
	;; [unrolled: 7-line block ×4, first 2 shown]
	v_cmp_lt_i32_e32 vcc, v4, v3
	s_waitcnt lgkmcnt(0)
	v_add_f32_e32 v0, v0, v1
	v_cndmask_b32_e32 v1, v2, v4, vcc
	v_lshlrev_b32_e32 v1, 2, v1
	ds_bpermute_b32 v1, v1, v0
	v_cmp_eq_u32_e32 vcc, 0, v25
	s_and_b64 exec, exec, vcc
	s_cbranch_execz .LBB113_9
; %bb.8:
	s_waitcnt lgkmcnt(0)
	v_add_f32_e32 v0, v0, v1
	v_bfe_u32 v1, v0, 16, 1
	s_movk_i32 s0, 0x7fff
	v_add3_u32 v1, v0, v1, s0
	v_lshrrev_b32_e32 v1, 16, v1
	v_mov_b32_e32 v2, 0x7fc0
	v_cmp_o_f32_e32 vcc, v0, v0
	s_mul_i32 s3, s3, s5
	v_add_u32_e32 v0, s3, v24
	v_cndmask_b32_e32 v2, v2, v1, vcc
	v_mov_b32_e32 v1, 0
	v_lshl_add_u64 v[0:1], v[0:1], 1, s[6:7]
	global_store_short v[0:1], v2, off
.LBB113_9:
	s_endpgm
	.section	.rodata,"a",@progbits
	.p2align	6, 0x0
	.amdhsa_kernel _ZL13mul_mat_vec_qIN3c108BFloat16ELi256ELi8E11block_iq3_sLi1EXadL_ZL18vec_dot_iq3_s_q8_1PKvPK10block_q8_1RKiEEEvS4_S4_PT_iii
		.amdhsa_group_segment_fixed_size 0
		.amdhsa_private_segment_fixed_size 0
		.amdhsa_kernarg_size 296
		.amdhsa_user_sgpr_count 2
		.amdhsa_user_sgpr_dispatch_ptr 0
		.amdhsa_user_sgpr_queue_ptr 0
		.amdhsa_user_sgpr_kernarg_segment_ptr 1
		.amdhsa_user_sgpr_dispatch_id 0
		.amdhsa_user_sgpr_kernarg_preload_length 0
		.amdhsa_user_sgpr_kernarg_preload_offset 0
		.amdhsa_user_sgpr_private_segment_size 0
		.amdhsa_uses_dynamic_stack 0
		.amdhsa_enable_private_segment 0
		.amdhsa_system_sgpr_workgroup_id_x 1
		.amdhsa_system_sgpr_workgroup_id_y 1
		.amdhsa_system_sgpr_workgroup_id_z 0
		.amdhsa_system_sgpr_workgroup_info 0
		.amdhsa_system_vgpr_workitem_id 1
		.amdhsa_next_free_vgpr 48
		.amdhsa_next_free_sgpr 19
		.amdhsa_accum_offset 48
		.amdhsa_reserve_vcc 1
		.amdhsa_float_round_mode_32 0
		.amdhsa_float_round_mode_16_64 0
		.amdhsa_float_denorm_mode_32 3
		.amdhsa_float_denorm_mode_16_64 3
		.amdhsa_dx10_clamp 1
		.amdhsa_ieee_mode 1
		.amdhsa_fp16_overflow 0
		.amdhsa_tg_split 0
		.amdhsa_exception_fp_ieee_invalid_op 0
		.amdhsa_exception_fp_denorm_src 0
		.amdhsa_exception_fp_ieee_div_zero 0
		.amdhsa_exception_fp_ieee_overflow 0
		.amdhsa_exception_fp_ieee_underflow 0
		.amdhsa_exception_fp_ieee_inexact 0
		.amdhsa_exception_int_div_zero 0
	.end_amdhsa_kernel
	.section	.text._ZL13mul_mat_vec_qIN3c108BFloat16ELi256ELi8E11block_iq3_sLi1EXadL_ZL18vec_dot_iq3_s_q8_1PKvPK10block_q8_1RKiEEEvS4_S4_PT_iii,"axG",@progbits,_ZL13mul_mat_vec_qIN3c108BFloat16ELi256ELi8E11block_iq3_sLi1EXadL_ZL18vec_dot_iq3_s_q8_1PKvPK10block_q8_1RKiEEEvS4_S4_PT_iii,comdat
.Lfunc_end113:
	.size	_ZL13mul_mat_vec_qIN3c108BFloat16ELi256ELi8E11block_iq3_sLi1EXadL_ZL18vec_dot_iq3_s_q8_1PKvPK10block_q8_1RKiEEEvS4_S4_PT_iii, .Lfunc_end113-_ZL13mul_mat_vec_qIN3c108BFloat16ELi256ELi8E11block_iq3_sLi1EXadL_ZL18vec_dot_iq3_s_q8_1PKvPK10block_q8_1RKiEEEvS4_S4_PT_iii
                                        ; -- End function
	.section	.AMDGPU.csdata,"",@progbits
; Kernel info:
; codeLenInByte = 1304
; NumSgprs: 25
; NumVgprs: 48
; NumAgprs: 0
; TotalNumVgprs: 48
; ScratchSize: 0
; MemoryBound: 0
; FloatMode: 240
; IeeeMode: 1
; LDSByteSize: 0 bytes/workgroup (compile time only)
; SGPRBlocks: 3
; VGPRBlocks: 5
; NumSGPRsForWavesPerEU: 25
; NumVGPRsForWavesPerEU: 48
; AccumOffset: 48
; Occupancy: 8
; WaveLimiterHint : 0
; COMPUTE_PGM_RSRC2:SCRATCH_EN: 0
; COMPUTE_PGM_RSRC2:USER_SGPR: 2
; COMPUTE_PGM_RSRC2:TRAP_HANDLER: 0
; COMPUTE_PGM_RSRC2:TGID_X_EN: 1
; COMPUTE_PGM_RSRC2:TGID_Y_EN: 1
; COMPUTE_PGM_RSRC2:TGID_Z_EN: 0
; COMPUTE_PGM_RSRC2:TIDIG_COMP_CNT: 1
; COMPUTE_PGM_RSRC3_GFX90A:ACCUM_OFFSET: 11
; COMPUTE_PGM_RSRC3_GFX90A:TG_SPLIT: 0
	.section	.text._ZL13mul_mat_vec_qIN3c108BFloat16ELi256ELi8E11block_iq2_sLi1EXadL_ZL18vec_dot_iq2_s_q8_1PKvPK10block_q8_1RKiEEEvS4_S4_PT_iii,"axG",@progbits,_ZL13mul_mat_vec_qIN3c108BFloat16ELi256ELi8E11block_iq2_sLi1EXadL_ZL18vec_dot_iq2_s_q8_1PKvPK10block_q8_1RKiEEEvS4_S4_PT_iii,comdat
	.globl	_ZL13mul_mat_vec_qIN3c108BFloat16ELi256ELi8E11block_iq2_sLi1EXadL_ZL18vec_dot_iq2_s_q8_1PKvPK10block_q8_1RKiEEEvS4_S4_PT_iii ; -- Begin function _ZL13mul_mat_vec_qIN3c108BFloat16ELi256ELi8E11block_iq2_sLi1EXadL_ZL18vec_dot_iq2_s_q8_1PKvPK10block_q8_1RKiEEEvS4_S4_PT_iii
	.p2align	8
	.type	_ZL13mul_mat_vec_qIN3c108BFloat16ELi256ELi8E11block_iq2_sLi1EXadL_ZL18vec_dot_iq2_s_q8_1PKvPK10block_q8_1RKiEEEvS4_S4_PT_iii,@function
_ZL13mul_mat_vec_qIN3c108BFloat16ELi256ELi8E11block_iq2_sLi1EXadL_ZL18vec_dot_iq2_s_q8_1PKvPK10block_q8_1RKiEEEvS4_S4_PT_iii: ; @_ZL13mul_mat_vec_qIN3c108BFloat16ELi256ELi8E11block_iq2_sLi1EXadL_ZL18vec_dot_iq2_s_q8_1PKvPK10block_q8_1RKiEEEvS4_S4_PT_iii
; %bb.0:
	s_load_dword s8, s[0:1], 0x34
	s_load_dwordx4 s[4:7], s[0:1], 0x18
	v_bfe_u32 v1, v0, 10, 10
	s_waitcnt lgkmcnt(0)
	s_lshr_b32 s7, s8, 16
	s_mul_i32 s2, s2, s7
	v_add_u32_e32 v14, s2, v1
	s_cmp_lt_u32 s3, s6
	v_cmp_gt_u32_e32 vcc, s5, v14
	s_cselect_b64 s[6:7], -1, 0
	s_and_b64 s[6:7], s[6:7], vcc
	s_and_saveexec_b64 s[8:9], s[6:7]
	s_cbranch_execz .LBB114_7
; %bb.1:
	s_load_dwordx2 s[6:7], s[0:1], 0x10
	s_ashr_i32 s2, s4, 31
	s_lshr_b32 s2, s2, 24
	s_add_i32 s2, s4, s2
	v_and_b32_e32 v15, 0x3ff, v0
	s_ashr_i32 s2, s2, 8
	v_lshrrev_b32_e32 v16, 3, v15
	v_cmp_gt_u32_e32 vcc, s2, v16
	v_mov_b32_e32 v17, 0
	s_and_saveexec_b64 s[8:9], vcc
	s_cbranch_execz .LBB114_5
; %bb.2:
	s_load_dwordx4 s[12:15], s[0:1], 0x0
	s_add_i32 s0, s4, 0x1ff
	s_ashr_i32 s1, s0, 31
	s_lshr_b32 s1, s1, 23
	s_add_i32 s0, s0, s1
	s_ashr_i32 s0, s0, 9
	s_mul_i32 s4, s3, s0
	v_and_b32_e32 v0, 7, v15
	v_mov_b32_e32 v1, 0
	v_lshlrev_b32_e32 v6, 3, v16
	v_mul_lo_u32 v18, v14, s2
	s_waitcnt lgkmcnt(0)
	v_mad_u64_u32 v[2:3], s[0:1], v0, 36, s[14:15]
	v_lshlrev_b32_e32 v4, 2, v0
	v_mov_b32_e32 v5, v1
	v_lshl_add_u32 v19, s4, 4, v6
	s_mov_b64 s[10:11], 0
	s_movk_i32 s4, 0x52
	v_mov_b64_e32 v[6:7], s[12:13]
	s_movk_i32 s12, 0x300
	s_mov_b32 s13, 0x1010101
	s_mov_b32 s14, 0x1000000
	v_mov_b32_e32 v20, 0xff0000
	v_mov_b32_e32 v21, 0xff00
	;; [unrolled: 1-line block ×3, first 2 shown]
	s_mov_b32 s15, 0xc060c00
	v_mov_b32_e32 v23, 4
	v_mov_b32_e32 v17, v1
.LBB114_3:                              ; =>This Inner Loop Header: Depth=1
	v_add_u32_e32 v8, v18, v16
	v_mad_i64_i32 v[8:9], s[16:17], v8, s4, v[6:7]
	v_lshl_add_u64 v[10:11], v[8:9], 0, v[4:5]
	v_lshl_add_u64 v[12:13], v[8:9], 0, v[0:1]
	global_load_ushort v28, v[8:9], off
	global_load_dword v24, v[10:11], off offset:2
	global_load_ubyte v25, v[12:13], off offset:66
	global_load_dword v26, v[10:11], off offset:34
	global_load_ubyte v29, v[12:13], off offset:74
	s_getpc_b64 s[0:1]
	s_add_u32 s0, s0, _ZL9iq2s_grid@rel32@lo+4
	s_addc_u32 s1, s1, _ZL9iq2s_grid@rel32@hi+12
	v_add_u32_e32 v16, 8, v16
	s_waitcnt vmcnt(4)
	v_cvt_f32_f16_e32 v28, v28
	s_waitcnt vmcnt(3)
	v_lshrrev_b32_e32 v8, 24, v24
	v_and_b32_e32 v9, 0xff, v24
	s_waitcnt vmcnt(2)
	v_lshlrev_b32_e32 v10, 8, v25
	s_waitcnt vmcnt(1)
	v_lshrrev_b32_e32 v11, 8, v26
	v_and_b32_e32 v12, 15, v26
	v_lshrrev_b16_e32 v13, 4, v26
	v_bfe_u32 v27, v24, 8, 8
	v_lshlrev_b32_e32 v30, 6, v25
	v_bfe_u32 v31, v26, 8, 4
	v_bfe_u32 v24, v24, 16, 8
	v_lshlrev_b32_e32 v32, 4, v25
	v_bfe_u32 v33, v26, 16, 4
	;; [unrolled: 3-line block ×3, first 2 shown]
	v_lshrrev_b16_sdwa v26, v23, v26 dst_sel:DWORD dst_unused:UNUSED_PAD src0_sel:DWORD src1_sel:BYTE_3
	v_and_or_b32 v9, v10, s12, v9
	v_mul_lo_u32 v10, v12, s13
	v_and_b32_e32 v12, 15, v13
	v_and_or_b32 v13, v30, s12, v27
	v_mul_lo_u32 v27, v31, s13
	v_lshrrev_b16_e32 v11, 4, v11
	v_and_or_b32 v24, v32, s12, v24
	v_mul_lo_u32 v30, v33, s13
	v_mul_lo_u32 v31, v34, s13
	v_and_or_b32 v8, v25, s12, v8
	v_mul_lo_u32 v25, v35, s13
	v_mul_lo_u32 v26, v26, s13
	v_lshlrev_b32_e32 v32, 3, v9
	v_not_b32_e32 v9, v10
	v_and_b32_e32 v10, 0xffff, v12
	v_lshlrev_b32_e32 v33, 3, v13
	v_not_b32_e32 v12, v27
	v_and_b32_e32 v11, 15, v11
	v_lshlrev_b32_e32 v27, 3, v24
	v_not_b32_e32 v13, v30
	v_not_b32_e32 v24, v31
	v_lshlrev_b32_e32 v30, 3, v8
	v_not_b32_e32 v8, v25
	v_not_b32_e32 v25, v26
	v_and_b32_e32 v26, 0x8040201, v9
	v_and_b32_e32 v31, 0x40000, v9
	;; [unrolled: 1-line block ×4, first 2 shown]
	v_mul_lo_u32 v36, v10, s13
	v_and_b32_e32 v37, 0x8040201, v12
	v_and_b32_e32 v38, 0x40000, v12
	;; [unrolled: 1-line block ×21, first 2 shown]
	global_load_dwordx2 v[8:9], v32, s[0:1]
	global_load_dwordx2 v[10:11], v33, s[0:1]
	;; [unrolled: 1-line block ×4, first 2 shown]
	v_cmp_gt_u32_e32 vcc, s14, v26
	v_not_b32_e32 v32, v36
	s_nop 0
	v_cndmask_b32_e64 v26, 0, -1, vcc
	v_cmp_eq_u32_e32 vcc, 0, v31
	v_lshlrev_b32_e32 v26, 24, v26
	s_nop 0
	v_cndmask_b32_e32 v27, 0, v20, vcc
	v_cmp_eq_u32_e32 vcc, 0, v34
	s_nop 1
	v_cndmask_b32_e32 v30, 0, v21, vcc
	v_cmp_eq_u32_e32 vcc, 0, v35
	s_nop 1
	v_cndmask_b32_e32 v31, 0, v22, vcc
	v_cmp_gt_u32_e32 vcc, s14, v37
	v_mul_lo_u32 v37, v41, s13
	v_not_b32_e32 v37, v37
	v_cndmask_b32_e64 v33, 0, -1, vcc
	v_cmp_eq_u32_e32 vcc, 0, v38
	v_and_b32_e32 v59, 0x8040201, v37
	v_and_b32_e32 v60, 0x40000, v37
	v_cndmask_b32_e32 v34, 0, v20, vcc
	v_cmp_eq_u32_e32 vcc, 0, v39
	v_and_b32_e32 v61, 0x200, v37
	v_and_b32_e32 v37, 1, v37
	v_cndmask_b32_e32 v35, 0, v21, vcc
	v_cmp_eq_u32_e32 vcc, 0, v40
	v_cmp_gt_u32_e64 s[0:1], s14, v59
	v_lshlrev_b32_e32 v33, 24, v33
	v_cndmask_b32_e32 v36, 0, v22, vcc
	v_cmp_gt_u32_e32 vcc, s14, v42
	v_cndmask_b32_e64 v59, 0, -1, s[0:1]
	v_cmp_eq_u32_e64 s[0:1], 0, v60
	v_cndmask_b32_e64 v38, 0, -1, vcc
	v_cmp_eq_u32_e32 vcc, 0, v43
	v_cndmask_b32_e64 v60, 0, v20, s[0:1]
	v_cmp_eq_u32_e64 s[0:1], 0, v61
	v_cndmask_b32_e32 v39, 0, v20, vcc
	v_cmp_eq_u32_e32 vcc, 0, v44
	v_cndmask_b32_e64 v61, 0, v21, s[0:1]
	v_or_b32_e32 v58, v35, v36
	v_cndmask_b32_e32 v40, 0, v21, vcc
	v_cmp_eq_u32_e32 vcc, 0, v45
	v_or3_b32 v58, v58, v34, v33
	v_lshlrev_b32_e32 v38, 24, v38
	v_cndmask_b32_e32 v41, 0, v22, vcc
	v_cmp_gt_u32_e32 vcc, s14, v46
	s_waitcnt vmcnt(2)
	v_xor_b32_e32 v10, v58, v10
	v_cndmask_b32_e64 v42, 0, -1, vcc
	v_cmp_eq_u32_e32 vcc, 0, v47
	v_or_b32_e32 v58, v40, v41
	v_lshlrev_b32_e32 v42, 24, v42
	v_cndmask_b32_e32 v43, 0, v20, vcc
	v_cmp_eq_u32_e32 vcc, 0, v48
	v_or3_b32 v58, v58, v39, v38
	s_waitcnt vmcnt(1)
	v_xor_b32_e32 v58, v58, v12
	v_cndmask_b32_e32 v44, 0, v21, vcc
	v_cmp_eq_u32_e32 vcc, 0, v49
	v_sub_u32_e32 v33, v10, v33
	v_sub_u32_e32 v34, v10, v34
	v_cndmask_b32_e32 v45, 0, v22, vcc
	v_cmp_gt_u32_e32 vcc, s14, v50
	v_sub_u32_e32 v35, v10, v35
	v_sub_u32_e32 v36, v10, v36
	v_cndmask_b32_e64 v46, 0, -1, vcc
	v_cmp_eq_u32_e32 vcc, 0, v51
	v_lshlrev_b32_e32 v46, 24, v46
	v_sub_u32_e32 v38, v58, v38
	v_cndmask_b32_e32 v47, 0, v20, vcc
	v_cmp_eq_u32_e32 vcc, 0, v52
	v_sub_u32_e32 v39, v58, v39
	v_sub_u32_e32 v40, v58, v40
	v_cndmask_b32_e32 v48, 0, v21, vcc
	v_cmp_eq_u32_e32 vcc, 0, v53
	v_sub_u32_e32 v41, v58, v41
	v_and_b32_e32 v38, 0xff000000, v38
	v_cndmask_b32_e32 v49, 0, v22, vcc
	v_cmp_gt_u32_e32 vcc, s14, v54
	v_or_b32_e32 v54, v30, v31
	v_or3_b32 v54, v54, v27, v26
	v_cndmask_b32_e64 v50, 0, -1, vcc
	v_cmp_eq_u32_e32 vcc, 0, v55
	v_and_b32_e32 v55, 0x8040201, v32
	v_xor_b32_e32 v8, v54, v8
	v_cndmask_b32_e32 v51, 0, v20, vcc
	v_cmp_eq_u32_e32 vcc, 0, v56
	v_and_b32_e32 v56, 0x40000, v32
	v_lshlrev_b32_e32 v54, 24, v59
	v_cndmask_b32_e32 v52, 0, v21, vcc
	v_cmp_eq_u32_e32 vcc, 0, v57
	v_and_b32_e32 v57, 0x200, v32
	v_and_b32_e32 v32, 1, v32
	v_cndmask_b32_e32 v53, 0, v22, vcc
	v_cmp_gt_u32_e32 vcc, s14, v55
	v_or_b32_e32 v12, v48, v49
	v_lshlrev_b32_e32 v50, 24, v50
	v_cndmask_b32_e64 v55, 0, -1, vcc
	v_cmp_eq_u32_e32 vcc, 0, v56
	v_lshlrev_b32_e32 v55, 24, v55
	v_or3_b32 v12, v12, v47, v46
	v_cndmask_b32_e32 v56, 0, v20, vcc
	v_cmp_eq_u32_e32 vcc, 0, v57
	s_waitcnt vmcnt(0)
	v_xor_b32_e32 v24, v12, v24
	v_sub_u32_e32 v63, v8, v26
	v_cndmask_b32_e32 v57, 0, v21, vcc
	v_cmp_eq_u32_e32 vcc, 0, v32
	v_sub_u32_e32 v64, v8, v27
	v_sub_u32_e32 v30, v8, v30
	v_cndmask_b32_e32 v32, 0, v22, vcc
	v_cmp_eq_u32_e32 vcc, 0, v37
	v_or_b32_e32 v37, v57, v32
	v_or3_b32 v37, v37, v56, v55
	v_xor_b32_e32 v9, v37, v9
	v_cndmask_b32_e32 v37, 0, v22, vcc
	v_or_b32_e32 v59, v61, v37
	v_or3_b32 v59, v59, v60, v54
	v_xor_b32_e32 v11, v59, v11
	v_or_b32_e32 v59, v44, v45
	v_or3_b32 v59, v59, v43, v42
	v_xor_b32_e32 v59, v59, v13
	;; [unrolled: 3-line block ×3, first 2 shown]
	v_mad_i64_i32 v[12:13], s[0:1], v19, 36, v[2:3]
	v_sub_u32_e32 v31, v8, v31
	v_sub_u32_e32 v55, v9, v55
	;; [unrolled: 1-line block ×9, first 2 shown]
	global_load_dwordx4 v[8:11], v[12:13], off
	v_sub_u32_e32 v46, v24, v46
	v_sub_u32_e32 v47, v24, v47
	;; [unrolled: 1-line block ×4, first 2 shown]
	global_load_dwordx4 v[24:27], v[12:13], off offset:16
	global_load_dword v58, v[12:13], off offset:32
	v_sub_u32_e32 v42, v59, v42
	v_sub_u32_e32 v43, v59, v43
	;; [unrolled: 1-line block ×8, first 2 shown]
	v_and_b32_e32 v40, 0xff00, v40
	v_perm_b32 v39, v39, v41, s15
	v_mov_b32_e32 v52, 0
	v_perm_b32 v31, v64, v31, s15
	v_perm_b32 v32, v56, v32, s15
	v_and_b32_e32 v56, 0xff000000, v63
	v_and_b32_e32 v41, 0xff000000, v42
	v_and_b32_e32 v42, 0xff00, v44
	v_perm_b32 v43, v43, v45, s15
	v_and_b32_e32 v44, 0xff000000, v46
	v_perm_b32 v46, v47, v49, s15
	v_and_b32_e32 v12, 0xff000000, v12
	v_and_b32_e32 v47, 0xff00, v50
	v_perm_b32 v13, v13, v51, s15
	v_and_b32_e32 v30, 0xff00, v30
	v_or3_b32 v38, v39, v38, v40
	v_mov_b32_e32 v53, 0
	v_and_b32_e32 v55, 0xff000000, v55
	v_and_b32_e32 v45, 0xff00, v48
	;; [unrolled: 1-line block ×3, first 2 shown]
	v_or3_b32 v39, v43, v41, v42
	v_or3_b32 v12, v13, v12, v47
	;; [unrolled: 1-line block ×3, first 2 shown]
	v_perm_b32 v34, v34, v36, s15
	v_and_b32_e32 v33, 0xff000000, v33
	v_and_b32_e32 v35, 0xff00, v35
	v_or3_b32 v40, v46, v44, v45
	v_or3_b32 v30, v32, v55, v48
	v_and_b32_e32 v54, 0xff000000, v54
	v_perm_b32 v37, v60, v37, s15
	v_and_b32_e32 v49, 0xff00, v61
	v_or3_b32 v31, v34, v33, v35
	v_or3_b32 v32, v37, v54, v49
	v_lshrrev_b16_e32 v36, 4, v29
	v_and_b32_e32 v29, 15, v29
	v_cvt_f32_ubyte0_e32 v36, v36
	v_cvt_f32_ubyte0_e32 v29, v29
	v_add_f32_e32 v36, 0.5, v36
	v_add_f32_e32 v29, 0.5, v29
	v_cmp_le_u32_e32 vcc, s2, v16
	v_add_u32_e32 v19, 64, v19
	s_or_b64 s[10:11], vcc, s[10:11]
	s_waitcnt vmcnt(2)
	v_dot4c_i32_i8_e32 v53, v13, v9
	v_dot4c_i32_i8_e32 v53, v30, v10
	;; [unrolled: 1-line block ×3, first 2 shown]
	v_cvt_f32_f16_e32 v8, v8
	s_waitcnt vmcnt(1)
	v_dot4c_i32_i8_e32 v52, v38, v25
	v_dot4c_i32_i8_e32 v52, v39, v26
	;; [unrolled: 1-line block ×3, first 2 shown]
	s_waitcnt vmcnt(0)
	v_dot4c_i32_i8_e32 v52, v12, v58
	v_dot4c_i32_i8_e32 v53, v32, v24
	v_mul_f32_e32 v8, v28, v8
	v_mul_f32_e32 v8, 0x3e800000, v8
	v_cvt_f32_i32_e32 v9, v52
	v_cvt_f32_i32_e32 v10, v53
	v_mul_f32_e32 v9, v36, v9
	v_fmac_f32_e32 v9, v29, v10
	v_fmac_f32_e32 v17, v8, v9
	s_andn2_b64 exec, exec, s[10:11]
	s_cbranch_execnz .LBB114_3
; %bb.4:
	s_or_b64 exec, exec, s[10:11]
.LBB114_5:
	s_or_b64 exec, exec, s[8:9]
	v_mbcnt_lo_u32_b32 v0, -1, 0
	v_mbcnt_hi_u32_b32 v1, -1, v0
	v_and_b32_e32 v0, 64, v1
	v_add_u32_e32 v2, 64, v0
	v_xor_b32_e32 v0, 32, v1
	v_cmp_lt_i32_e32 vcc, v0, v2
	v_xor_b32_e32 v3, 16, v1
	v_xor_b32_e32 v4, 8, v1
	v_cndmask_b32_e32 v0, v1, v0, vcc
	v_lshlrev_b32_e32 v0, 2, v0
	ds_bpermute_b32 v0, v0, v17
	v_cmp_lt_i32_e32 vcc, v3, v2
	s_waitcnt lgkmcnt(0)
	v_add_f32_e32 v0, v17, v0
	v_cndmask_b32_e32 v3, v1, v3, vcc
	v_lshlrev_b32_e32 v3, 2, v3
	ds_bpermute_b32 v3, v3, v0
	v_cmp_lt_i32_e32 vcc, v4, v2
	s_waitcnt lgkmcnt(0)
	v_add_f32_e32 v0, v0, v3
	v_cndmask_b32_e32 v3, v1, v4, vcc
	v_lshlrev_b32_e32 v3, 2, v3
	ds_bpermute_b32 v3, v3, v0
	v_xor_b32_e32 v4, 4, v1
	v_cmp_lt_i32_e32 vcc, v4, v2
	s_waitcnt lgkmcnt(0)
	v_add_f32_e32 v0, v0, v3
	v_cndmask_b32_e32 v3, v1, v4, vcc
	v_lshlrev_b32_e32 v3, 2, v3
	ds_bpermute_b32 v3, v3, v0
	v_xor_b32_e32 v4, 2, v1
	;; [unrolled: 7-line block ×3, first 2 shown]
	v_cmp_lt_i32_e32 vcc, v4, v2
	s_waitcnt lgkmcnt(0)
	v_add_f32_e32 v0, v0, v3
	v_cndmask_b32_e32 v1, v1, v4, vcc
	v_lshlrev_b32_e32 v1, 2, v1
	ds_bpermute_b32 v1, v1, v0
	v_cmp_eq_u32_e32 vcc, 0, v15
	s_and_b64 exec, exec, vcc
	s_cbranch_execz .LBB114_7
; %bb.6:
	s_waitcnt lgkmcnt(0)
	v_add_f32_e32 v0, v0, v1
	v_bfe_u32 v1, v0, 16, 1
	s_movk_i32 s0, 0x7fff
	v_add3_u32 v1, v0, v1, s0
	v_lshrrev_b32_e32 v1, 16, v1
	v_mov_b32_e32 v2, 0x7fc0
	v_cmp_o_f32_e32 vcc, v0, v0
	s_mul_i32 s3, s3, s5
	v_add_u32_e32 v0, s3, v14
	v_cndmask_b32_e32 v2, v2, v1, vcc
	v_mov_b32_e32 v1, 0
	v_lshl_add_u64 v[0:1], v[0:1], 1, s[6:7]
	global_store_short v[0:1], v2, off
.LBB114_7:
	s_endpgm
	.section	.rodata,"a",@progbits
	.p2align	6, 0x0
	.amdhsa_kernel _ZL13mul_mat_vec_qIN3c108BFloat16ELi256ELi8E11block_iq2_sLi1EXadL_ZL18vec_dot_iq2_s_q8_1PKvPK10block_q8_1RKiEEEvS4_S4_PT_iii
		.amdhsa_group_segment_fixed_size 0
		.amdhsa_private_segment_fixed_size 0
		.amdhsa_kernarg_size 296
		.amdhsa_user_sgpr_count 2
		.amdhsa_user_sgpr_dispatch_ptr 0
		.amdhsa_user_sgpr_queue_ptr 0
		.amdhsa_user_sgpr_kernarg_segment_ptr 1
		.amdhsa_user_sgpr_dispatch_id 0
		.amdhsa_user_sgpr_kernarg_preload_length 0
		.amdhsa_user_sgpr_kernarg_preload_offset 0
		.amdhsa_user_sgpr_private_segment_size 0
		.amdhsa_uses_dynamic_stack 0
		.amdhsa_enable_private_segment 0
		.amdhsa_system_sgpr_workgroup_id_x 1
		.amdhsa_system_sgpr_workgroup_id_y 1
		.amdhsa_system_sgpr_workgroup_id_z 0
		.amdhsa_system_sgpr_workgroup_info 0
		.amdhsa_system_vgpr_workitem_id 1
		.amdhsa_next_free_vgpr 65
		.amdhsa_next_free_sgpr 18
		.amdhsa_accum_offset 68
		.amdhsa_reserve_vcc 1
		.amdhsa_float_round_mode_32 0
		.amdhsa_float_round_mode_16_64 0
		.amdhsa_float_denorm_mode_32 3
		.amdhsa_float_denorm_mode_16_64 3
		.amdhsa_dx10_clamp 1
		.amdhsa_ieee_mode 1
		.amdhsa_fp16_overflow 0
		.amdhsa_tg_split 0
		.amdhsa_exception_fp_ieee_invalid_op 0
		.amdhsa_exception_fp_denorm_src 0
		.amdhsa_exception_fp_ieee_div_zero 0
		.amdhsa_exception_fp_ieee_overflow 0
		.amdhsa_exception_fp_ieee_underflow 0
		.amdhsa_exception_fp_ieee_inexact 0
		.amdhsa_exception_int_div_zero 0
	.end_amdhsa_kernel
	.section	.text._ZL13mul_mat_vec_qIN3c108BFloat16ELi256ELi8E11block_iq2_sLi1EXadL_ZL18vec_dot_iq2_s_q8_1PKvPK10block_q8_1RKiEEEvS4_S4_PT_iii,"axG",@progbits,_ZL13mul_mat_vec_qIN3c108BFloat16ELi256ELi8E11block_iq2_sLi1EXadL_ZL18vec_dot_iq2_s_q8_1PKvPK10block_q8_1RKiEEEvS4_S4_PT_iii,comdat
.Lfunc_end114:
	.size	_ZL13mul_mat_vec_qIN3c108BFloat16ELi256ELi8E11block_iq2_sLi1EXadL_ZL18vec_dot_iq2_s_q8_1PKvPK10block_q8_1RKiEEEvS4_S4_PT_iii, .Lfunc_end114-_ZL13mul_mat_vec_qIN3c108BFloat16ELi256ELi8E11block_iq2_sLi1EXadL_ZL18vec_dot_iq2_s_q8_1PKvPK10block_q8_1RKiEEEvS4_S4_PT_iii
                                        ; -- End function
	.section	.AMDGPU.csdata,"",@progbits
; Kernel info:
; codeLenInByte = 2260
; NumSgprs: 24
; NumVgprs: 65
; NumAgprs: 0
; TotalNumVgprs: 65
; ScratchSize: 0
; MemoryBound: 0
; FloatMode: 240
; IeeeMode: 1
; LDSByteSize: 0 bytes/workgroup (compile time only)
; SGPRBlocks: 2
; VGPRBlocks: 8
; NumSGPRsForWavesPerEU: 24
; NumVGPRsForWavesPerEU: 65
; AccumOffset: 68
; Occupancy: 7
; WaveLimiterHint : 0
; COMPUTE_PGM_RSRC2:SCRATCH_EN: 0
; COMPUTE_PGM_RSRC2:USER_SGPR: 2
; COMPUTE_PGM_RSRC2:TRAP_HANDLER: 0
; COMPUTE_PGM_RSRC2:TGID_X_EN: 1
; COMPUTE_PGM_RSRC2:TGID_Y_EN: 1
; COMPUTE_PGM_RSRC2:TGID_Z_EN: 0
; COMPUTE_PGM_RSRC2:TIDIG_COMP_CNT: 1
; COMPUTE_PGM_RSRC3_GFX90A:ACCUM_OFFSET: 16
; COMPUTE_PGM_RSRC3_GFX90A:TG_SPLIT: 0
	.section	.text._ZL13mul_mat_vec_qIN3c108BFloat16ELi256ELi8E12block_iq4_xsLi1EXadL_ZL19vec_dot_iq4_xs_q8_1PKvPK10block_q8_1RKiEEEvS4_S4_PT_iii,"axG",@progbits,_ZL13mul_mat_vec_qIN3c108BFloat16ELi256ELi8E12block_iq4_xsLi1EXadL_ZL19vec_dot_iq4_xs_q8_1PKvPK10block_q8_1RKiEEEvS4_S4_PT_iii,comdat
	.globl	_ZL13mul_mat_vec_qIN3c108BFloat16ELi256ELi8E12block_iq4_xsLi1EXadL_ZL19vec_dot_iq4_xs_q8_1PKvPK10block_q8_1RKiEEEvS4_S4_PT_iii ; -- Begin function _ZL13mul_mat_vec_qIN3c108BFloat16ELi256ELi8E12block_iq4_xsLi1EXadL_ZL19vec_dot_iq4_xs_q8_1PKvPK10block_q8_1RKiEEEvS4_S4_PT_iii
	.p2align	8
	.type	_ZL13mul_mat_vec_qIN3c108BFloat16ELi256ELi8E12block_iq4_xsLi1EXadL_ZL19vec_dot_iq4_xs_q8_1PKvPK10block_q8_1RKiEEEvS4_S4_PT_iii,@function
_ZL13mul_mat_vec_qIN3c108BFloat16ELi256ELi8E12block_iq4_xsLi1EXadL_ZL19vec_dot_iq4_xs_q8_1PKvPK10block_q8_1RKiEEEvS4_S4_PT_iii: ; @_ZL13mul_mat_vec_qIN3c108BFloat16ELi256ELi8E12block_iq4_xsLi1EXadL_ZL19vec_dot_iq4_xs_q8_1PKvPK10block_q8_1RKiEEEvS4_S4_PT_iii
; %bb.0:
	s_load_dword s8, s[0:1], 0x34
	s_load_dwordx4 s[4:7], s[0:1], 0x18
	v_bfe_u32 v1, v0, 10, 10
	s_waitcnt lgkmcnt(0)
	s_lshr_b32 s7, s8, 16
	s_mul_i32 s2, s2, s7
	v_add_u32_e32 v18, s2, v1
	s_cmp_lt_u32 s3, s6
	v_cmp_gt_u32_e32 vcc, s5, v18
	s_cselect_b64 s[6:7], -1, 0
	s_and_b64 s[6:7], s[6:7], vcc
	s_and_saveexec_b64 s[8:9], s[6:7]
	s_cbranch_execz .LBB115_7
; %bb.1:
	s_load_dwordx2 s[6:7], s[0:1], 0x10
	s_ashr_i32 s2, s4, 31
	s_lshr_b32 s2, s2, 24
	s_add_i32 s2, s4, s2
	v_and_b32_e32 v19, 0x3ff, v0
	s_ashr_i32 s2, s2, 8
	v_lshrrev_b32_e32 v20, 3, v19
	v_cmp_gt_u32_e32 vcc, s2, v20
	v_mov_b32_e32 v21, 0
	s_and_saveexec_b64 s[8:9], vcc
	s_cbranch_execz .LBB115_5
; %bb.2:
	s_load_dwordx4 s[12:15], s[0:1], 0x0
	s_add_i32 s0, s4, 0x1ff
	s_ashr_i32 s1, s0, 31
	s_lshr_b32 s1, s1, 23
	s_add_i32 s0, s0, s1
	s_ashr_i32 s0, s0, 9
	v_and_b32_e32 v1, 7, v19
	s_mul_i32 s4, s3, s0
	s_waitcnt lgkmcnt(0)
	v_mad_u64_u32 v[8:9], s[0:1], v1, 36, s[14:15]
	v_lshlrev_b32_e32 v0, 2, v1
	v_mov_b32_e32 v11, 0
	v_lshlrev_b32_e32 v2, 2, v19
	v_lshlrev_b32_e32 v24, 1, v1
	;; [unrolled: 1-line block ×3, first 2 shown]
	v_mul_lo_u32 v22, v18, s2
	v_bfe_u32 v10, v19, 1, 2
	v_and_b32_e32 v23, 4, v2
	v_lshl_add_u32 v25, s4, 4, v1
	s_mov_b64 s[0:1], 0
	s_movk_i32 s4, 0x88
	v_mov_b64_e32 v[12:13], s[12:13]
	v_lshlrev_b32_e32 v14, 2, v0
	v_mov_b32_e32 v15, v11
	v_mov_b32_e32 v21, v11
.LBB115_3:                              ; =>This Inner Loop Header: Depth=1
	v_add_u32_e32 v0, v22, v20
	v_mad_i64_i32 v[26:27], s[12:13], v0, s4, v[12:13]
	v_lshl_add_u64 v[28:29], v[26:27], 0, v[14:15]
	v_mad_i64_i32 v[16:17], s[10:11], v25, 36, v[8:9]
	v_lshl_add_u64 v[30:31], v[26:27], 0, v[10:11]
	global_load_dwordx4 v[4:7], v[28:29], off offset:8
	global_load_ubyte v32, v[30:31], off offset:4
	global_load_dwordx4 v[0:3], v[16:17], off
	s_getpc_b64 s[10:11]
	s_add_u32 s10, s10, _ZL13kvalues_iq4nl@rel32@lo+4
	s_addc_u32 s11, s11, _ZL13kvalues_iq4nl@rel32@hi+12
	v_add_u32_e32 v20, 8, v20
	v_cmp_le_u32_e32 vcc, s2, v20
	v_add_u32_e32 v25, 64, v25
	s_or_b64 s[0:1], vcc, s[0:1]
	s_waitcnt vmcnt(2)
	v_bfe_u32 v28, v4, 24, 4
	v_and_b32_e32 v29, 15, v4
	v_bfe_u32 v30, v4, 8, 4
	v_bfe_u32 v31, v4, 16, 4
	v_bfe_u32 v33, v4, 20, 4
	v_lshrrev_b32_e32 v34, 28, v4
	v_bfe_u32 v35, v4, 4, 4
	v_bfe_u32 v36, v4, 12, 4
	v_bfe_u32 v37, v5, 24, 4
	v_and_b32_e32 v38, 15, v5
	v_bfe_u32 v39, v5, 8, 4
	v_bfe_u32 v40, v5, 16, 4
	v_bfe_u32 v41, v5, 20, 4
	v_lshrrev_b32_e32 v42, 28, v5
	v_bfe_u32 v43, v5, 4, 4
	v_bfe_u32 v44, v5, 12, 4
	;; [unrolled: 8-line block ×3, first 2 shown]
	v_bfe_u32 v53, v7, 24, 4
	v_bfe_u32 v55, v7, 8, 4
	;; [unrolled: 1-line block ×5, first 2 shown]
	v_and_b32_e32 v54, 15, v7
	v_lshrrev_b32_e32 v58, 28, v7
	v_bfe_u32 v59, v7, 4, 4
	global_load_dwordx4 v[4:7], v[16:17], off offset:16
	global_load_dword v61, v[26:27], off
	global_load_ubyte v62, v36, s[10:11]
	global_load_ubyte v63, v30, s[10:11]
                                        ; kill: killed $vgpr30
                                        ; kill: killed $vgpr26_vgpr27
                                        ; kill: killed $vgpr36
	s_nop 0
	global_load_ubyte v26, v31, s[10:11]
	global_load_ubyte v27, v33, s[10:11]
	;; [unrolled: 1-line block ×4, first 2 shown]
                                        ; kill: killed $vgpr35
                                        ; kill: killed $vgpr34
                                        ; kill: killed $vgpr33
                                        ; kill: killed $vgpr31
	s_nop 0
	global_load_ubyte v31, v29, s[10:11]
	global_load_ubyte v33, v28, s[10:11]
	;; [unrolled: 1-line block ×4, first 2 shown]
                                        ; kill: killed $vgpr44
                                        ; kill: killed $vgpr39
                                        ; kill: killed $vgpr29
                                        ; kill: killed $vgpr28
	s_nop 0
	global_load_ubyte v28, v40, s[10:11]
	global_load_ubyte v29, v41, s[10:11]
	;; [unrolled: 1-line block ×4, first 2 shown]
                                        ; kill: killed $vgpr43
                                        ; kill: killed $vgpr41
                                        ; kill: killed $vgpr40
                                        ; kill: killed $vgpr42
	s_nop 0
	global_load_ubyte v40, v38, s[10:11]
	global_load_ubyte v41, v37, s[10:11]
	;; [unrolled: 1-line block ×4, first 2 shown]
                                        ; kill: killed $vgpr52
                                        ; kill: killed $vgpr37
                                        ; kill: killed $vgpr47
                                        ; kill: killed $vgpr38
	s_nop 0
	global_load_ubyte v37, v48, s[10:11]
	global_load_ubyte v38, v49, s[10:11]
	;; [unrolled: 1-line block ×4, first 2 shown]
                                        ; kill: killed $vgpr51
                                        ; kill: killed $vgpr49
                                        ; kill: killed $vgpr48
                                        ; kill: killed $vgpr50
	s_nop 0
	global_load_ubyte v48, v46, s[10:11]
	global_load_ubyte v49, v45, s[10:11]
	;; [unrolled: 1-line block ×4, first 2 shown]
                                        ; kill: killed $vgpr60
                                        ; kill: killed $vgpr45
                                        ; kill: killed $vgpr55
                                        ; kill: killed $vgpr46
	s_nop 0
	global_load_ubyte v45, v56, s[10:11]
	global_load_ubyte v46, v57, s[10:11]
	global_load_ubyte v55, v58, s[10:11]
	global_load_ubyte v60, v53, s[10:11]
                                        ; kill: killed $vgpr53
                                        ; kill: killed $vgpr57
                                        ; kill: killed $vgpr56
                                        ; kill: killed $vgpr58
	s_nop 0
	global_load_ubyte v53, v54, s[10:11]
	global_load_ubyte v56, v59, s[10:11]
	global_load_dword v57, v[16:17], off offset:32
	v_mov_b32_e32 v16, 0
	v_mov_b32_e32 v17, 0
	s_waitcnt vmcnt(36)
	v_bfe_u32 v32, v32, v23, 4
	s_waitcnt vmcnt(35)
	v_cvt_f32_f16_e32 v0, v0
	s_waitcnt vmcnt(33)
	v_lshrrev_b32_sdwa v54, v24, v61 dst_sel:DWORD dst_unused:UNUSED_PAD src0_sel:DWORD src1_sel:WORD_1
	v_lshlrev_b32_e32 v54, 4, v54
	v_and_or_b32 v32, v54, 48, v32
	v_subrev_u32_e32 v32, 32, v32
	v_cvt_f32_f16_e32 v54, v61
	v_cvt_f32_i32_e32 v32, v32
	s_waitcnt vmcnt(30)
	v_lshlrev_b32_e32 v26, 16, v26
	s_waitcnt vmcnt(29)
	v_lshlrev_b32_e32 v27, 16, v27
	s_waitcnt vmcnt(28)
	v_lshl_or_b32 v30, v62, 8, v30
	s_waitcnt vmcnt(27)
	v_lshlrev_b32_e32 v36, 24, v36
	v_or3_b32 v27, v30, v27, v36
	v_dot4c_i32_i8_e32 v17, v27, v5
	s_waitcnt vmcnt(26)
	v_lshl_or_b32 v31, v63, 8, v31
	s_waitcnt vmcnt(25)
	v_lshlrev_b32_e32 v33, 24, v33
	v_or3_b32 v26, v31, v26, v33
	v_dot4c_i32_i8_e32 v16, v26, v1
	s_waitcnt vmcnt(22)
	v_lshlrev_b32_e32 v28, 16, v28
	s_waitcnt vmcnt(21)
	v_lshlrev_b32_e32 v29, 16, v29
	s_waitcnt vmcnt(20)
	v_lshl_or_b32 v34, v34, 8, v39
	s_waitcnt vmcnt(18)
	v_lshl_or_b32 v35, v35, 8, v40
	s_waitcnt vmcnt(17)
	v_lshlrev_b32_e32 v41, 24, v41
	v_lshlrev_b32_e32 v40, 24, v44
	v_or3_b32 v28, v35, v28, v41
	v_or3_b32 v29, v34, v29, v40
	v_dot4c_i32_i8_e32 v16, v28, v2
	v_dot4c_i32_i8_e32 v17, v29, v6
	v_mul_f32_e32 v2, v54, v32
	s_waitcnt vmcnt(14)
	v_lshlrev_b32_e32 v37, 16, v37
	s_waitcnt vmcnt(13)
	v_lshlrev_b32_e32 v38, 16, v38
	s_waitcnt vmcnt(12)
	v_lshl_or_b32 v42, v42, 8, v47
	s_waitcnt vmcnt(11)
	v_lshlrev_b32_e32 v44, 24, v52
	v_or3_b32 v31, v42, v38, v44
	v_dot4c_i32_i8_e32 v17, v31, v7
	v_mul_f32_e32 v0, v2, v0
	s_waitcnt vmcnt(10)
	v_lshl_or_b32 v43, v43, 8, v48
	s_waitcnt vmcnt(9)
	v_lshlrev_b32_e32 v39, 24, v49
	v_or3_b32 v30, v43, v37, v39
	v_dot4c_i32_i8_e32 v16, v30, v3
	s_waitcnt vmcnt(6)
	v_lshlrev_b32_e32 v45, 16, v45
	s_waitcnt vmcnt(5)
	v_lshlrev_b32_e32 v46, 16, v46
	s_waitcnt vmcnt(4)
	v_lshlrev_b32_e32 v49, 24, v55
	s_waitcnt vmcnt(3)
	v_lshlrev_b32_e32 v47, 24, v60
	s_waitcnt vmcnt(2)
	v_lshl_or_b32 v48, v51, 8, v53
	s_waitcnt vmcnt(1)
	v_lshl_or_b32 v50, v50, 8, v56
	v_or3_b32 v33, v48, v45, v47
	v_or3_b32 v34, v50, v46, v49
	v_dot4c_i32_i8_e32 v16, v33, v4
	s_waitcnt vmcnt(0)
	v_dot4c_i32_i8_e32 v17, v34, v57
	s_nop 2
	v_add_u32_e32 v1, v17, v16
	v_cvt_f32_i32_e32 v1, v1
	v_fmac_f32_e32 v21, v0, v1
	s_andn2_b64 exec, exec, s[0:1]
	s_cbranch_execnz .LBB115_3
; %bb.4:
	s_or_b64 exec, exec, s[0:1]
.LBB115_5:
	s_or_b64 exec, exec, s[8:9]
	v_mbcnt_lo_u32_b32 v0, -1, 0
	v_mbcnt_hi_u32_b32 v1, -1, v0
	v_and_b32_e32 v0, 64, v1
	v_add_u32_e32 v2, 64, v0
	v_xor_b32_e32 v0, 32, v1
	v_cmp_lt_i32_e32 vcc, v0, v2
	v_xor_b32_e32 v3, 16, v1
	v_xor_b32_e32 v4, 8, v1
	v_cndmask_b32_e32 v0, v1, v0, vcc
	v_lshlrev_b32_e32 v0, 2, v0
	ds_bpermute_b32 v0, v0, v21
	v_cmp_lt_i32_e32 vcc, v3, v2
	s_waitcnt lgkmcnt(0)
	v_add_f32_e32 v0, v21, v0
	v_cndmask_b32_e32 v3, v1, v3, vcc
	v_lshlrev_b32_e32 v3, 2, v3
	ds_bpermute_b32 v3, v3, v0
	v_cmp_lt_i32_e32 vcc, v4, v2
	s_waitcnt lgkmcnt(0)
	v_add_f32_e32 v0, v0, v3
	v_cndmask_b32_e32 v3, v1, v4, vcc
	v_lshlrev_b32_e32 v3, 2, v3
	ds_bpermute_b32 v3, v3, v0
	v_xor_b32_e32 v4, 4, v1
	v_cmp_lt_i32_e32 vcc, v4, v2
	s_waitcnt lgkmcnt(0)
	v_add_f32_e32 v0, v0, v3
	v_cndmask_b32_e32 v3, v1, v4, vcc
	v_lshlrev_b32_e32 v3, 2, v3
	ds_bpermute_b32 v3, v3, v0
	v_xor_b32_e32 v4, 2, v1
	;; [unrolled: 7-line block ×3, first 2 shown]
	v_cmp_lt_i32_e32 vcc, v4, v2
	s_waitcnt lgkmcnt(0)
	v_add_f32_e32 v0, v0, v3
	v_cndmask_b32_e32 v1, v1, v4, vcc
	v_lshlrev_b32_e32 v1, 2, v1
	ds_bpermute_b32 v1, v1, v0
	v_cmp_eq_u32_e32 vcc, 0, v19
	s_and_b64 exec, exec, vcc
	s_cbranch_execz .LBB115_7
; %bb.6:
	s_waitcnt lgkmcnt(0)
	v_add_f32_e32 v0, v0, v1
	v_bfe_u32 v1, v0, 16, 1
	s_movk_i32 s0, 0x7fff
	v_add3_u32 v1, v0, v1, s0
	v_lshrrev_b32_e32 v1, 16, v1
	v_mov_b32_e32 v2, 0x7fc0
	v_cmp_o_f32_e32 vcc, v0, v0
	s_mul_i32 s3, s3, s5
	v_add_u32_e32 v0, s3, v18
	v_cndmask_b32_e32 v2, v2, v1, vcc
	v_mov_b32_e32 v1, 0
	v_lshl_add_u64 v[0:1], v[0:1], 1, s[6:7]
	global_store_short v[0:1], v2, off
.LBB115_7:
	s_endpgm
	.section	.rodata,"a",@progbits
	.p2align	6, 0x0
	.amdhsa_kernel _ZL13mul_mat_vec_qIN3c108BFloat16ELi256ELi8E12block_iq4_xsLi1EXadL_ZL19vec_dot_iq4_xs_q8_1PKvPK10block_q8_1RKiEEEvS4_S4_PT_iii
		.amdhsa_group_segment_fixed_size 0
		.amdhsa_private_segment_fixed_size 0
		.amdhsa_kernarg_size 296
		.amdhsa_user_sgpr_count 2
		.amdhsa_user_sgpr_dispatch_ptr 0
		.amdhsa_user_sgpr_queue_ptr 0
		.amdhsa_user_sgpr_kernarg_segment_ptr 1
		.amdhsa_user_sgpr_dispatch_id 0
		.amdhsa_user_sgpr_kernarg_preload_length 0
		.amdhsa_user_sgpr_kernarg_preload_offset 0
		.amdhsa_user_sgpr_private_segment_size 0
		.amdhsa_uses_dynamic_stack 0
		.amdhsa_enable_private_segment 0
		.amdhsa_system_sgpr_workgroup_id_x 1
		.amdhsa_system_sgpr_workgroup_id_y 1
		.amdhsa_system_sgpr_workgroup_id_z 0
		.amdhsa_system_sgpr_workgroup_info 0
		.amdhsa_system_vgpr_workitem_id 1
		.amdhsa_next_free_vgpr 64
		.amdhsa_next_free_sgpr 16
		.amdhsa_accum_offset 64
		.amdhsa_reserve_vcc 1
		.amdhsa_float_round_mode_32 0
		.amdhsa_float_round_mode_16_64 0
		.amdhsa_float_denorm_mode_32 3
		.amdhsa_float_denorm_mode_16_64 3
		.amdhsa_dx10_clamp 1
		.amdhsa_ieee_mode 1
		.amdhsa_fp16_overflow 0
		.amdhsa_tg_split 0
		.amdhsa_exception_fp_ieee_invalid_op 0
		.amdhsa_exception_fp_denorm_src 0
		.amdhsa_exception_fp_ieee_div_zero 0
		.amdhsa_exception_fp_ieee_overflow 0
		.amdhsa_exception_fp_ieee_underflow 0
		.amdhsa_exception_fp_ieee_inexact 0
		.amdhsa_exception_int_div_zero 0
	.end_amdhsa_kernel
	.section	.text._ZL13mul_mat_vec_qIN3c108BFloat16ELi256ELi8E12block_iq4_xsLi1EXadL_ZL19vec_dot_iq4_xs_q8_1PKvPK10block_q8_1RKiEEEvS4_S4_PT_iii,"axG",@progbits,_ZL13mul_mat_vec_qIN3c108BFloat16ELi256ELi8E12block_iq4_xsLi1EXadL_ZL19vec_dot_iq4_xs_q8_1PKvPK10block_q8_1RKiEEEvS4_S4_PT_iii,comdat
.Lfunc_end115:
	.size	_ZL13mul_mat_vec_qIN3c108BFloat16ELi256ELi8E12block_iq4_xsLi1EXadL_ZL19vec_dot_iq4_xs_q8_1PKvPK10block_q8_1RKiEEEvS4_S4_PT_iii, .Lfunc_end115-_ZL13mul_mat_vec_qIN3c108BFloat16ELi256ELi8E12block_iq4_xsLi1EXadL_ZL19vec_dot_iq4_xs_q8_1PKvPK10block_q8_1RKiEEEvS4_S4_PT_iii
                                        ; -- End function
	.section	.AMDGPU.csdata,"",@progbits
; Kernel info:
; codeLenInByte = 1600
; NumSgprs: 22
; NumVgprs: 64
; NumAgprs: 0
; TotalNumVgprs: 64
; ScratchSize: 0
; MemoryBound: 0
; FloatMode: 240
; IeeeMode: 1
; LDSByteSize: 0 bytes/workgroup (compile time only)
; SGPRBlocks: 2
; VGPRBlocks: 7
; NumSGPRsForWavesPerEU: 22
; NumVGPRsForWavesPerEU: 64
; AccumOffset: 64
; Occupancy: 8
; WaveLimiterHint : 0
; COMPUTE_PGM_RSRC2:SCRATCH_EN: 0
; COMPUTE_PGM_RSRC2:USER_SGPR: 2
; COMPUTE_PGM_RSRC2:TRAP_HANDLER: 0
; COMPUTE_PGM_RSRC2:TGID_X_EN: 1
; COMPUTE_PGM_RSRC2:TGID_Y_EN: 1
; COMPUTE_PGM_RSRC2:TGID_Z_EN: 0
; COMPUTE_PGM_RSRC2:TIDIG_COMP_CNT: 1
; COMPUTE_PGM_RSRC3_GFX90A:ACCUM_OFFSET: 15
; COMPUTE_PGM_RSRC3_GFX90A:TG_SPLIT: 0
	.section	.text._ZL13mul_mat_vec_qIN3c108BFloat16ELi256ELi8E11block_iq1_mLi1EXadL_ZL18vec_dot_iq1_m_q8_1PKvPK10block_q8_1RKiEEEvS4_S4_PT_iii,"axG",@progbits,_ZL13mul_mat_vec_qIN3c108BFloat16ELi256ELi8E11block_iq1_mLi1EXadL_ZL18vec_dot_iq1_m_q8_1PKvPK10block_q8_1RKiEEEvS4_S4_PT_iii,comdat
	.globl	_ZL13mul_mat_vec_qIN3c108BFloat16ELi256ELi8E11block_iq1_mLi1EXadL_ZL18vec_dot_iq1_m_q8_1PKvPK10block_q8_1RKiEEEvS4_S4_PT_iii ; -- Begin function _ZL13mul_mat_vec_qIN3c108BFloat16ELi256ELi8E11block_iq1_mLi1EXadL_ZL18vec_dot_iq1_m_q8_1PKvPK10block_q8_1RKiEEEvS4_S4_PT_iii
	.p2align	8
	.type	_ZL13mul_mat_vec_qIN3c108BFloat16ELi256ELi8E11block_iq1_mLi1EXadL_ZL18vec_dot_iq1_m_q8_1PKvPK10block_q8_1RKiEEEvS4_S4_PT_iii,@function
_ZL13mul_mat_vec_qIN3c108BFloat16ELi256ELi8E11block_iq1_mLi1EXadL_ZL18vec_dot_iq1_m_q8_1PKvPK10block_q8_1RKiEEEvS4_S4_PT_iii: ; @_ZL13mul_mat_vec_qIN3c108BFloat16ELi256ELi8E11block_iq1_mLi1EXadL_ZL18vec_dot_iq1_m_q8_1PKvPK10block_q8_1RKiEEEvS4_S4_PT_iii
; %bb.0:
	s_load_dword s8, s[0:1], 0x34
	s_load_dwordx4 s[4:7], s[0:1], 0x18
	v_bfe_u32 v1, v0, 10, 10
	s_waitcnt lgkmcnt(0)
	s_lshr_b32 s7, s8, 16
	s_mul_i32 s2, s2, s7
	v_add_u32_e32 v9, s2, v1
	s_cmp_lt_u32 s3, s6
	v_cmp_gt_u32_e32 vcc, s5, v9
	s_cselect_b64 s[6:7], -1, 0
	s_and_b64 s[6:7], s[6:7], vcc
	s_and_saveexec_b64 s[8:9], s[6:7]
	s_cbranch_execz .LBB116_7
; %bb.1:
	s_load_dwordx2 s[6:7], s[0:1], 0x10
	s_ashr_i32 s2, s4, 31
	s_lshr_b32 s2, s2, 24
	s_add_i32 s2, s4, s2
	v_and_b32_e32 v18, 0x3ff, v0
	s_ashr_i32 s14, s2, 8
	v_lshrrev_b32_e32 v19, 3, v18
	v_cmp_gt_u32_e32 vcc, s14, v19
	v_mov_b32_e32 v21, 0
	s_and_saveexec_b64 s[12:13], vcc
	s_cbranch_execz .LBB116_5
; %bb.2:
	s_load_dwordx4 s[8:11], s[0:1], 0x0
	s_add_i32 s0, s4, 0x1ff
	s_ashr_i32 s1, s0, 31
	s_lshr_b32 s1, s1, 23
	s_add_i32 s0, s0, s1
	s_ashr_i32 s0, s0, 9
	v_and_b32_e32 v1, 1, v18
	s_mul_i32 s0, s3, s0
	v_and_b32_e32 v8, 7, v18
	v_mov_b32_e32 v11, 0
	v_bfe_u32 v0, v18, 1, 2
	v_cmp_eq_u32_e32 vcc, 1, v1
	v_lshlrev_b32_e32 v1, 3, v19
	s_mov_b32 s18, 0xbf600000
	v_mul_lo_u32 v20, v9, s14
	v_lshlrev_b32_e32 v10, 1, v8
	v_cndmask_b32_e64 v22, 0, 6, vcc
	v_lshl_add_u32 v23, s0, 4, v1
	s_mov_b64 s[0:1], 0
	v_lshlrev_b32_e32 v12, 2, v8
	s_mov_b32 s4, 0x40008
	s_movk_i32 s15, 0xf000
	v_lshlrev_b32_e32 v14, 1, v0
	s_movk_i32 s16, 0x700
	s_mov_b32 s2, 0x3d000000
	v_mov_b64_e32 v[16:17], s[18:19]
	v_mov_b32_e32 v13, v11
	v_mov_b32_e32 v15, v11
	;; [unrolled: 1-line block ×4, first 2 shown]
.LBB116_3:                              ; =>This Inner Loop Header: Depth=1
	v_add_u32_e32 v0, v20, v19
	s_waitcnt lgkmcnt(0)
	v_mad_i64_i32 v[26:27], s[18:19], v0, 56, s[8:9]
	v_lshl_add_u64 v[0:1], v[26:27], 0, v[12:13]
	v_lshl_add_u64 v[2:3], v[26:27], 0, v[10:11]
	global_load_dword v25, v[0:1], off
	global_load_ushort v30, v[2:3], off offset:32
	v_mad_i64_i32 v[0:1], s[18:19], v23, 36, s[10:11]
	v_mad_u64_u32 v[28:29], s[20:21], v8, 36, v[0:1]
	s_getpc_b64 s[18:19]
	s_add_u32 s18, s18, _ZL13iq1s_grid_gpu@rel32@lo+4
	s_addc_u32 s19, s19, _ZL13iq1s_grid_gpu@rel32@hi+12
	global_load_dword v36, v[28:29], off offset:32
	global_load_dwordx4 v[4:7], v[28:29], off
	global_load_dwordx4 v[0:3], v[28:29], off offset:16
	v_lshl_add_u64 v[28:29], v[26:27], 0, v[14:15]
	global_load_dwordx2 v[26:27], v[26:27], off offset:48
	v_mov_b32_e32 v42, 0
	v_mov_b32_e32 v43, 0
	v_add_u32_e32 v19, 8, v19
	v_cmp_le_u32_e32 vcc, s14, v19
	v_add_u32_e32 v23, 64, v23
	s_or_b64 s[0:1], vcc, s[0:1]
	s_waitcnt vmcnt(5)
	v_and_b32_e32 v31, 0xff, v25
	s_waitcnt vmcnt(4)
	v_lshlrev_b32_e32 v34, 8, v30
	v_lshrrev_b16_e32 v37, 4, v30
	v_and_or_b32 v31, v34, s16, v31
	v_and_b32_e32 v34, 15, v37
	v_bfe_u32 v32, v25, 8, 8
	v_lshrrev_b16_e32 v35, 12, v30
	v_lshlrev_b32_e32 v34, 8, v34
	v_bfe_u32 v33, v25, 16, 8
	v_lshlrev_b32_sdwa v38, v24, v30 dst_sel:DWORD dst_unused:UNUSED_PAD src0_sel:DWORD src1_sel:BYTE_1
	v_alignbit_b32 v25, v35, v25, 24
	v_lshlrev_b32_e32 v31, 3, v31
	v_and_or_b32 v32, v34, s16, v32
	v_and_or_b32 v33, v38, s16, v33
	v_and_b32_e32 v25, 0x7ff, v25
	global_load_dword v38, v31, s[18:19]
	v_lshlrev_b32_e32 v31, 3, v32
	v_lshlrev_b32_e32 v33, 3, v33
	;; [unrolled: 1-line block ×3, first 2 shown]
	global_load_dword v39, v31, s[18:19]
	global_load_dword v40, v33, s[18:19]
	;; [unrolled: 1-line block ×3, first 2 shown]
	global_load_ushort v32, v[28:29], off offset:48
	v_mov_b32_e32 v25, 0
	v_mov_b32_e32 v28, 0
	s_waitcnt vmcnt(7)
	v_dot4c_i32_i8_e32 v25, 0x1010101, v5
	s_waitcnt vmcnt(6)
	v_dot4c_i32_i8_e32 v28, 0x1010101, v1
	v_dot4c_i32_i8_e32 v25, 0x1010101, v6
	;; [unrolled: 1-line block ×3, first 2 shown]
	s_waitcnt vmcnt(5)
	v_alignbit_b32 v29, v27, v26, 16
	v_lshrrev_b16_e32 v34, 12, v26
	v_and_b32_sdwa v44, v27, s15 dst_sel:DWORD dst_unused:UNUSED_PAD src0_sel:WORD_1 src1_sel:DWORD
	v_and_b32_sdwa v27, v30, v24 dst_sel:DWORD dst_unused:UNUSED_PAD src0_sel:BYTE_1 src1_sel:DWORD
	v_and_b32_e32 v30, 8, v30
	v_cvt_f32_ubyte0_e32 v27, v27
	v_mov_b32_e32 v33, 0
	v_mov_b32_e32 v31, 0
	v_dot4c_i32_i8_e32 v33, 0x1010101, v7
	v_dot4c_i32_i8_e32 v31, 0x1010101, v3
	;; [unrolled: 1-line block ×4, first 2 shown]
	v_and_b32_e32 v35, 8, v35
	v_cvt_f32_f16_e32 v4, v4
	s_waitcnt vmcnt(0)
	v_lshrrev_b32_e32 v26, v22, v32
	v_pk_lshrrev_b16 v32, s4, v29
	v_cvt_f32_i32_e32 v29, v28
	v_cvt_f32_i32_e32 v28, v25
	v_lshlrev_b32_e32 v45, 1, v26
	v_lshrrev_b32_e32 v46, 2, v26
	v_cvt_f32_ubyte0_e32 v26, v30
	v_pk_fma_f32 v[26:27], v[26:27], s[2:3], v[16:17] op_sel_hi:[1,0,0] neg_lo:[1,0,0] neg_hi:[1,0,0]
	v_and_b32_e32 v25, 8, v37
	v_pk_fma_f32 v[26:27], v[26:27], v[28:29], 0 op_sel_hi:[1,1,0]
	v_and_b32_e32 v28, 0xf0f0f0f, v38
	v_lshrrev_b32_e32 v29, 4, v38
	v_and_b32_e32 v29, 0xf0f0f0f, v29
	v_dot4c_i32_i8_e32 v42, v28, v5
	v_and_b32_e32 v37, 0xf0000f0, v32
	v_dot4c_i32_i8_e32 v42, v29, v6
	v_and_b32_e32 v5, 0xf0f0f0f, v39
	v_and_b32_e32 v28, 0xf0f0f0f, v40
	v_lshrrev_b32_e32 v29, 4, v40
	v_cvt_f32_ubyte0_e32 v32, v25
	v_and_or_b32 v25, v45, 14, 1
	v_or_b32_e32 v45, v37, v34
	v_dot4c_i32_i8_e32 v42, v5, v7
	v_and_b32_e32 v5, 0xf0f0f0f, v29
	v_dot4c_i32_i8_e32 v43, v28, v1
	v_cvt_f32_ubyte0_e32 v34, v25
	v_or_b32_sdwa v25, v45, v37 dst_sel:DWORD dst_unused:UNUSED_PAD src0_sel:DWORD src1_sel:WORD_1
	v_lshrrev_b32_e32 v6, 4, v39
	v_and_b32_e32 v37, 0xf0f0f0f, v41
	v_lshrrev_b32_e32 v38, 4, v41
	v_dot4c_i32_i8_e32 v43, v5, v2
	v_and_b32_e32 v6, 0xf0f0f0f, v6
	v_and_b32_e32 v1, 0xf0f0f0f, v38
	v_dot4c_i32_i8_e32 v43, v37, v3
	v_cvt_f32_i32_e32 v31, v31
	v_cvt_f32_i32_e32 v30, v33
	v_dot4c_i32_i8_e32 v42, v6, v0
	v_dot4c_i32_i8_e32 v43, v1, v36
	v_cvt_f32_ubyte0_e32 v33, v35
	v_or_b32_e32 v25, v25, v44
	v_cvt_f32_i32_e32 v0, v42
	v_cvt_f32_i32_e32 v1, v43
	v_pk_fma_f32 v[32:33], v[32:33], s[2:3], v[16:17] op_sel_hi:[1,0,0] neg_lo:[1,0,0] neg_hi:[1,0,0]
	v_cvt_f32_f16_e32 v5, v25
	v_and_or_b32 v35, v46, 14, 1
	v_pk_fma_f32 v[2:3], v[32:33], v[30:31], v[26:27]
	v_cvt_f32_ubyte0_e32 v35, v35
	v_pk_add_f32 v[0:1], v[2:3], v[0:1]
	v_mul_f32_e32 v4, v5, v4
	v_pk_mul_f32 v[0:1], v[0:1], v[34:35]
	s_nop 0
	v_add_f32_e32 v0, v0, v1
	v_fmac_f32_e32 v21, v4, v0
	s_andn2_b64 exec, exec, s[0:1]
	s_cbranch_execnz .LBB116_3
; %bb.4:
	s_or_b64 exec, exec, s[0:1]
.LBB116_5:
	s_or_b64 exec, exec, s[12:13]
	v_mbcnt_lo_u32_b32 v0, -1, 0
	v_mbcnt_hi_u32_b32 v1, -1, v0
	v_and_b32_e32 v0, 64, v1
	v_add_u32_e32 v2, 64, v0
	v_xor_b32_e32 v0, 32, v1
	v_cmp_lt_i32_e32 vcc, v0, v2
	v_xor_b32_e32 v3, 16, v1
	v_xor_b32_e32 v4, 8, v1
	v_cndmask_b32_e32 v0, v1, v0, vcc
	v_lshlrev_b32_e32 v0, 2, v0
	ds_bpermute_b32 v0, v0, v21
	v_cmp_lt_i32_e32 vcc, v3, v2
	s_waitcnt lgkmcnt(0)
	v_add_f32_e32 v0, v21, v0
	v_cndmask_b32_e32 v3, v1, v3, vcc
	v_lshlrev_b32_e32 v3, 2, v3
	ds_bpermute_b32 v3, v3, v0
	v_cmp_lt_i32_e32 vcc, v4, v2
	s_waitcnt lgkmcnt(0)
	v_add_f32_e32 v0, v0, v3
	v_cndmask_b32_e32 v3, v1, v4, vcc
	v_lshlrev_b32_e32 v3, 2, v3
	ds_bpermute_b32 v3, v3, v0
	v_xor_b32_e32 v4, 4, v1
	v_cmp_lt_i32_e32 vcc, v4, v2
	s_waitcnt lgkmcnt(0)
	v_add_f32_e32 v0, v0, v3
	v_cndmask_b32_e32 v3, v1, v4, vcc
	v_lshlrev_b32_e32 v3, 2, v3
	ds_bpermute_b32 v3, v3, v0
	v_xor_b32_e32 v4, 2, v1
	;; [unrolled: 7-line block ×3, first 2 shown]
	v_cmp_lt_i32_e32 vcc, v4, v2
	s_waitcnt lgkmcnt(0)
	v_add_f32_e32 v0, v0, v3
	v_cndmask_b32_e32 v1, v1, v4, vcc
	v_lshlrev_b32_e32 v1, 2, v1
	ds_bpermute_b32 v1, v1, v0
	v_cmp_eq_u32_e32 vcc, 0, v18
	s_and_b64 exec, exec, vcc
	s_cbranch_execz .LBB116_7
; %bb.6:
	s_waitcnt lgkmcnt(0)
	v_add_f32_e32 v0, v0, v1
	v_bfe_u32 v1, v0, 16, 1
	s_movk_i32 s0, 0x7fff
	v_add3_u32 v1, v0, v1, s0
	v_lshrrev_b32_e32 v1, 16, v1
	v_mov_b32_e32 v2, 0x7fc0
	v_cmp_o_f32_e32 vcc, v0, v0
	s_mul_i32 s3, s3, s5
	v_add_u32_e32 v0, s3, v9
	v_cndmask_b32_e32 v2, v2, v1, vcc
	v_mov_b32_e32 v1, 0
	v_lshl_add_u64 v[0:1], v[0:1], 1, s[6:7]
	global_store_short v[0:1], v2, off
.LBB116_7:
	s_endpgm
	.section	.rodata,"a",@progbits
	.p2align	6, 0x0
	.amdhsa_kernel _ZL13mul_mat_vec_qIN3c108BFloat16ELi256ELi8E11block_iq1_mLi1EXadL_ZL18vec_dot_iq1_m_q8_1PKvPK10block_q8_1RKiEEEvS4_S4_PT_iii
		.amdhsa_group_segment_fixed_size 0
		.amdhsa_private_segment_fixed_size 0
		.amdhsa_kernarg_size 296
		.amdhsa_user_sgpr_count 2
		.amdhsa_user_sgpr_dispatch_ptr 0
		.amdhsa_user_sgpr_queue_ptr 0
		.amdhsa_user_sgpr_kernarg_segment_ptr 1
		.amdhsa_user_sgpr_dispatch_id 0
		.amdhsa_user_sgpr_kernarg_preload_length 0
		.amdhsa_user_sgpr_kernarg_preload_offset 0
		.amdhsa_user_sgpr_private_segment_size 0
		.amdhsa_uses_dynamic_stack 0
		.amdhsa_enable_private_segment 0
		.amdhsa_system_sgpr_workgroup_id_x 1
		.amdhsa_system_sgpr_workgroup_id_y 1
		.amdhsa_system_sgpr_workgroup_id_z 0
		.amdhsa_system_sgpr_workgroup_info 0
		.amdhsa_system_vgpr_workitem_id 1
		.amdhsa_next_free_vgpr 47
		.amdhsa_next_free_sgpr 22
		.amdhsa_accum_offset 48
		.amdhsa_reserve_vcc 1
		.amdhsa_float_round_mode_32 0
		.amdhsa_float_round_mode_16_64 0
		.amdhsa_float_denorm_mode_32 3
		.amdhsa_float_denorm_mode_16_64 3
		.amdhsa_dx10_clamp 1
		.amdhsa_ieee_mode 1
		.amdhsa_fp16_overflow 0
		.amdhsa_tg_split 0
		.amdhsa_exception_fp_ieee_invalid_op 0
		.amdhsa_exception_fp_denorm_src 0
		.amdhsa_exception_fp_ieee_div_zero 0
		.amdhsa_exception_fp_ieee_overflow 0
		.amdhsa_exception_fp_ieee_underflow 0
		.amdhsa_exception_fp_ieee_inexact 0
		.amdhsa_exception_int_div_zero 0
	.end_amdhsa_kernel
	.section	.text._ZL13mul_mat_vec_qIN3c108BFloat16ELi256ELi8E11block_iq1_mLi1EXadL_ZL18vec_dot_iq1_m_q8_1PKvPK10block_q8_1RKiEEEvS4_S4_PT_iii,"axG",@progbits,_ZL13mul_mat_vec_qIN3c108BFloat16ELi256ELi8E11block_iq1_mLi1EXadL_ZL18vec_dot_iq1_m_q8_1PKvPK10block_q8_1RKiEEEvS4_S4_PT_iii,comdat
.Lfunc_end116:
	.size	_ZL13mul_mat_vec_qIN3c108BFloat16ELi256ELi8E11block_iq1_mLi1EXadL_ZL18vec_dot_iq1_m_q8_1PKvPK10block_q8_1RKiEEEvS4_S4_PT_iii, .Lfunc_end116-_ZL13mul_mat_vec_qIN3c108BFloat16ELi256ELi8E11block_iq1_mLi1EXadL_ZL18vec_dot_iq1_m_q8_1PKvPK10block_q8_1RKiEEEvS4_S4_PT_iii
                                        ; -- End function
	.section	.AMDGPU.csdata,"",@progbits
; Kernel info:
; codeLenInByte = 1320
; NumSgprs: 28
; NumVgprs: 47
; NumAgprs: 0
; TotalNumVgprs: 47
; ScratchSize: 0
; MemoryBound: 0
; FloatMode: 240
; IeeeMode: 1
; LDSByteSize: 0 bytes/workgroup (compile time only)
; SGPRBlocks: 3
; VGPRBlocks: 5
; NumSGPRsForWavesPerEU: 28
; NumVGPRsForWavesPerEU: 47
; AccumOffset: 48
; Occupancy: 8
; WaveLimiterHint : 0
; COMPUTE_PGM_RSRC2:SCRATCH_EN: 0
; COMPUTE_PGM_RSRC2:USER_SGPR: 2
; COMPUTE_PGM_RSRC2:TRAP_HANDLER: 0
; COMPUTE_PGM_RSRC2:TGID_X_EN: 1
; COMPUTE_PGM_RSRC2:TGID_Y_EN: 1
; COMPUTE_PGM_RSRC2:TGID_Z_EN: 0
; COMPUTE_PGM_RSRC2:TIDIG_COMP_CNT: 1
; COMPUTE_PGM_RSRC3_GFX90A:ACCUM_OFFSET: 11
; COMPUTE_PGM_RSRC3_GFX90A:TG_SPLIT: 0
	.section	.text._ZL12mul_mat_q4_0IfLb0EEvPKvS1_PT_iiiii,"axG",@progbits,_ZL12mul_mat_q4_0IfLb0EEvPKvS1_PT_iiiii,comdat
	.globl	_ZL12mul_mat_q4_0IfLb0EEvPKvS1_PT_iiiii ; -- Begin function _ZL12mul_mat_q4_0IfLb0EEvPKvS1_PT_iiiii
	.p2align	8
	.type	_ZL12mul_mat_q4_0IfLb0EEvPKvS1_PT_iiiii,@function
_ZL12mul_mat_q4_0IfLb0EEvPKvS1_PT_iiiii: ; @_ZL12mul_mat_q4_0IfLb0EEvPKvS1_PT_iiiii
; %bb.0:
	s_load_dword s15, s[0:1], 0x18
	s_load_dwordx4 s[8:11], s[0:1], 0x20
	s_waitcnt lgkmcnt(0)
	s_lshl_b32 s11, s3, 6
	v_bfe_u32 v39, v0, 10, 10
	s_cmp_gt_i32 s15, 31
	s_cbranch_scc1 .LBB117_2
; %bb.1:
	v_bfe_u32 v1, v0, 10, 10
	s_mov_b32 s4, 0
	v_and_b32_e32 v33, 0x3ff, v0
	v_add_u32_e32 v41, s11, v1
	s_mov_b32 s5, s4
	s_mov_b64 s[6:7], 0
	s_branch .LBB117_3
.LBB117_2:
	s_mov_b64 s[6:7], -1
                                        ; implicit-def: $sgpr4_sgpr5
                                        ; implicit-def: $vgpr1
                                        ; implicit-def: $vgpr33
                                        ; implicit-def: $vgpr41
.LBB117_3:
	s_load_dwordx2 s[12:13], s[0:1], 0x10
	s_lshl_b32 s14, s2, 7
	s_andn2_b64 vcc, exec, s[6:7]
	v_mov_b64_e32 v[8:9], s[4:5]
	v_mov_b64_e32 v[16:17], s[4:5]
	;; [unrolled: 1-line block ×16, first 2 shown]
	s_cbranch_vccnz .LBB117_13
; %bb.4:
	s_ashr_i32 s4, s15, 31
	s_load_dwordx4 s[0:3], s[0:1], 0x0
	s_lshr_b32 s4, s4, 27
	s_ashr_i32 s6, s9, 31
	s_add_i32 s4, s15, s4
	s_lshr_b32 s6, s6, 27
	s_ashr_i32 s5, s4, 5
	s_add_i32 s6, s9, s6
	s_ashr_i32 s9, s6, 5
	s_mul_i32 s6, s5, s14
	s_mul_hi_i32 s7, s6, 18
	s_mul_i32 s6, s6, 18
	s_waitcnt lgkmcnt(0)
	s_add_u32 s6, s0, s6
	s_addc_u32 s7, s1, s7
	v_mul_lo_u32 v38, s5, v39
	s_lshl_b32 s15, s5, 3
	v_add_u32_e32 v40, s15, v38
	v_add_u32_e32 v42, s15, v40
	;; [unrolled: 1-line block ×11, first 2 shown]
	v_and_b32_e32 v33, 0x3ff, v0
	v_add_u32_e32 v68, s15, v66
	v_add_u32_e32 v70, s15, v68
	v_lshrrev_b32_e32 v81, 3, v33
	v_add_u32_e32 v72, s15, v70
	v_and_b32_e32 v76, 7, v33
	v_lshl_add_u32 v0, v39, 2, v81
	v_add_u32_e32 v74, s15, v72
	v_and_b32_e32 v1, 0x7fc, v0
	v_lshlrev_b32_e32 v3, 2, v76
	s_movk_i32 s15, 0x6200
	v_add3_u32 v4, v1, v3, s15
	v_add_u32_e32 v1, 32, v0
	v_mul_lo_u32 v78, s5, v0
	v_lshlrev_b32_e32 v5, 5, v0
	v_and_b32_e32 v6, 0xffc, v1
	v_lshlrev_b32_e32 v7, 5, v1
	v_add_u32_e32 v1, 64, v0
	v_add_u32_e32 v0, 0x60, v0
	v_mov_b32_e32 v35, 0
	v_lshlrev_b32_e32 v2, 2, v33
	s_movk_i32 s1, 0x84
	v_and_b32_e32 v8, 0xffc, v1
	v_lshlrev_b32_e32 v9, 5, v1
	v_and_b32_e32 v1, 0xffc, v0
	v_lshrrev_b32_e32 v32, 2, v33
	v_and_b32_e32 v34, 12, v2
	v_mad_u32_u24 v43, v39, s1, v2
	s_andn2_b32 s4, s4, 31
	v_add3_u32 v6, v6, v3, s15
	v_add3_u32 v8, v8, v3, s15
	v_add3_u32 v10, v1, v3, s15
	v_and_b32_e32 v2, 28, v2
	v_mov_b32_e32 v3, v35
	v_add_u32_e32 v80, s4, v78
	v_lshl_add_u64 v[86:87], s[2:3], 0, v[2:3]
	v_lshl_add_u32 v2, v39, 3, v32
	v_add_u32_e32 v82, s4, v80
	v_and_b32_e32 v3, 63, v2
	v_add_u32_e32 v84, s4, v82
	s_add_i32 s4, s8, -1
	v_or_b32_e32 v13, s11, v3
	v_and_b32_e32 v2, 3, v33
	v_min_i32_e32 v13, s4, v13
	v_mad_u64_u32 v[88:89], s[16:17], v13, s9, v[2:3]
	v_lshlrev_b32_e32 v2, 2, v2
	v_add_u32_e32 v41, s11, v39
	v_lshl_or_b32 v2, v3, 4, v2
	v_lshlrev_b32_e32 v11, 5, v0
	v_cvt_f64_i32_e32 v[0:1], s4
	v_add_u32_e32 v83, 0x7280, v2
	v_cvt_f64_u32_e32 v[2:3], v41
	v_min_f64 v[2:3], v[2:3], v[0:1]
	v_cvt_i32_f64_e32 v2, v[2:3]
	v_mul_lo_u32 v85, s9, v2
	v_add_u32_e32 v2, 8, v41
	v_cvt_f64_u32_e32 v[2:3], v2
	v_min_f64 v[2:3], v[2:3], v[0:1]
	v_cvt_i32_f64_e32 v2, v[2:3]
	v_mul_lo_u32 v91, s9, v2
	;; [unrolled: 5-line block ×7, first 2 shown]
	v_add_u32_e32 v2, 56, v41
	v_cvt_f64_u32_e32 v[2:3], v2
	v_min_f64 v[0:1], v[2:3], v[0:1]
	v_and_b32_e32 v12, 31, v33
	v_lshlrev_b32_e32 v13, 7, v39
	v_cvt_i32_f64_e32 v0, v[0:1]
	v_lshl_or_b32 v12, v12, 2, v13
	v_mul_lo_u32 v108, s9, v0
	v_add_u32_e32 v0, 32, v33
	v_add_u32_e32 v1, 64, v33
	;; [unrolled: 1-line block ×3, first 2 shown]
	s_mov_b32 s0, 0
	v_add_u32_e32 v89, 0x4200, v12
	v_add_u32_e32 v93, 0x4600, v12
	;; [unrolled: 1-line block ×8, first 2 shown]
	v_lshlrev_b32_e32 v3, 5, v33
	v_lshrrev_b32_e32 v111, 3, v0
	v_and_b32_e32 v2, 0x1fc, v2
	v_and_b32_e32 v1, 0x1fc, v1
	v_and_b32_e32 v0, 0x1fc, v0
	v_and_b32_e32 v12, 0xfc, v33
	v_add_u32_e32 v2, v3, v2
	v_add_u32_e32 v1, v3, v1
	;; [unrolled: 1-line block ×4, first 2 shown]
	v_mov_b32_e32 v12, 0x7280
	v_mad_u32_u24 v122, v33, s1, 64
	s_mov_b32 s1, s0
	v_add_u32_e32 v45, 0x420, v43
	v_add_u32_e32 v49, 0x840, v43
	v_add_u32_e32 v51, 0xc60, v43
	v_add_u32_e32 v53, 0x1080, v43
	v_add_u32_e32 v55, 0x14a0, v43
	v_add_u32_e32 v57, 0x18c0, v43
	v_add_u32_e32 v61, 0x1ce0, v43
	v_add_u32_e32 v63, 0x2100, v43
	v_add_u32_e32 v67, 0x2520, v43
	v_add_u32_e32 v69, 0x2940, v43
	v_add_u32_e32 v71, 0x2d60, v43
	v_add_u32_e32 v73, 0x3180, v43
	v_add_u32_e32 v75, 0x35a0, v43
	v_add_u32_e32 v77, 0x39c0, v43
	v_add_u32_e32 v79, 0x3de0, v43
	v_mul_u32_u24_e32 v110, 0x84, v33
	v_add_u32_e32 v112, 0x6e00, v2
	v_add_u32_e32 v113, 0x6a00, v1
	;; [unrolled: 1-line block ×5, first 2 shown]
	v_lshl_add_u32 v117, v39, 4, v12
	v_add_u32_e32 v118, 0x6e10, v2
	v_add_u32_e32 v119, 0x6a10, v1
	;; [unrolled: 1-line block ×4, first 2 shown]
	v_mov_b64_e32 v[64:65], s[0:1]
	v_add_u32_e32 v123, v4, v5
	v_add_u32_e32 v124, v6, v7
	;; [unrolled: 1-line block ×4, first 2 shown]
	s_mov_b32 s4, 0x41000000
	v_mov_b64_e32 v[30:31], s[0:1]
	v_mov_b64_e32 v[22:23], s[0:1]
	;; [unrolled: 1-line block ×15, first 2 shown]
	s_branch .LBB117_6
.LBB117_5:                              ;   in Loop: Header=BB117_6 Depth=1
	s_add_i32 s0, s0, 8
	s_cmp_ge_i32 s0, s5
	s_cbranch_scc1 .LBB117_12
.LBB117_6:                              ; =>This Loop Header: Depth=1
                                        ;     Child Loop BB117_7 Depth 2
                                        ;     Child Loop BB117_10 Depth 2
	s_mul_i32 s9, s0, 18
	s_mul_hi_u32 s1, s0, 18
	s_add_u32 s16, s6, s9
	s_addc_u32 s17, s7, s1
	v_mad_u64_u32 v[0:1], s[18:19], v32, 18, s[16:17]
	v_lshl_add_u64 v[0:1], v[0:1], 0, v[34:35]
	v_lshl_add_u64 v[0:1], v[0:1], 0, 2
	v_mad_u64_u32 v[2:3], s[18:19], v38, 18, v[0:1]
	v_mad_u64_u32 v[4:5], s[18:19], v40, 18, v[0:1]
	;; [unrolled: 1-line block ×8, first 2 shown]
	global_load_dword v90, v[2:3], off
	global_load_dword v92, v[4:5], off
	;; [unrolled: 1-line block ×7, first 2 shown]
                                        ; kill: killed $vgpr132_vgpr133
                                        ; kill: killed $vgpr130_vgpr131
	s_nop 0
	global_load_dword v134, v[134:135], off
	v_mad_u64_u32 v[2:3], s[18:19], v56, 18, v[0:1]
	v_mad_u64_u32 v[4:5], s[18:19], v60, 18, v[0:1]
	;; [unrolled: 1-line block ×8, first 2 shown]
	global_load_dword v135, v[2:3], off
	global_load_dword v139, v[4:5], off
	;; [unrolled: 1-line block ×8, first 2 shown]
	v_mad_u64_u32 v[0:1], s[16:17], v76, 18, s[16:17]
	v_mad_u64_u32 v[2:3], s[16:17], v78, 18, v[0:1]
	;; [unrolled: 1-line block ×5, first 2 shown]
	v_add_u32_e32 v132, s0, v81
	global_load_ushort v146, v[2:3], off
	global_load_ushort v147, v[4:5], off
	global_load_ushort v148, v[6:7], off
	global_load_ushort v149, v[0:1], off
	v_add_u32_e32 v0, v132, v85
	v_add_u32_e32 v2, v132, v91
	;; [unrolled: 1-line block ×5, first 2 shown]
	v_mad_i64_i32 v[0:1], s[16:17], v0, 36, v[86:87]
	v_mad_i64_i32 v[2:3], s[16:17], v2, 36, v[86:87]
	;; [unrolled: 1-line block ×5, first 2 shown]
	v_add_u32_e32 v128, v132, v104
	v_add_u32_e32 v130, v132, v106
	;; [unrolled: 1-line block ×3, first 2 shown]
	v_mad_i64_i32 v[128:129], s[16:17], v128, 36, v[86:87]
	v_mad_i64_i32 v[130:131], s[16:17], v130, 36, v[86:87]
	;; [unrolled: 1-line block ×3, first 2 shown]
	global_load_dword v150, v[0:1], off offset:4
	s_nop 0
	global_load_dword v2, v[2:3], off offset:4
	s_nop 0
	;; [unrolled: 2-line block ×3, first 2 shown]
	global_load_dword v4, v[6:7], off offset:4
	global_load_dword v5, v[98:99], off offset:4
	s_nop 0
	global_load_dword v6, v[128:129], off offset:4
	global_load_dword v7, v[130:131], off offset:4
	;; [unrolled: 1-line block ×3, first 2 shown]
	v_add_u32_e32 v127, s0, v88
	v_mad_u64_u32 v[0:1], s[16:17], v127, 36, s[2:3]
	global_load_dword v0, v[0:1], off
	s_mov_b32 s1, -4
	v_mov_b32_e32 v128, v117
	v_mov_b32_e32 v129, v116
	;; [unrolled: 1-line block ×4, first 2 shown]
	s_waitcnt vmcnt(28)
	ds_write_b32 v43, v90
	s_waitcnt vmcnt(27)
	ds_write_b32 v45, v92
	;; [unrolled: 2-line block ×16, first 2 shown]
	v_mov_b32_e32 v132, v114
	v_mov_b32_e32 v133, v113
	;; [unrolled: 1-line block ×3, first 2 shown]
	s_waitcnt vmcnt(12)
	v_cvt_f32_f16_e32 v1, v146
	s_waitcnt vmcnt(11)
	v_cvt_f32_f16_e32 v90, v147
	;; [unrolled: 2-line block ×4, first 2 shown]
	ds_write_b32 v123, v1
	ds_write_b32 v124, v90
	;; [unrolled: 1-line block ×4, first 2 shown]
	s_waitcnt vmcnt(8)
	ds_write_b32 v89, v150
	s_waitcnt vmcnt(7)
	ds_write_b32 v93, v2
	;; [unrolled: 2-line block ×9, first 2 shown]
	s_waitcnt lgkmcnt(0)
	s_barrier
.LBB117_7:                              ;   Parent Loop BB117_6 Depth=1
                                        ; =>  This Inner Loop Header: Depth=2
	ds_read_b128 v[0:3], v129
	ds_read_b128 v[4:7], v129 offset:16
	ds_read2_b32 v[98:99], v128 offset1:32
	ds_read_b32 v90, v131
	ds_read2_b32 v[136:137], v130 offset1:1
	ds_read2_b32 v[144:145], v130 offset0:2 offset1:3
	v_add_u32_e32 v94, 0x1080, v130
	v_add_u32_e32 v96, 0x2100, v130
	v_mov_b32_e32 v172, 0
	s_waitcnt lgkmcnt(1)
	v_lshrrev_b32_e32 v92, 4, v136
	v_and_b32_e32 v135, 0xf0f0f0f, v136
	v_and_b32_e32 v136, 0xf0f0f0f, v92
	v_lshrrev_b32_e32 v92, 4, v137
	v_and_b32_e32 v140, 0xf0f0f0f, v92
	s_waitcnt lgkmcnt(0)
	v_lshrrev_b32_e32 v92, 4, v144
	v_and_b32_e32 v142, 0xf0f0f0f, v92
	v_lshrrev_b32_e32 v92, 4, v145
	v_and_b32_e32 v143, 0xf0f0f0f, v145
	v_and_b32_e32 v145, 0xf0f0f0f, v92
	ds_read_b32 v92, v132
	ds_read2_b32 v[146:147], v94 offset1:1
	v_and_b32_e32 v138, 0xf0f0f0f, v137
	v_and_b32_e32 v141, 0xf0f0f0f, v144
	v_mov_b32_e32 v174, 0
	v_mov_b32_e32 v175, 0
	s_waitcnt lgkmcnt(0)
	v_lshrrev_b32_e32 v94, 4, v146
	v_and_b32_e32 v139, 0xf0f0f0f, v94
	v_lshrrev_b32_e32 v94, 4, v147
	v_and_b32_e32 v137, 0xf0f0f0f, v146
	v_and_b32_e32 v146, 0xf0f0f0f, v94
	v_add_u32_e32 v94, 0x1088, v130
	ds_read2_b32 v[152:153], v94 offset1:1
	v_and_b32_e32 v144, 0xf0f0f0f, v147
	v_dot4c_i32_i8_e32 v172, v135, v0
	v_dot4c_i32_i8_e32 v174, v137, v0
	;; [unrolled: 1-line block ×3, first 2 shown]
	s_waitcnt lgkmcnt(0)
	v_lshrrev_b32_e32 v94, 4, v152
	v_and_b32_e32 v150, 0xf0f0f0f, v94
	v_lshrrev_b32_e32 v94, 4, v153
	v_and_b32_e32 v149, 0xf0f0f0f, v152
	v_and_b32_e32 v152, 0xf0f0f0f, v94
	ds_read_b32 v94, v133
	ds_read2_b32 v[154:155], v96 offset1:1
	v_and_b32_e32 v151, 0xf0f0f0f, v153
	v_dot4c_i32_i8_e32 v174, v139, v4
	v_dot4c_i32_i8_e32 v172, v138, v1
	;; [unrolled: 1-line block ×3, first 2 shown]
	s_waitcnt lgkmcnt(0)
	v_lshrrev_b32_e32 v96, 4, v154
	v_and_b32_e32 v148, 0xf0f0f0f, v96
	v_lshrrev_b32_e32 v96, 4, v155
	v_and_b32_e32 v147, 0xf0f0f0f, v154
	v_and_b32_e32 v154, 0xf0f0f0f, v96
	v_add_u32_e32 v96, 0x2108, v130
	ds_read2_b32 v[160:161], v96 offset1:1
	v_and_b32_e32 v153, 0xf0f0f0f, v155
	v_add_u32_e32 v155, 0x3180, v130
	v_dot4c_i32_i8_e32 v175, v147, v0
	v_dot4c_i32_i8_e32 v175, v148, v4
	s_waitcnt lgkmcnt(0)
	v_lshrrev_b32_e32 v96, 4, v160
	v_and_b32_e32 v158, 0xf0f0f0f, v96
	v_lshrrev_b32_e32 v96, 4, v161
	v_and_b32_e32 v157, 0xf0f0f0f, v160
	v_and_b32_e32 v160, 0xf0f0f0f, v96
	ds_read_b32 v96, v134
	ds_read2_b32 v[162:163], v155 offset1:1
	v_and_b32_e32 v159, 0xf0f0f0f, v161
	v_mov_b32_e32 v161, 0
	v_dot4c_i32_i8_e32 v175, v153, v1
	v_dot4c_i32_i8_e32 v172, v140, v5
	s_waitcnt lgkmcnt(0)
	v_and_b32_e32 v155, 0xf0f0f0f, v162
	v_lshrrev_b32_e32 v156, 4, v162
	v_and_b32_e32 v156, 0xf0f0f0f, v156
	v_dot4c_i32_i8_e32 v161, v155, v0
	v_dot4c_i32_i8_e32 v161, v156, v4
	v_and_b32_e32 v0, 0xf0f0f0f, v163
	v_dot4c_i32_i8_e32 v161, v0, v1
	v_add_u32_e32 v1, 0x3188, v130
	v_lshrrev_b32_e32 v4, 4, v163
	ds_read2_b32 v[162:163], v1 offset1:1
	v_and_b32_e32 v4, 0xf0f0f0f, v4
	v_dot4c_i32_i8_e32 v174, v146, v5
	v_dot4c_i32_i8_e32 v175, v154, v5
	;; [unrolled: 1-line block ×3, first 2 shown]
	s_waitcnt lgkmcnt(0)
	v_and_b32_e32 v1, 0xf0f0f0f, v162
	v_lshrrev_b32_e32 v5, 4, v162
	v_dot4c_i32_i8_e32 v172, v141, v2
	v_dot4c_i32_i8_e32 v174, v149, v2
	v_dot4c_i32_i8_e32 v175, v157, v2
	v_and_b32_e32 v5, 0xf0f0f0f, v5
	v_dot4c_i32_i8_e32 v161, v1, v2
	v_dot4c_i32_i8_e32 v172, v142, v6
	;; [unrolled: 1-line block ×5, first 2 shown]
	v_and_b32_e32 v2, 0xf0f0f0f, v163
	v_lshrrev_b32_e32 v6, 4, v163
	ds_read_b128 v[162:165], v129 offset:1024
	ds_read_b128 v[166:169], v129 offset:1040
	v_dot4c_i32_i8_e32 v172, v143, v3
	v_dot4c_i32_i8_e32 v174, v151, v3
	;; [unrolled: 1-line block ×4, first 2 shown]
	v_mov_b32_e32 v3, 0
	s_waitcnt lgkmcnt(1)
	v_dot4c_i32_i8_e32 v3, v135, v162
	s_waitcnt lgkmcnt(0)
	v_dot4c_i32_i8_e32 v3, v136, v166
	v_dot4c_i32_i8_e32 v3, v138, v163
	;; [unrolled: 1-line block ×8, first 2 shown]
	v_cvt_f32_f16_e32 v171, v99
	v_cvt_f32_f16_e32 v170, v98
	v_cvt_f32_i32_e32 v173, v3
	v_mov_b32_e32 v3, 0
	v_dot4c_i32_i8_e32 v3, v137, v162
	v_dot4c_i32_i8_e32 v3, v139, v166
	v_cvt_f32_f16_sdwa v99, v99 dst_sel:DWORD dst_unused:UNUSED_PAD src0_sel:WORD_1
	v_cvt_f32_f16_sdwa v98, v98 dst_sel:DWORD dst_unused:UNUSED_PAD src0_sel:WORD_1
	v_dot4c_i32_i8_e32 v3, v144, v163
	v_cvt_f32_i32_e32 v172, v172
	v_dot4c_i32_i8_e32 v3, v146, v167
	v_dot4c_i32_i8_e32 v3, v149, v164
	;; [unrolled: 1-line block ×3, first 2 shown]
	v_pk_mul_f32 v[98:99], v[98:99], s[4:5] op_sel_hi:[1,0]
	v_dot4c_i32_i8_e32 v3, v151, v165
	v_pk_fma_f32 v[172:173], v[170:171], v[172:173], v[98:99] neg_lo:[0,0,1] neg_hi:[0,0,1]
	v_dot4c_i32_i8_e32 v3, v152, v169
	v_pk_fma_f32 v[64:65], v[90:91], v[172:173], v[64:65] op_sel_hi:[0,1,1]
	v_dot4c_i32_i8_e32 v174, v152, v7
	v_and_b32_e32 v6, 0xf0f0f0f, v6
	v_cvt_f32_i32_e32 v173, v3
	v_mov_b32_e32 v3, 0
	v_dot4c_i32_i8_e32 v3, v147, v162
	v_dot4c_i32_i8_e32 v3, v148, v166
	v_dot4c_i32_i8_e32 v3, v153, v163
	v_cvt_f32_i32_e32 v172, v174
	v_dot4c_i32_i8_e32 v3, v154, v167
	v_dot4c_i32_i8_e32 v3, v157, v164
	;; [unrolled: 1-line block ×4, first 2 shown]
	v_pk_fma_f32 v[172:173], v[170:171], v[172:173], v[98:99] neg_lo:[0,0,1] neg_hi:[0,0,1]
	v_dot4c_i32_i8_e32 v3, v160, v169
	v_pk_fma_f32 v[58:59], v[92:93], v[172:173], v[58:59] op_sel_hi:[0,1,1]
	v_dot4c_i32_i8_e32 v175, v160, v7
	v_dot4c_i32_i8_e32 v161, v6, v7
	v_cvt_f32_i32_e32 v173, v3
	v_mov_b32_e32 v3, 0
	v_dot4c_i32_i8_e32 v3, v155, v162
	v_dot4c_i32_i8_e32 v3, v156, v166
	;; [unrolled: 1-line block ×8, first 2 shown]
	v_cvt_f32_i32_e32 v172, v175
	v_cvt_f32_i32_e32 v162, v161
	v_mov_b32_e32 v7, 0
	v_cvt_f32_i32_e32 v163, v3
	v_pk_fma_f32 v[172:173], v[170:171], v[172:173], v[98:99] neg_lo:[0,0,1] neg_hi:[0,0,1]
	v_mov_b32_e32 v3, 0
	v_mov_b32_e32 v161, 0
	v_pk_fma_f32 v[98:99], v[170:171], v[162:163], v[98:99] neg_lo:[0,0,1] neg_hi:[0,0,1]
	v_mov_b32_e32 v174, 0
	v_pk_fma_f32 v[36:37], v[96:97], v[98:99], v[36:37] op_sel_hi:[0,1,1]
	ds_read_b128 v[162:165], v129 offset:2048
	ds_read_b128 v[166:169], v129 offset:2064
	ds_read2_b32 v[98:99], v128 offset0:64 offset1:96
	v_pk_fma_f32 v[46:47], v[94:95], v[172:173], v[46:47] op_sel_hi:[0,1,1]
	v_mov_b32_e32 v172, 0
	s_waitcnt lgkmcnt(2)
	v_dot4c_i32_i8_e32 v3, v135, v162
	v_dot4c_i32_i8_e32 v7, v137, v162
	;; [unrolled: 1-line block ×4, first 2 shown]
	s_waitcnt lgkmcnt(1)
	v_dot4c_i32_i8_e32 v3, v136, v166
	v_dot4c_i32_i8_e32 v7, v139, v166
	;; [unrolled: 1-line block ×28, first 2 shown]
	ds_read_b128 v[162:165], v129 offset:3072
	ds_read_b128 v[166:169], v129 offset:3088
	s_waitcnt lgkmcnt(2)
	v_cvt_f32_f16_e32 v171, v99
	v_cvt_f32_f16_e32 v170, v98
	v_cvt_f32_f16_sdwa v99, v99 dst_sel:DWORD dst_unused:UNUSED_PAD src0_sel:WORD_1
	s_waitcnt lgkmcnt(1)
	v_dot4c_i32_i8_e32 v172, v135, v162
	s_waitcnt lgkmcnt(0)
	v_dot4c_i32_i8_e32 v172, v136, v166
	v_dot4c_i32_i8_e32 v172, v138, v163
	;; [unrolled: 1-line block ×7, first 2 shown]
	v_cvt_f32_f16_sdwa v98, v98 dst_sel:DWORD dst_unused:UNUSED_PAD src0_sel:WORD_1
	s_add_i32 s1, s1, 4
	v_add_u32_e32 v134, 4, v134
	v_cvt_f32_i32_e32 v173, v172
	v_cvt_f32_i32_e32 v172, v3
	v_mov_b32_e32 v3, 0
	v_dot4c_i32_i8_e32 v3, v137, v162
	v_dot4c_i32_i8_e32 v3, v139, v166
	;; [unrolled: 1-line block ×6, first 2 shown]
	v_pk_mul_f32 v[98:99], v[98:99], s[4:5] op_sel_hi:[1,0]
	v_dot4c_i32_i8_e32 v3, v151, v165
	v_pk_fma_f32 v[172:173], v[172:173], v[170:171], v[98:99] neg_lo:[0,0,1] neg_hi:[0,0,1]
	v_dot4c_i32_i8_e32 v3, v152, v169
	v_pk_fma_f32 v[30:31], v[90:91], v[172:173], v[30:31] op_sel_hi:[0,1,1]
	v_cvt_f32_i32_e32 v172, v7
	v_mov_b32_e32 v7, 0
	v_cvt_f32_i32_e32 v173, v3
	v_mov_b32_e32 v3, 0
	v_dot4c_i32_i8_e32 v3, v147, v162
	v_dot4c_i32_i8_e32 v3, v148, v166
	;; [unrolled: 1-line block ×7, first 2 shown]
	v_pk_fma_f32 v[172:173], v[172:173], v[170:171], v[98:99] neg_lo:[0,0,1] neg_hi:[0,0,1]
	v_dot4c_i32_i8_e32 v3, v160, v169
	v_pk_fma_f32 v[28:29], v[92:93], v[172:173], v[28:29] op_sel_hi:[0,1,1]
	v_cvt_f32_i32_e32 v172, v161
	v_mov_b32_e32 v161, 0
	v_cvt_f32_i32_e32 v173, v3
	v_mov_b32_e32 v3, 0
	v_dot4c_i32_i8_e32 v3, v155, v162
	v_dot4c_i32_i8_e32 v3, v156, v166
	;; [unrolled: 1-line block ×8, first 2 shown]
	v_cvt_f32_i32_e32 v162, v174
	v_pk_fma_f32 v[172:173], v[172:173], v[170:171], v[98:99] neg_lo:[0,0,1] neg_hi:[0,0,1]
	v_mov_b32_e32 v174, 0
	v_cvt_f32_i32_e32 v163, v3
	v_mov_b32_e32 v3, 0
	v_pk_fma_f32 v[26:27], v[94:95], v[172:173], v[26:27] op_sel_hi:[0,1,1]
	v_mov_b32_e32 v172, 0
	v_pk_fma_f32 v[98:99], v[162:163], v[170:171], v[98:99] neg_lo:[0,0,1] neg_hi:[0,0,1]
	v_add_u32_e32 v133, 4, v133
	v_pk_fma_f32 v[24:25], v[96:97], v[98:99], v[24:25] op_sel_hi:[0,1,1]
	ds_read_b128 v[162:165], v129 offset:4096
	ds_read_b128 v[166:169], v129 offset:4112
	ds_read2_b32 v[98:99], v128 offset0:128 offset1:160
	v_add_u32_e32 v132, 4, v132
	v_add_u32_e32 v131, 4, v131
	s_waitcnt lgkmcnt(2)
	v_dot4c_i32_i8_e32 v3, v135, v162
	v_dot4c_i32_i8_e32 v7, v137, v162
	;; [unrolled: 1-line block ×4, first 2 shown]
	s_waitcnt lgkmcnt(1)
	v_dot4c_i32_i8_e32 v3, v136, v166
	v_dot4c_i32_i8_e32 v7, v139, v166
	;; [unrolled: 1-line block ×28, first 2 shown]
	ds_read_b128 v[162:165], v129 offset:5120
	ds_read_b128 v[166:169], v129 offset:5136
	s_waitcnt lgkmcnt(2)
	v_cvt_f32_f16_e32 v171, v99
	v_cvt_f32_f16_e32 v170, v98
	v_cvt_f32_f16_sdwa v99, v99 dst_sel:DWORD dst_unused:UNUSED_PAD src0_sel:WORD_1
	s_waitcnt lgkmcnt(1)
	v_dot4c_i32_i8_e32 v172, v135, v162
	s_waitcnt lgkmcnt(0)
	v_dot4c_i32_i8_e32 v172, v136, v166
	v_dot4c_i32_i8_e32 v172, v138, v163
	;; [unrolled: 1-line block ×7, first 2 shown]
	v_cvt_f32_f16_sdwa v98, v98 dst_sel:DWORD dst_unused:UNUSED_PAD src0_sel:WORD_1
	v_add_u32_e32 v130, 16, v130
	s_cmp_lt_u32 s1, 12
	v_cvt_f32_i32_e32 v173, v172
	v_cvt_f32_i32_e32 v172, v3
	v_mov_b32_e32 v3, 0
	v_dot4c_i32_i8_e32 v3, v137, v162
	v_dot4c_i32_i8_e32 v3, v139, v166
	;; [unrolled: 1-line block ×6, first 2 shown]
	v_pk_mul_f32 v[98:99], v[98:99], s[4:5] op_sel_hi:[1,0]
	v_dot4c_i32_i8_e32 v3, v151, v165
	v_pk_fma_f32 v[172:173], v[172:173], v[170:171], v[98:99] neg_lo:[0,0,1] neg_hi:[0,0,1]
	v_dot4c_i32_i8_e32 v3, v152, v169
	v_pk_fma_f32 v[22:23], v[90:91], v[172:173], v[22:23] op_sel_hi:[0,1,1]
	v_cvt_f32_i32_e32 v172, v7
	v_mov_b32_e32 v7, 0
	v_cvt_f32_i32_e32 v173, v3
	v_mov_b32_e32 v3, 0
	v_dot4c_i32_i8_e32 v3, v147, v162
	v_dot4c_i32_i8_e32 v3, v148, v166
	;; [unrolled: 1-line block ×7, first 2 shown]
	v_pk_fma_f32 v[172:173], v[172:173], v[170:171], v[98:99] neg_lo:[0,0,1] neg_hi:[0,0,1]
	v_dot4c_i32_i8_e32 v3, v160, v169
	v_pk_fma_f32 v[20:21], v[92:93], v[172:173], v[20:21] op_sel_hi:[0,1,1]
	v_cvt_f32_i32_e32 v172, v161
	v_mov_b32_e32 v161, 0
	v_cvt_f32_i32_e32 v173, v3
	v_mov_b32_e32 v3, 0
	v_dot4c_i32_i8_e32 v3, v155, v162
	v_dot4c_i32_i8_e32 v3, v156, v166
	;; [unrolled: 1-line block ×8, first 2 shown]
	v_cvt_f32_i32_e32 v162, v174
	v_pk_fma_f32 v[172:173], v[172:173], v[170:171], v[98:99] neg_lo:[0,0,1] neg_hi:[0,0,1]
	s_nop 0
	v_cvt_f32_i32_e32 v163, v3
	v_mov_b32_e32 v3, 0
	v_pk_fma_f32 v[18:19], v[94:95], v[172:173], v[18:19] op_sel_hi:[0,1,1]
	v_pk_fma_f32 v[98:99], v[162:163], v[170:171], v[98:99] neg_lo:[0,0,1] neg_hi:[0,0,1]
	s_nop 0
	v_pk_fma_f32 v[16:17], v[96:97], v[98:99], v[16:17] op_sel_hi:[0,1,1]
	ds_read_b128 v[162:165], v129 offset:6144
	ds_read_b128 v[166:169], v129 offset:6160
	ds_read2_b32 v[98:99], v128 offset0:192 offset1:224
	v_mov_b32_e32 v170, 0
	v_mov_b32_e32 v171, 0
	s_waitcnt lgkmcnt(2)
	v_dot4c_i32_i8_e32 v3, v135, v162
	v_dot4c_i32_i8_e32 v7, v137, v162
	;; [unrolled: 1-line block ×4, first 2 shown]
	s_waitcnt lgkmcnt(1)
	v_dot4c_i32_i8_e32 v3, v136, v166
	v_dot4c_i32_i8_e32 v7, v139, v166
	;; [unrolled: 1-line block ×28, first 2 shown]
	ds_read_b128 v[162:165], v129 offset:7168
	ds_read_b128 v[166:169], v129 offset:7184
	v_add_u32_e32 v129, 32, v129
	v_add_u32_e32 v128, 4, v128
	s_waitcnt lgkmcnt(1)
	v_dot4c_i32_i8_e32 v171, v135, v162
	s_waitcnt lgkmcnt(0)
	v_dot4c_i32_i8_e32 v171, v136, v166
	v_dot4c_i32_i8_e32 v171, v138, v163
	;; [unrolled: 1-line block ×5, first 2 shown]
	v_cvt_f32_i32_e32 v142, v3
	v_mov_b32_e32 v3, 0
	v_dot4c_i32_i8_e32 v3, v137, v162
	v_dot4c_i32_i8_e32 v3, v139, v166
	;; [unrolled: 1-line block ×8, first 2 shown]
	v_cvt_f32_f16_e32 v141, v99
	v_cvt_f32_f16_e32 v140, v98
	v_cvt_f32_f16_sdwa v99, v99 dst_sel:DWORD dst_unused:UNUSED_PAD src0_sel:WORD_1
	v_cvt_f32_i32_e32 v137, v3
	v_mov_b32_e32 v3, 0
	v_dot4c_i32_i8_e32 v3, v147, v162
	v_dot4c_i32_i8_e32 v3, v148, v166
	v_cvt_f32_f16_sdwa v98, v98 dst_sel:DWORD dst_unused:UNUSED_PAD src0_sel:WORD_1
	v_dot4c_i32_i8_e32 v3, v153, v163
	v_cvt_f32_i32_e32 v136, v7
	v_dot4c_i32_i8_e32 v3, v154, v167
	v_dot4c_i32_i8_e32 v3, v157, v164
	;; [unrolled: 1-line block ×3, first 2 shown]
	v_pk_mul_f32 v[98:99], v[98:99], s[4:5] op_sel_hi:[1,0]
	v_dot4c_i32_i8_e32 v3, v159, v165
	v_pk_fma_f32 v[136:137], v[136:137], v[140:141], v[98:99] neg_lo:[0,0,1] neg_hi:[0,0,1]
	v_dot4c_i32_i8_e32 v3, v160, v169
	v_pk_fma_f32 v[12:13], v[92:93], v[136:137], v[12:13] op_sel_hi:[0,1,1]
	v_dot4c_i32_i8_e32 v171, v143, v165
	v_dot4c_i32_i8_e32 v171, v145, v169
	v_cvt_f32_i32_e32 v137, v3
	v_mov_b32_e32 v3, 0
	v_dot4c_i32_i8_e32 v3, v155, v162
	v_dot4c_i32_i8_e32 v3, v156, v166
	;; [unrolled: 1-line block ×8, first 2 shown]
	v_cvt_f32_i32_e32 v143, v171
	v_cvt_f32_i32_e32 v136, v161
	;; [unrolled: 1-line block ×4, first 2 shown]
	v_pk_fma_f32 v[142:143], v[142:143], v[140:141], v[98:99] neg_lo:[0,0,1] neg_hi:[0,0,1]
	v_pk_fma_f32 v[136:137], v[136:137], v[140:141], v[98:99] neg_lo:[0,0,1] neg_hi:[0,0,1]
	v_pk_fma_f32 v[14:15], v[90:91], v[142:143], v[14:15] op_sel_hi:[0,1,1]
	v_pk_fma_f32 v[0:1], v[0:1], v[140:141], v[98:99] neg_lo:[0,0,1] neg_hi:[0,0,1]
	v_pk_fma_f32 v[10:11], v[94:95], v[136:137], v[10:11] op_sel_hi:[0,1,1]
	v_pk_fma_f32 v[8:9], v[96:97], v[0:1], v[8:9] op_sel_hi:[0,1,1]
	s_cbranch_scc1 .LBB117_7
; %bb.8:                                ;   in Loop: Header=BB117_6 Depth=1
	s_or_b32 s1, s0, 4
	s_cmp_ge_i32 s1, s5
	s_barrier
	s_cbranch_scc1 .LBB117_5
; %bb.9:                                ;   in Loop: Header=BB117_6 Depth=1
	v_add_u32_e32 v90, s0, v111
	v_add_u32_e32 v92, v90, v102
	;; [unrolled: 1-line block ×6, first 2 shown]
	v_mad_i64_i32 v[98:99], s[16:17], v92, 36, v[86:87]
	v_add_u32_e32 v92, v90, v104
	v_mad_i64_i32 v[0:1], s[16:17], v0, 36, v[86:87]
	v_mad_i64_i32 v[2:3], s[16:17], v2, 36, v[86:87]
	v_mad_i64_i32 v[4:5], s[16:17], v4, 36, v[86:87]
	v_mad_i64_i32 v[6:7], s[16:17], v6, 36, v[86:87]
	v_mad_i64_i32 v[128:129], s[16:17], v92, 36, v[86:87]
	v_add_u32_e32 v92, v90, v106
	v_add_u32_e32 v90, v90, v108
	v_mad_i64_i32 v[130:131], s[16:17], v92, 36, v[86:87]
	v_mad_i64_i32 v[132:133], s[16:17], v90, 36, v[86:87]
	global_load_dword v90, v[0:1], off offset:4
	s_nop 0
	global_load_dword v2, v[2:3], off offset:4
	s_nop 0
	;; [unrolled: 2-line block ×3, first 2 shown]
	global_load_dword v4, v[6:7], off offset:4
	global_load_dword v5, v[98:99], off offset:4
	s_nop 0
	global_load_dword v6, v[128:129], off offset:4
                                        ; kill: killed $vgpr128_vgpr129
                                        ; kill: killed $vgpr98_vgpr99
	global_load_dword v7, v[130:131], off offset:4
	global_load_dword v92, v[132:133], off offset:4
	v_add_u32_e32 v0, 4, v127
	v_mad_u64_u32 v[0:1], s[16:17], v0, 36, s[2:3]
	global_load_dword v0, v[0:1], off
	s_mov_b32 s1, 12
	v_mov_b32_e32 v127, v117
	v_mov_b32_e32 v128, v116
	;; [unrolled: 1-line block ×7, first 2 shown]
	s_waitcnt vmcnt(8)
	ds_write_b32 v89, v90
	s_waitcnt vmcnt(7)
	ds_write_b32 v93, v2
	;; [unrolled: 2-line block ×9, first 2 shown]
	s_waitcnt lgkmcnt(0)
	s_barrier
.LBB117_10:                             ;   Parent Loop BB117_6 Depth=1
                                        ; =>  This Inner Loop Header: Depth=2
	ds_read_b128 v[0:3], v128
	ds_read_b128 v[4:7], v128 offset:16
	ds_read2_b32 v[98:99], v127 offset1:32
	ds_read_b32 v90, v130
	ds_read2_b32 v[138:139], v129 offset1:1
	ds_read2_b32 v[142:143], v129 offset0:2 offset1:3
	v_add_u32_e32 v94, 0x1080, v129
	v_add_u32_e32 v96, 0x2100, v129
	v_mov_b32_e32 v170, 0
	s_waitcnt lgkmcnt(1)
	v_lshrrev_b32_e32 v92, 4, v138
	v_and_b32_e32 v135, 0xf0f0f0f, v92
	v_lshrrev_b32_e32 v92, 4, v139
	v_and_b32_e32 v137, 0xf0f0f0f, v139
	v_and_b32_e32 v139, 0xf0f0f0f, v92
	s_waitcnt lgkmcnt(0)
	v_lshrrev_b32_e32 v92, 4, v142
	v_and_b32_e32 v141, 0xf0f0f0f, v92
	v_lshrrev_b32_e32 v92, 4, v143
	v_and_b32_e32 v144, 0xf0f0f0f, v92
	ds_read_b32 v92, v131
	ds_read2_b32 v[146:147], v94 offset1:1
	v_and_b32_e32 v134, 0xf0f0f0f, v138
	v_and_b32_e32 v140, 0xf0f0f0f, v142
	;; [unrolled: 1-line block ×3, first 2 shown]
	v_mov_b32_e32 v172, 0
	s_waitcnt lgkmcnt(0)
	v_lshrrev_b32_e32 v94, 4, v146
	v_and_b32_e32 v138, 0xf0f0f0f, v94
	v_lshrrev_b32_e32 v94, 4, v147
	v_and_b32_e32 v145, 0xf0f0f0f, v94
	v_add_u32_e32 v94, 0x1088, v129
	v_and_b32_e32 v136, 0xf0f0f0f, v146
	v_and_b32_e32 v143, 0xf0f0f0f, v147
	ds_read2_b32 v[146:147], v94 offset1:1
	v_mov_b32_e32 v173, 0
	v_mov_b32_e32 v174, 0
	v_dot4c_i32_i8_e32 v170, v134, v0
	v_dot4c_i32_i8_e32 v172, v136, v0
	s_waitcnt lgkmcnt(0)
	v_lshrrev_b32_e32 v94, 4, v146
	v_and_b32_e32 v149, 0xf0f0f0f, v94
	v_lshrrev_b32_e32 v94, 4, v147
	v_and_b32_e32 v151, 0xf0f0f0f, v94
	ds_read_b32 v94, v132
	ds_read2_b32 v[152:153], v96 offset1:1
	v_and_b32_e32 v150, 0xf0f0f0f, v147
	v_and_b32_e32 v148, 0xf0f0f0f, v146
	v_dot4c_i32_i8_e32 v170, v135, v4
	v_dot4c_i32_i8_e32 v172, v138, v4
	s_waitcnt lgkmcnt(0)
	v_lshrrev_b32_e32 v96, 4, v152
	v_and_b32_e32 v147, 0xf0f0f0f, v96
	v_lshrrev_b32_e32 v96, 4, v153
	v_and_b32_e32 v146, 0xf0f0f0f, v152
	v_and_b32_e32 v152, 0xf0f0f0f, v153
	v_and_b32_e32 v153, 0xf0f0f0f, v96
	v_add_u32_e32 v96, 0x2108, v129
	ds_read2_b32 v[154:155], v96 offset1:1
	v_dot4c_i32_i8_e32 v173, v146, v0
	v_dot4c_i32_i8_e32 v173, v147, v4
	;; [unrolled: 1-line block ×4, first 2 shown]
	s_waitcnt lgkmcnt(0)
	v_lshrrev_b32_e32 v96, 4, v154
	v_and_b32_e32 v157, 0xf0f0f0f, v96
	v_lshrrev_b32_e32 v96, 4, v155
	v_and_b32_e32 v156, 0xf0f0f0f, v154
	v_and_b32_e32 v159, 0xf0f0f0f, v96
	v_add_u32_e32 v154, 0x3180, v129
	ds_read_b32 v96, v133
	ds_read2_b32 v[160:161], v154 offset1:1
	v_and_b32_e32 v158, 0xf0f0f0f, v155
	v_dot4c_i32_i8_e32 v173, v152, v1
	v_dot4c_i32_i8_e32 v170, v139, v5
	;; [unrolled: 1-line block ×3, first 2 shown]
	s_waitcnt lgkmcnt(0)
	v_and_b32_e32 v154, 0xf0f0f0f, v160
	v_lshrrev_b32_e32 v155, 4, v160
	v_and_b32_e32 v155, 0xf0f0f0f, v155
	v_dot4c_i32_i8_e32 v174, v154, v0
	v_dot4c_i32_i8_e32 v174, v155, v4
	v_and_b32_e32 v0, 0xf0f0f0f, v161
	v_dot4c_i32_i8_e32 v174, v0, v1
	v_add_u32_e32 v1, 0x3188, v129
	v_lshrrev_b32_e32 v4, 4, v161
	ds_read2_b32 v[160:161], v1 offset1:1
	v_and_b32_e32 v4, 0xf0f0f0f, v4
	v_dot4c_i32_i8_e32 v173, v153, v5
	v_dot4c_i32_i8_e32 v174, v4, v5
	;; [unrolled: 1-line block ×3, first 2 shown]
	s_waitcnt lgkmcnt(0)
	v_and_b32_e32 v1, 0xf0f0f0f, v160
	v_lshrrev_b32_e32 v5, 4, v160
	v_dot4c_i32_i8_e32 v172, v148, v2
	v_dot4c_i32_i8_e32 v173, v156, v2
	v_and_b32_e32 v5, 0xf0f0f0f, v5
	v_dot4c_i32_i8_e32 v174, v1, v2
	v_dot4c_i32_i8_e32 v170, v141, v6
	;; [unrolled: 1-line block ×5, first 2 shown]
	v_and_b32_e32 v2, 0xf0f0f0f, v161
	v_lshrrev_b32_e32 v6, 4, v161
	ds_read_b128 v[160:163], v128 offset:1024
	ds_read_b128 v[164:167], v128 offset:1040
	v_dot4c_i32_i8_e32 v170, v142, v3
	v_dot4c_i32_i8_e32 v172, v150, v3
	;; [unrolled: 1-line block ×4, first 2 shown]
	v_mov_b32_e32 v3, 0
	s_waitcnt lgkmcnt(1)
	v_dot4c_i32_i8_e32 v3, v134, v160
	s_waitcnt lgkmcnt(0)
	v_dot4c_i32_i8_e32 v3, v135, v164
	v_dot4c_i32_i8_e32 v3, v137, v161
	;; [unrolled: 1-line block ×8, first 2 shown]
	v_cvt_f32_f16_e32 v169, v99
	v_cvt_f32_f16_e32 v168, v98
	v_cvt_f32_i32_e32 v171, v3
	v_mov_b32_e32 v3, 0
	v_dot4c_i32_i8_e32 v3, v136, v160
	v_dot4c_i32_i8_e32 v3, v138, v164
	v_cvt_f32_f16_sdwa v99, v99 dst_sel:DWORD dst_unused:UNUSED_PAD src0_sel:WORD_1
	v_cvt_f32_f16_sdwa v98, v98 dst_sel:DWORD dst_unused:UNUSED_PAD src0_sel:WORD_1
	v_dot4c_i32_i8_e32 v3, v143, v161
	v_cvt_f32_i32_e32 v170, v170
	v_dot4c_i32_i8_e32 v3, v145, v165
	v_dot4c_i32_i8_e32 v3, v148, v162
	;; [unrolled: 1-line block ×3, first 2 shown]
	v_pk_mul_f32 v[98:99], v[98:99], s[4:5] op_sel_hi:[1,0]
	v_dot4c_i32_i8_e32 v3, v150, v163
	v_pk_fma_f32 v[170:171], v[168:169], v[170:171], v[98:99] neg_lo:[0,0,1] neg_hi:[0,0,1]
	v_dot4c_i32_i8_e32 v3, v151, v167
	v_pk_fma_f32 v[64:65], v[90:91], v[170:171], v[64:65] op_sel_hi:[0,1,1]
	v_dot4c_i32_i8_e32 v172, v151, v7
	v_and_b32_e32 v6, 0xf0f0f0f, v6
	v_cvt_f32_i32_e32 v171, v3
	v_mov_b32_e32 v3, 0
	v_dot4c_i32_i8_e32 v3, v146, v160
	v_dot4c_i32_i8_e32 v3, v147, v164
	;; [unrolled: 1-line block ×3, first 2 shown]
	v_cvt_f32_i32_e32 v170, v172
	v_dot4c_i32_i8_e32 v3, v153, v165
	v_dot4c_i32_i8_e32 v3, v156, v162
	;; [unrolled: 1-line block ×4, first 2 shown]
	v_pk_fma_f32 v[170:171], v[168:169], v[170:171], v[98:99] neg_lo:[0,0,1] neg_hi:[0,0,1]
	v_dot4c_i32_i8_e32 v3, v159, v167
	v_pk_fma_f32 v[58:59], v[92:93], v[170:171], v[58:59] op_sel_hi:[0,1,1]
	v_dot4c_i32_i8_e32 v173, v159, v7
	v_dot4c_i32_i8_e32 v174, v6, v7
	v_cvt_f32_i32_e32 v171, v3
	v_mov_b32_e32 v3, 0
	v_dot4c_i32_i8_e32 v3, v154, v160
	v_dot4c_i32_i8_e32 v3, v155, v164
	;; [unrolled: 1-line block ×8, first 2 shown]
	v_cvt_f32_i32_e32 v170, v173
	v_cvt_f32_i32_e32 v160, v174
	v_mov_b32_e32 v7, 0
	v_cvt_f32_i32_e32 v161, v3
	v_pk_fma_f32 v[170:171], v[168:169], v[170:171], v[98:99] neg_lo:[0,0,1] neg_hi:[0,0,1]
	v_mov_b32_e32 v3, 0
	v_mov_b32_e32 v172, 0
	v_pk_fma_f32 v[98:99], v[168:169], v[160:161], v[98:99] neg_lo:[0,0,1] neg_hi:[0,0,1]
	v_mov_b32_e32 v173, 0
	v_pk_fma_f32 v[36:37], v[96:97], v[98:99], v[36:37] op_sel_hi:[0,1,1]
	ds_read_b128 v[160:163], v128 offset:2048
	ds_read_b128 v[164:167], v128 offset:2064
	ds_read2_b32 v[98:99], v127 offset0:64 offset1:96
	v_pk_fma_f32 v[46:47], v[94:95], v[170:171], v[46:47] op_sel_hi:[0,1,1]
	v_mov_b32_e32 v170, 0
	s_waitcnt lgkmcnt(2)
	v_dot4c_i32_i8_e32 v3, v134, v160
	v_dot4c_i32_i8_e32 v7, v136, v160
	;; [unrolled: 1-line block ×4, first 2 shown]
	s_waitcnt lgkmcnt(1)
	v_dot4c_i32_i8_e32 v3, v135, v164
	v_dot4c_i32_i8_e32 v7, v138, v164
	;; [unrolled: 1-line block ×28, first 2 shown]
	ds_read_b128 v[160:163], v128 offset:3072
	ds_read_b128 v[164:167], v128 offset:3088
	s_waitcnt lgkmcnt(2)
	v_cvt_f32_f16_e32 v169, v99
	v_cvt_f32_f16_e32 v168, v98
	v_cvt_f32_f16_sdwa v99, v99 dst_sel:DWORD dst_unused:UNUSED_PAD src0_sel:WORD_1
	s_waitcnt lgkmcnt(1)
	v_dot4c_i32_i8_e32 v170, v134, v160
	s_waitcnt lgkmcnt(0)
	v_dot4c_i32_i8_e32 v170, v135, v164
	v_dot4c_i32_i8_e32 v170, v137, v161
	;; [unrolled: 1-line block ×7, first 2 shown]
	v_cvt_f32_f16_sdwa v98, v98 dst_sel:DWORD dst_unused:UNUSED_PAD src0_sel:WORD_1
	s_add_i32 s1, s1, 4
	v_add_u32_e32 v133, 4, v133
	v_cvt_f32_i32_e32 v171, v170
	v_cvt_f32_i32_e32 v170, v3
	v_mov_b32_e32 v3, 0
	v_dot4c_i32_i8_e32 v3, v136, v160
	v_dot4c_i32_i8_e32 v3, v138, v164
	;; [unrolled: 1-line block ×6, first 2 shown]
	v_pk_mul_f32 v[98:99], v[98:99], s[4:5] op_sel_hi:[1,0]
	v_dot4c_i32_i8_e32 v3, v150, v163
	v_pk_fma_f32 v[170:171], v[170:171], v[168:169], v[98:99] neg_lo:[0,0,1] neg_hi:[0,0,1]
	v_dot4c_i32_i8_e32 v3, v151, v167
	v_pk_fma_f32 v[30:31], v[90:91], v[170:171], v[30:31] op_sel_hi:[0,1,1]
	v_cvt_f32_i32_e32 v170, v7
	v_mov_b32_e32 v7, 0
	v_cvt_f32_i32_e32 v171, v3
	v_mov_b32_e32 v3, 0
	v_dot4c_i32_i8_e32 v3, v146, v160
	v_dot4c_i32_i8_e32 v3, v147, v164
	;; [unrolled: 1-line block ×7, first 2 shown]
	v_pk_fma_f32 v[170:171], v[170:171], v[168:169], v[98:99] neg_lo:[0,0,1] neg_hi:[0,0,1]
	v_dot4c_i32_i8_e32 v3, v159, v167
	v_pk_fma_f32 v[28:29], v[92:93], v[170:171], v[28:29] op_sel_hi:[0,1,1]
	v_cvt_f32_i32_e32 v170, v172
	v_mov_b32_e32 v172, 0
	v_cvt_f32_i32_e32 v171, v3
	v_mov_b32_e32 v3, 0
	v_dot4c_i32_i8_e32 v3, v154, v160
	v_dot4c_i32_i8_e32 v3, v155, v164
	;; [unrolled: 1-line block ×8, first 2 shown]
	v_cvt_f32_i32_e32 v160, v173
	v_pk_fma_f32 v[170:171], v[170:171], v[168:169], v[98:99] neg_lo:[0,0,1] neg_hi:[0,0,1]
	v_mov_b32_e32 v173, 0
	v_cvt_f32_i32_e32 v161, v3
	v_mov_b32_e32 v3, 0
	v_pk_fma_f32 v[26:27], v[94:95], v[170:171], v[26:27] op_sel_hi:[0,1,1]
	v_mov_b32_e32 v170, 0
	v_pk_fma_f32 v[98:99], v[160:161], v[168:169], v[98:99] neg_lo:[0,0,1] neg_hi:[0,0,1]
	v_add_u32_e32 v132, 4, v132
	v_pk_fma_f32 v[24:25], v[96:97], v[98:99], v[24:25] op_sel_hi:[0,1,1]
	ds_read_b128 v[160:163], v128 offset:4096
	ds_read_b128 v[164:167], v128 offset:4112
	ds_read2_b32 v[98:99], v127 offset0:128 offset1:160
	v_add_u32_e32 v131, 4, v131
	v_add_u32_e32 v130, 4, v130
	s_waitcnt lgkmcnt(2)
	v_dot4c_i32_i8_e32 v3, v134, v160
	v_dot4c_i32_i8_e32 v7, v136, v160
	;; [unrolled: 1-line block ×4, first 2 shown]
	s_waitcnt lgkmcnt(1)
	v_dot4c_i32_i8_e32 v3, v135, v164
	v_dot4c_i32_i8_e32 v7, v138, v164
	;; [unrolled: 1-line block ×28, first 2 shown]
	ds_read_b128 v[160:163], v128 offset:5120
	ds_read_b128 v[164:167], v128 offset:5136
	s_waitcnt lgkmcnt(2)
	v_cvt_f32_f16_e32 v169, v99
	v_cvt_f32_f16_e32 v168, v98
	v_cvt_f32_f16_sdwa v99, v99 dst_sel:DWORD dst_unused:UNUSED_PAD src0_sel:WORD_1
	s_waitcnt lgkmcnt(1)
	v_dot4c_i32_i8_e32 v170, v134, v160
	s_waitcnt lgkmcnt(0)
	v_dot4c_i32_i8_e32 v170, v135, v164
	v_dot4c_i32_i8_e32 v170, v137, v161
	;; [unrolled: 1-line block ×7, first 2 shown]
	v_cvt_f32_f16_sdwa v98, v98 dst_sel:DWORD dst_unused:UNUSED_PAD src0_sel:WORD_1
	v_add_u32_e32 v129, 16, v129
	s_cmp_lt_u32 s1, 28
	v_cvt_f32_i32_e32 v171, v170
	v_cvt_f32_i32_e32 v170, v3
	v_mov_b32_e32 v3, 0
	v_dot4c_i32_i8_e32 v3, v136, v160
	v_dot4c_i32_i8_e32 v3, v138, v164
	v_dot4c_i32_i8_e32 v3, v143, v161
	v_dot4c_i32_i8_e32 v3, v145, v165
	v_dot4c_i32_i8_e32 v3, v148, v162
	v_dot4c_i32_i8_e32 v3, v149, v166
	v_pk_mul_f32 v[98:99], v[98:99], s[4:5] op_sel_hi:[1,0]
	v_dot4c_i32_i8_e32 v3, v150, v163
	v_pk_fma_f32 v[170:171], v[170:171], v[168:169], v[98:99] neg_lo:[0,0,1] neg_hi:[0,0,1]
	v_dot4c_i32_i8_e32 v3, v151, v167
	v_pk_fma_f32 v[22:23], v[90:91], v[170:171], v[22:23] op_sel_hi:[0,1,1]
	v_cvt_f32_i32_e32 v170, v7
	v_mov_b32_e32 v7, 0
	v_cvt_f32_i32_e32 v171, v3
	v_mov_b32_e32 v3, 0
	v_dot4c_i32_i8_e32 v3, v146, v160
	v_dot4c_i32_i8_e32 v3, v147, v164
	v_dot4c_i32_i8_e32 v3, v152, v161
	v_dot4c_i32_i8_e32 v3, v153, v165
	v_dot4c_i32_i8_e32 v3, v156, v162
	v_dot4c_i32_i8_e32 v3, v157, v166
	v_dot4c_i32_i8_e32 v3, v158, v163
	v_pk_fma_f32 v[170:171], v[170:171], v[168:169], v[98:99] neg_lo:[0,0,1] neg_hi:[0,0,1]
	v_dot4c_i32_i8_e32 v3, v159, v167
	v_pk_fma_f32 v[20:21], v[92:93], v[170:171], v[20:21] op_sel_hi:[0,1,1]
	v_cvt_f32_i32_e32 v170, v172
	s_nop 0
	v_cvt_f32_i32_e32 v171, v3
	v_mov_b32_e32 v3, 0
	v_dot4c_i32_i8_e32 v3, v154, v160
	v_dot4c_i32_i8_e32 v3, v155, v164
	;; [unrolled: 1-line block ×8, first 2 shown]
	v_cvt_f32_i32_e32 v160, v173
	v_pk_fma_f32 v[170:171], v[170:171], v[168:169], v[98:99] neg_lo:[0,0,1] neg_hi:[0,0,1]
	s_nop 0
	v_cvt_f32_i32_e32 v161, v3
	v_mov_b32_e32 v3, 0
	v_pk_fma_f32 v[18:19], v[94:95], v[170:171], v[18:19] op_sel_hi:[0,1,1]
	v_mov_b32_e32 v170, 0
	v_pk_fma_f32 v[98:99], v[160:161], v[168:169], v[98:99] neg_lo:[0,0,1] neg_hi:[0,0,1]
	v_mov_b32_e32 v168, 0
	v_pk_fma_f32 v[16:17], v[96:97], v[98:99], v[16:17] op_sel_hi:[0,1,1]
	ds_read_b128 v[160:163], v128 offset:6144
	ds_read_b128 v[164:167], v128 offset:6160
	ds_read2_b32 v[98:99], v127 offset0:192 offset1:224
	v_mov_b32_e32 v169, 0
	v_add_u32_e32 v127, 4, v127
	s_waitcnt lgkmcnt(2)
	v_dot4c_i32_i8_e32 v3, v134, v160
	v_dot4c_i32_i8_e32 v7, v136, v160
	;; [unrolled: 1-line block ×4, first 2 shown]
	s_waitcnt lgkmcnt(1)
	v_dot4c_i32_i8_e32 v3, v135, v164
	v_dot4c_i32_i8_e32 v7, v138, v164
	;; [unrolled: 1-line block ×28, first 2 shown]
	ds_read_b128 v[160:163], v128 offset:7168
	ds_read_b128 v[164:167], v128 offset:7184
	v_add_u32_e32 v128, 32, v128
	s_waitcnt lgkmcnt(1)
	v_dot4c_i32_i8_e32 v170, v134, v160
	s_waitcnt lgkmcnt(0)
	v_dot4c_i32_i8_e32 v170, v135, v164
	v_dot4c_i32_i8_e32 v170, v137, v161
	;; [unrolled: 1-line block ×4, first 2 shown]
	v_cvt_f32_i32_e32 v140, v3
	v_mov_b32_e32 v3, 0
	v_dot4c_i32_i8_e32 v3, v136, v160
	v_dot4c_i32_i8_e32 v3, v138, v164
	;; [unrolled: 1-line block ×8, first 2 shown]
	v_cvt_f32_f16_e32 v135, v99
	v_cvt_f32_f16_e32 v134, v98
	v_cvt_f32_f16_sdwa v99, v99 dst_sel:DWORD dst_unused:UNUSED_PAD src0_sel:WORD_1
	v_cvt_f32_i32_e32 v137, v3
	v_mov_b32_e32 v3, 0
	v_dot4c_i32_i8_e32 v3, v146, v160
	v_dot4c_i32_i8_e32 v3, v147, v164
	v_cvt_f32_f16_sdwa v98, v98 dst_sel:DWORD dst_unused:UNUSED_PAD src0_sel:WORD_1
	v_dot4c_i32_i8_e32 v3, v152, v161
	v_cvt_f32_i32_e32 v136, v7
	v_dot4c_i32_i8_e32 v3, v153, v165
	v_dot4c_i32_i8_e32 v3, v156, v162
	;; [unrolled: 1-line block ×3, first 2 shown]
	v_pk_mul_f32 v[98:99], v[98:99], s[4:5] op_sel_hi:[1,0]
	v_dot4c_i32_i8_e32 v3, v158, v163
	v_pk_fma_f32 v[136:137], v[136:137], v[134:135], v[98:99] neg_lo:[0,0,1] neg_hi:[0,0,1]
	v_dot4c_i32_i8_e32 v3, v159, v167
	v_pk_fma_f32 v[12:13], v[92:93], v[136:137], v[12:13] op_sel_hi:[0,1,1]
	v_dot4c_i32_i8_e32 v170, v141, v166
	v_dot4c_i32_i8_e32 v170, v142, v163
	v_cvt_f32_i32_e32 v137, v3
	v_mov_b32_e32 v3, 0
	v_dot4c_i32_i8_e32 v3, v154, v160
	v_dot4c_i32_i8_e32 v3, v155, v164
	v_dot4c_i32_i8_e32 v3, v0, v161
	v_dot4c_i32_i8_e32 v3, v4, v165
	v_dot4c_i32_i8_e32 v3, v1, v162
	v_dot4c_i32_i8_e32 v3, v5, v166
	v_dot4c_i32_i8_e32 v3, v2, v163
	v_dot4c_i32_i8_e32 v170, v144, v167
	v_dot4c_i32_i8_e32 v3, v6, v167
	v_cvt_f32_i32_e32 v136, v168
	v_cvt_f32_i32_e32 v0, v169
	;; [unrolled: 1-line block ×4, first 2 shown]
	v_pk_fma_f32 v[136:137], v[136:137], v[134:135], v[98:99] neg_lo:[0,0,1] neg_hi:[0,0,1]
	v_pk_fma_f32 v[140:141], v[140:141], v[134:135], v[98:99] neg_lo:[0,0,1] neg_hi:[0,0,1]
	;; [unrolled: 1-line block ×3, first 2 shown]
	v_pk_fma_f32 v[14:15], v[90:91], v[140:141], v[14:15] op_sel_hi:[0,1,1]
	v_pk_fma_f32 v[10:11], v[94:95], v[136:137], v[10:11] op_sel_hi:[0,1,1]
	;; [unrolled: 1-line block ×3, first 2 shown]
	s_cbranch_scc1 .LBB117_10
; %bb.11:                               ;   in Loop: Header=BB117_6 Depth=1
	s_barrier
	s_branch .LBB117_5
.LBB117_12:
	v_mov_b32_e32 v1, v39
.LBB117_13:
	v_cmp_gt_u32_e32 vcc, s8, v41
	s_and_saveexec_b64 s[0:1], vcc
	s_cbranch_execz .LBB117_64
; %bb.14:
	v_add_u32_e32 v0, s14, v33
	v_mul_lo_u32 v5, v41, s10
	v_cmp_gt_u32_e32 vcc, s10, v0
	s_and_saveexec_b64 s[0:1], vcc
	s_cbranch_execz .LBB117_16
; %bb.15:
	v_add_u32_e32 v2, v0, v5
	v_mov_b32_e32 v3, 0
	s_waitcnt lgkmcnt(0)
	v_lshl_add_u64 v[2:3], v[2:3], 2, s[12:13]
	global_store_dword v[2:3], v64, off
.LBB117_16:
	s_or_b64 exec, exec, s[0:1]
	v_add_u32_e32 v2, 32, v0
	v_cmp_gt_u32_e64 s[0:1], s10, v2
	s_and_saveexec_b64 s[2:3], s[0:1]
	s_cbranch_execz .LBB117_18
; %bb.17:
	v_add_u32_e32 v6, v2, v5
	v_mov_b32_e32 v7, 0
	s_waitcnt lgkmcnt(0)
	v_lshl_add_u64 v[6:7], v[6:7], 2, s[12:13]
	global_store_dword v[6:7], v58, off
.LBB117_18:
	s_or_b64 exec, exec, s[2:3]
	v_add_u32_e32 v3, 64, v0
	v_cmp_gt_u32_e64 s[2:3], s10, v3
	s_and_saveexec_b64 s[4:5], s[2:3]
	;; [unrolled: 12-line block ×3, first 2 shown]
	s_cbranch_execz .LBB117_22
; %bb.21:
	v_add_u32_e32 v6, v4, v5
	v_mov_b32_e32 v7, 0
	s_waitcnt lgkmcnt(0)
	v_lshl_add_u64 v[6:7], v[6:7], 2, s[12:13]
	global_store_dword v[6:7], v36, off
.LBB117_22:
	s_or_b64 exec, exec, s[6:7]
	v_add3_u32 v5, v1, s11, 8
	v_cmp_gt_u32_e64 s[6:7], s8, v5
	s_and_b64 exec, exec, s[6:7]
	s_cbranch_execz .LBB117_64
; %bb.23:
	v_mul_lo_u32 v5, v5, s10
	s_and_saveexec_b64 s[6:7], vcc
	s_cbranch_execnz .LBB117_65
; %bb.24:
	s_or_b64 exec, exec, s[6:7]
	s_and_saveexec_b64 s[6:7], s[0:1]
	s_cbranch_execnz .LBB117_66
.LBB117_25:
	s_or_b64 exec, exec, s[6:7]
	s_and_saveexec_b64 s[6:7], s[2:3]
	s_cbranch_execnz .LBB117_67
.LBB117_26:
	s_or_b64 exec, exec, s[6:7]
	s_and_saveexec_b64 s[6:7], s[4:5]
	s_cbranch_execz .LBB117_28
.LBB117_27:
	v_add_u32_e32 v6, v5, v4
	v_mov_b32_e32 v7, 0
	s_waitcnt lgkmcnt(0)
	v_lshl_add_u64 v[6:7], v[6:7], 2, s[12:13]
	global_store_dword v[6:7], v37, off
.LBB117_28:
	s_or_b64 exec, exec, s[6:7]
	v_add3_u32 v5, v1, s11, 16
	v_cmp_gt_u32_e64 s[6:7], s8, v5
	s_and_b64 exec, exec, s[6:7]
	s_cbranch_execz .LBB117_64
; %bb.29:
	v_mul_lo_u32 v5, v5, s10
	s_and_saveexec_b64 s[6:7], vcc
	s_cbranch_execnz .LBB117_68
; %bb.30:
	s_or_b64 exec, exec, s[6:7]
	s_and_saveexec_b64 s[6:7], s[0:1]
	s_cbranch_execnz .LBB117_69
.LBB117_31:
	s_or_b64 exec, exec, s[6:7]
	s_and_saveexec_b64 s[6:7], s[2:3]
	s_cbranch_execnz .LBB117_70
.LBB117_32:
	s_or_b64 exec, exec, s[6:7]
	s_and_saveexec_b64 s[6:7], s[4:5]
	s_cbranch_execz .LBB117_34
.LBB117_33:
	v_add_u32_e32 v6, v5, v4
	v_mov_b32_e32 v7, 0
	s_waitcnt lgkmcnt(0)
	v_lshl_add_u64 v[6:7], v[6:7], 2, s[12:13]
	global_store_dword v[6:7], v24, off
.LBB117_34:
	s_or_b64 exec, exec, s[6:7]
	v_add3_u32 v5, v1, s11, 24
	v_cmp_gt_u32_e64 s[6:7], s8, v5
	s_and_b64 exec, exec, s[6:7]
	s_cbranch_execz .LBB117_64
; %bb.35:
	v_mul_lo_u32 v5, v5, s10
	s_and_saveexec_b64 s[6:7], vcc
	s_cbranch_execnz .LBB117_71
; %bb.36:
	s_or_b64 exec, exec, s[6:7]
	s_and_saveexec_b64 s[6:7], s[0:1]
	s_cbranch_execnz .LBB117_72
.LBB117_37:
	s_or_b64 exec, exec, s[6:7]
	s_and_saveexec_b64 s[6:7], s[2:3]
	s_cbranch_execnz .LBB117_73
.LBB117_38:
	s_or_b64 exec, exec, s[6:7]
	s_and_saveexec_b64 s[6:7], s[4:5]
	s_cbranch_execz .LBB117_40
.LBB117_39:
	v_add_u32_e32 v6, v5, v4
	v_mov_b32_e32 v7, 0
	s_waitcnt lgkmcnt(0)
	v_lshl_add_u64 v[6:7], v[6:7], 2, s[12:13]
	global_store_dword v[6:7], v25, off
.LBB117_40:
	s_or_b64 exec, exec, s[6:7]
	v_add3_u32 v5, v1, s11, 32
	v_cmp_gt_u32_e64 s[6:7], s8, v5
	s_and_b64 exec, exec, s[6:7]
	s_cbranch_execz .LBB117_64
; %bb.41:
	v_mul_lo_u32 v5, v5, s10
	s_and_saveexec_b64 s[6:7], vcc
	s_cbranch_execnz .LBB117_74
; %bb.42:
	s_or_b64 exec, exec, s[6:7]
	s_and_saveexec_b64 s[6:7], s[0:1]
	s_cbranch_execnz .LBB117_75
.LBB117_43:
	s_or_b64 exec, exec, s[6:7]
	s_and_saveexec_b64 s[6:7], s[2:3]
	s_cbranch_execnz .LBB117_76
.LBB117_44:
	s_or_b64 exec, exec, s[6:7]
	s_and_saveexec_b64 s[6:7], s[4:5]
	s_cbranch_execz .LBB117_46
.LBB117_45:
	v_add_u32_e32 v6, v5, v4
	v_mov_b32_e32 v7, 0
	s_waitcnt lgkmcnt(0)
	v_lshl_add_u64 v[6:7], v[6:7], 2, s[12:13]
	global_store_dword v[6:7], v16, off
.LBB117_46:
	s_or_b64 exec, exec, s[6:7]
	v_add3_u32 v5, v1, s11, 40
	v_cmp_gt_u32_e64 s[6:7], s8, v5
	s_and_b64 exec, exec, s[6:7]
	s_cbranch_execz .LBB117_64
; %bb.47:
	v_mul_lo_u32 v5, v5, s10
	s_and_saveexec_b64 s[6:7], vcc
	s_cbranch_execnz .LBB117_77
; %bb.48:
	s_or_b64 exec, exec, s[6:7]
	s_and_saveexec_b64 s[6:7], s[0:1]
	s_cbranch_execnz .LBB117_78
.LBB117_49:
	s_or_b64 exec, exec, s[6:7]
	s_and_saveexec_b64 s[6:7], s[2:3]
	s_cbranch_execnz .LBB117_79
.LBB117_50:
	s_or_b64 exec, exec, s[6:7]
	s_and_saveexec_b64 s[6:7], s[4:5]
	s_cbranch_execz .LBB117_52
.LBB117_51:
	v_add_u32_e32 v6, v5, v4
	v_mov_b32_e32 v7, 0
	s_waitcnt lgkmcnt(0)
	v_lshl_add_u64 v[6:7], v[6:7], 2, s[12:13]
	global_store_dword v[6:7], v17, off
.LBB117_52:
	s_or_b64 exec, exec, s[6:7]
	v_add3_u32 v5, v1, s11, 48
	v_cmp_gt_u32_e64 s[6:7], s8, v5
	s_and_b64 exec, exec, s[6:7]
	s_cbranch_execz .LBB117_64
; %bb.53:
	v_mul_lo_u32 v5, v5, s10
	s_and_saveexec_b64 s[6:7], vcc
	s_cbranch_execnz .LBB117_80
; %bb.54:
	s_or_b64 exec, exec, s[6:7]
	s_and_saveexec_b64 s[6:7], s[0:1]
	s_cbranch_execnz .LBB117_81
.LBB117_55:
	s_or_b64 exec, exec, s[6:7]
	s_and_saveexec_b64 s[6:7], s[2:3]
	s_cbranch_execnz .LBB117_82
.LBB117_56:
	s_or_b64 exec, exec, s[6:7]
	s_and_saveexec_b64 s[6:7], s[4:5]
	s_cbranch_execz .LBB117_58
.LBB117_57:
	v_add_u32_e32 v6, v5, v4
	v_mov_b32_e32 v7, 0
	s_waitcnt lgkmcnt(0)
	v_lshl_add_u64 v[6:7], v[6:7], 2, s[12:13]
	global_store_dword v[6:7], v8, off
.LBB117_58:
	s_or_b64 exec, exec, s[6:7]
	v_add3_u32 v1, v1, s11, 56
	v_cmp_gt_u32_e64 s[6:7], s8, v1
	s_and_b64 exec, exec, s[6:7]
	s_cbranch_execz .LBB117_64
; %bb.59:
	v_mul_lo_u32 v1, v1, s10
	s_and_saveexec_b64 s[6:7], vcc
	s_cbranch_execnz .LBB117_83
; %bb.60:
	s_or_b64 exec, exec, s[6:7]
	s_and_saveexec_b64 s[6:7], s[0:1]
	s_cbranch_execnz .LBB117_84
.LBB117_61:
	s_or_b64 exec, exec, s[6:7]
	s_and_saveexec_b64 s[0:1], s[2:3]
	s_cbranch_execnz .LBB117_85
.LBB117_62:
	s_or_b64 exec, exec, s[0:1]
	s_and_b64 exec, exec, s[4:5]
	s_cbranch_execz .LBB117_64
.LBB117_63:
	v_add_u32_e32 v0, v1, v4
	v_mov_b32_e32 v1, 0
	s_waitcnt lgkmcnt(0)
	v_lshl_add_u64 v[0:1], v[0:1], 2, s[12:13]
	global_store_dword v[0:1], v9, off
.LBB117_64:
	s_endpgm
.LBB117_65:
	v_add_u32_e32 v6, v5, v0
	v_mov_b32_e32 v7, 0
	s_waitcnt lgkmcnt(0)
	v_lshl_add_u64 v[6:7], v[6:7], 2, s[12:13]
	global_store_dword v[6:7], v65, off
	s_or_b64 exec, exec, s[6:7]
	s_and_saveexec_b64 s[6:7], s[0:1]
	s_cbranch_execz .LBB117_25
.LBB117_66:
	v_add_u32_e32 v6, v5, v2
	v_mov_b32_e32 v7, 0
	s_waitcnt lgkmcnt(0)
	v_lshl_add_u64 v[6:7], v[6:7], 2, s[12:13]
	global_store_dword v[6:7], v59, off
	s_or_b64 exec, exec, s[6:7]
	s_and_saveexec_b64 s[6:7], s[2:3]
	s_cbranch_execz .LBB117_26
.LBB117_67:
	v_add_u32_e32 v6, v5, v3
	v_mov_b32_e32 v7, 0
	s_waitcnt lgkmcnt(0)
	v_lshl_add_u64 v[6:7], v[6:7], 2, s[12:13]
	global_store_dword v[6:7], v47, off
	s_or_b64 exec, exec, s[6:7]
	s_and_saveexec_b64 s[6:7], s[4:5]
	s_cbranch_execnz .LBB117_27
	s_branch .LBB117_28
.LBB117_68:
	v_add_u32_e32 v6, v5, v0
	v_mov_b32_e32 v7, 0
	s_waitcnt lgkmcnt(0)
	v_lshl_add_u64 v[6:7], v[6:7], 2, s[12:13]
	global_store_dword v[6:7], v30, off
	s_or_b64 exec, exec, s[6:7]
	s_and_saveexec_b64 s[6:7], s[0:1]
	s_cbranch_execz .LBB117_31
.LBB117_69:
	v_add_u32_e32 v6, v5, v2
	v_mov_b32_e32 v7, 0
	s_waitcnt lgkmcnt(0)
	v_lshl_add_u64 v[6:7], v[6:7], 2, s[12:13]
	global_store_dword v[6:7], v28, off
	s_or_b64 exec, exec, s[6:7]
	s_and_saveexec_b64 s[6:7], s[2:3]
	s_cbranch_execz .LBB117_32
.LBB117_70:
	v_add_u32_e32 v6, v5, v3
	v_mov_b32_e32 v7, 0
	s_waitcnt lgkmcnt(0)
	v_lshl_add_u64 v[6:7], v[6:7], 2, s[12:13]
	global_store_dword v[6:7], v26, off
	s_or_b64 exec, exec, s[6:7]
	s_and_saveexec_b64 s[6:7], s[4:5]
	s_cbranch_execnz .LBB117_33
	s_branch .LBB117_34
.LBB117_71:
	v_add_u32_e32 v6, v5, v0
	v_mov_b32_e32 v7, 0
	s_waitcnt lgkmcnt(0)
	v_lshl_add_u64 v[6:7], v[6:7], 2, s[12:13]
	global_store_dword v[6:7], v31, off
	s_or_b64 exec, exec, s[6:7]
	s_and_saveexec_b64 s[6:7], s[0:1]
	s_cbranch_execz .LBB117_37
.LBB117_72:
	v_add_u32_e32 v6, v5, v2
	v_mov_b32_e32 v7, 0
	s_waitcnt lgkmcnt(0)
	v_lshl_add_u64 v[6:7], v[6:7], 2, s[12:13]
	global_store_dword v[6:7], v29, off
	s_or_b64 exec, exec, s[6:7]
	s_and_saveexec_b64 s[6:7], s[2:3]
	s_cbranch_execz .LBB117_38
.LBB117_73:
	v_add_u32_e32 v6, v5, v3
	v_mov_b32_e32 v7, 0
	s_waitcnt lgkmcnt(0)
	v_lshl_add_u64 v[6:7], v[6:7], 2, s[12:13]
	global_store_dword v[6:7], v27, off
	s_or_b64 exec, exec, s[6:7]
	s_and_saveexec_b64 s[6:7], s[4:5]
	s_cbranch_execnz .LBB117_39
	s_branch .LBB117_40
.LBB117_74:
	v_add_u32_e32 v6, v5, v0
	v_mov_b32_e32 v7, 0
	s_waitcnt lgkmcnt(0)
	v_lshl_add_u64 v[6:7], v[6:7], 2, s[12:13]
	global_store_dword v[6:7], v22, off
	s_or_b64 exec, exec, s[6:7]
	s_and_saveexec_b64 s[6:7], s[0:1]
	s_cbranch_execz .LBB117_43
.LBB117_75:
	v_add_u32_e32 v6, v5, v2
	v_mov_b32_e32 v7, 0
	s_waitcnt lgkmcnt(0)
	v_lshl_add_u64 v[6:7], v[6:7], 2, s[12:13]
	global_store_dword v[6:7], v20, off
	s_or_b64 exec, exec, s[6:7]
	s_and_saveexec_b64 s[6:7], s[2:3]
	s_cbranch_execz .LBB117_44
.LBB117_76:
	v_add_u32_e32 v6, v5, v3
	v_mov_b32_e32 v7, 0
	s_waitcnt lgkmcnt(0)
	v_lshl_add_u64 v[6:7], v[6:7], 2, s[12:13]
	global_store_dword v[6:7], v18, off
	s_or_b64 exec, exec, s[6:7]
	s_and_saveexec_b64 s[6:7], s[4:5]
	s_cbranch_execnz .LBB117_45
	s_branch .LBB117_46
.LBB117_77:
	v_add_u32_e32 v6, v5, v0
	v_mov_b32_e32 v7, 0
	s_waitcnt lgkmcnt(0)
	v_lshl_add_u64 v[6:7], v[6:7], 2, s[12:13]
	global_store_dword v[6:7], v23, off
	s_or_b64 exec, exec, s[6:7]
	s_and_saveexec_b64 s[6:7], s[0:1]
	s_cbranch_execz .LBB117_49
.LBB117_78:
	v_add_u32_e32 v6, v5, v2
	v_mov_b32_e32 v7, 0
	s_waitcnt lgkmcnt(0)
	v_lshl_add_u64 v[6:7], v[6:7], 2, s[12:13]
	global_store_dword v[6:7], v21, off
	s_or_b64 exec, exec, s[6:7]
	s_and_saveexec_b64 s[6:7], s[2:3]
	s_cbranch_execz .LBB117_50
.LBB117_79:
	v_add_u32_e32 v6, v5, v3
	v_mov_b32_e32 v7, 0
	s_waitcnt lgkmcnt(0)
	v_lshl_add_u64 v[6:7], v[6:7], 2, s[12:13]
	global_store_dword v[6:7], v19, off
	s_or_b64 exec, exec, s[6:7]
	s_and_saveexec_b64 s[6:7], s[4:5]
	s_cbranch_execnz .LBB117_51
	s_branch .LBB117_52
.LBB117_80:
	v_add_u32_e32 v6, v5, v0
	v_mov_b32_e32 v7, 0
	s_waitcnt lgkmcnt(0)
	v_lshl_add_u64 v[6:7], v[6:7], 2, s[12:13]
	global_store_dword v[6:7], v14, off
	s_or_b64 exec, exec, s[6:7]
	s_and_saveexec_b64 s[6:7], s[0:1]
	s_cbranch_execz .LBB117_55
.LBB117_81:
	v_add_u32_e32 v6, v5, v2
	v_mov_b32_e32 v7, 0
	s_waitcnt lgkmcnt(0)
	v_lshl_add_u64 v[6:7], v[6:7], 2, s[12:13]
	global_store_dword v[6:7], v12, off
	s_or_b64 exec, exec, s[6:7]
	s_and_saveexec_b64 s[6:7], s[2:3]
	s_cbranch_execz .LBB117_56
.LBB117_82:
	v_add_u32_e32 v6, v5, v3
	v_mov_b32_e32 v7, 0
	s_waitcnt lgkmcnt(0)
	v_lshl_add_u64 v[6:7], v[6:7], 2, s[12:13]
	global_store_dword v[6:7], v10, off
	s_or_b64 exec, exec, s[6:7]
	s_and_saveexec_b64 s[6:7], s[4:5]
	s_cbranch_execnz .LBB117_57
	s_branch .LBB117_58
.LBB117_83:
	v_add_u32_e32 v6, v1, v0
	v_mov_b32_e32 v7, 0
	s_waitcnt lgkmcnt(0)
	v_lshl_add_u64 v[6:7], v[6:7], 2, s[12:13]
	global_store_dword v[6:7], v15, off
	s_or_b64 exec, exec, s[6:7]
	s_and_saveexec_b64 s[6:7], s[0:1]
	s_cbranch_execz .LBB117_61
.LBB117_84:
	v_add_u32_e32 v6, v1, v2
	v_mov_b32_e32 v7, 0
	s_waitcnt lgkmcnt(0)
	v_lshl_add_u64 v[6:7], v[6:7], 2, s[12:13]
	global_store_dword v[6:7], v13, off
	s_or_b64 exec, exec, s[6:7]
	s_and_saveexec_b64 s[0:1], s[2:3]
	s_cbranch_execz .LBB117_62
.LBB117_85:
	v_add_u32_e32 v2, v1, v3
	v_mov_b32_e32 v3, 0
	s_waitcnt lgkmcnt(0)
	v_lshl_add_u64 v[2:3], v[2:3], 2, s[12:13]
	global_store_dword v[2:3], v11, off
	s_or_b64 exec, exec, s[0:1]
	s_and_b64 exec, exec, s[4:5]
	s_cbranch_execnz .LBB117_63
	s_branch .LBB117_64
	.section	.rodata,"a",@progbits
	.p2align	6, 0x0
	.amdhsa_kernel _ZL12mul_mat_q4_0IfLb0EEvPKvS1_PT_iiiii
		.amdhsa_group_segment_fixed_size 30336
		.amdhsa_private_segment_fixed_size 0
		.amdhsa_kernarg_size 44
		.amdhsa_user_sgpr_count 2
		.amdhsa_user_sgpr_dispatch_ptr 0
		.amdhsa_user_sgpr_queue_ptr 0
		.amdhsa_user_sgpr_kernarg_segment_ptr 1
		.amdhsa_user_sgpr_dispatch_id 0
		.amdhsa_user_sgpr_kernarg_preload_length 0
		.amdhsa_user_sgpr_kernarg_preload_offset 0
		.amdhsa_user_sgpr_private_segment_size 0
		.amdhsa_uses_dynamic_stack 0
		.amdhsa_enable_private_segment 0
		.amdhsa_system_sgpr_workgroup_id_x 1
		.amdhsa_system_sgpr_workgroup_id_y 1
		.amdhsa_system_sgpr_workgroup_id_z 0
		.amdhsa_system_sgpr_workgroup_info 0
		.amdhsa_system_vgpr_workitem_id 1
		.amdhsa_next_free_vgpr 176
		.amdhsa_next_free_sgpr 20
		.amdhsa_accum_offset 176
		.amdhsa_reserve_vcc 1
		.amdhsa_float_round_mode_32 0
		.amdhsa_float_round_mode_16_64 0
		.amdhsa_float_denorm_mode_32 3
		.amdhsa_float_denorm_mode_16_64 3
		.amdhsa_dx10_clamp 1
		.amdhsa_ieee_mode 1
		.amdhsa_fp16_overflow 0
		.amdhsa_tg_split 0
		.amdhsa_exception_fp_ieee_invalid_op 0
		.amdhsa_exception_fp_denorm_src 0
		.amdhsa_exception_fp_ieee_div_zero 0
		.amdhsa_exception_fp_ieee_overflow 0
		.amdhsa_exception_fp_ieee_underflow 0
		.amdhsa_exception_fp_ieee_inexact 0
		.amdhsa_exception_int_div_zero 0
	.end_amdhsa_kernel
	.section	.text._ZL12mul_mat_q4_0IfLb0EEvPKvS1_PT_iiiii,"axG",@progbits,_ZL12mul_mat_q4_0IfLb0EEvPKvS1_PT_iiiii,comdat
.Lfunc_end117:
	.size	_ZL12mul_mat_q4_0IfLb0EEvPKvS1_PT_iiiii, .Lfunc_end117-_ZL12mul_mat_q4_0IfLb0EEvPKvS1_PT_iiiii
                                        ; -- End function
	.section	.AMDGPU.csdata,"",@progbits
; Kernel info:
; codeLenInByte = 9336
; NumSgprs: 26
; NumVgprs: 176
; NumAgprs: 0
; TotalNumVgprs: 176
; ScratchSize: 0
; MemoryBound: 0
; FloatMode: 240
; IeeeMode: 1
; LDSByteSize: 30336 bytes/workgroup (compile time only)
; SGPRBlocks: 3
; VGPRBlocks: 21
; NumSGPRsForWavesPerEU: 26
; NumVGPRsForWavesPerEU: 176
; AccumOffset: 176
; Occupancy: 2
; WaveLimiterHint : 0
; COMPUTE_PGM_RSRC2:SCRATCH_EN: 0
; COMPUTE_PGM_RSRC2:USER_SGPR: 2
; COMPUTE_PGM_RSRC2:TRAP_HANDLER: 0
; COMPUTE_PGM_RSRC2:TGID_X_EN: 1
; COMPUTE_PGM_RSRC2:TGID_Y_EN: 1
; COMPUTE_PGM_RSRC2:TGID_Z_EN: 0
; COMPUTE_PGM_RSRC2:TIDIG_COMP_CNT: 1
; COMPUTE_PGM_RSRC3_GFX90A:ACCUM_OFFSET: 43
; COMPUTE_PGM_RSRC3_GFX90A:TG_SPLIT: 0
	.section	.text._ZL12mul_mat_q4_0IfLb1EEvPKvS1_PT_iiiii,"axG",@progbits,_ZL12mul_mat_q4_0IfLb1EEvPKvS1_PT_iiiii,comdat
	.globl	_ZL12mul_mat_q4_0IfLb1EEvPKvS1_PT_iiiii ; -- Begin function _ZL12mul_mat_q4_0IfLb1EEvPKvS1_PT_iiiii
	.p2align	8
	.type	_ZL12mul_mat_q4_0IfLb1EEvPKvS1_PT_iiiii,@function
_ZL12mul_mat_q4_0IfLb1EEvPKvS1_PT_iiiii: ; @_ZL12mul_mat_q4_0IfLb1EEvPKvS1_PT_iiiii
; %bb.0:
	s_load_dwordx4 s[8:11], s[0:1], 0x18
	s_load_dword s14, s[0:1], 0x28
	s_lshl_b32 s15, s3, 6
	v_bfe_u32 v37, v0, 10, 10
	s_waitcnt lgkmcnt(0)
	s_cmp_gt_i32 s8, 31
	s_cbranch_scc1 .LBB118_2
; %bb.1:
	v_bfe_u32 v1, v0, 10, 10
	s_mov_b32 s4, 0
	v_and_b32_e32 v33, 0x3ff, v0
	v_add_u32_e32 v39, s15, v1
	s_mov_b32 s5, s4
	s_mov_b64 s[6:7], 0
	s_branch .LBB118_3
.LBB118_2:
	s_mov_b64 s[6:7], -1
                                        ; implicit-def: $sgpr4_sgpr5
                                        ; implicit-def: $vgpr1
                                        ; implicit-def: $vgpr33
                                        ; implicit-def: $vgpr39
.LBB118_3:
	s_load_dwordx2 s[12:13], s[0:1], 0x10
	s_lshl_b32 s16, s2, 7
	s_andn2_b64 vcc, exec, s[6:7]
	v_mov_b64_e32 v[8:9], s[4:5]
	v_mov_b64_e32 v[16:17], s[4:5]
	;; [unrolled: 1-line block ×16, first 2 shown]
	s_cbranch_vccnz .LBB118_13
; %bb.4:
	s_ashr_i32 s4, s8, 31
	s_lshr_b32 s4, s4, 27
	s_load_dwordx4 s[0:3], s[0:1], 0x0
	s_add_i32 s4, s8, s4
	s_ashr_i32 s5, s4, 5
	s_ashr_i32 s4, s11, 31
	s_lshr_b32 s4, s4, 27
	s_add_i32 s4, s11, s4
	s_mul_i32 s6, s5, s16
	s_ashr_i32 s4, s4, 5
	s_mul_hi_i32 s7, s6, 18
	s_mul_i32 s6, s6, 18
	s_waitcnt lgkmcnt(0)
	s_add_u32 s6, s0, s6
	s_addc_u32 s7, s1, s7
	s_not_b32 s0, s16
	s_add_i32 s11, s0, s9
	v_and_b32_e32 v33, 0x3ff, v0
	v_lshlrev_b32_e32 v0, 2, v33
	v_min_i32_e32 v1, s11, v37
	s_movk_i32 s1, 0x84
	v_add_u32_e32 v4, 8, v37
	v_mul_lo_u32 v36, v1, s5
	v_mad_u64_u32 v[38:39], s[8:9], v1, s1, v[0:1]
	v_min_i32_e32 v1, s11, v4
	v_add_u32_e32 v5, 16, v37
	v_mul_lo_u32 v40, v1, s5
	v_mad_u64_u32 v[42:43], s[8:9], v1, s1, v[0:1]
	v_min_i32_e32 v1, s11, v5
	;; [unrolled: 4-line block ×7, first 2 shown]
	v_mul_lo_u32 v64, v1, s5
	v_mad_u64_u32 v[66:67], s[8:9], v1, s1, v[0:1]
	v_add_u32_e32 v1, 64, v37
	v_min_i32_e32 v1, s11, v1
	v_mul_lo_u32 v68, v1, s5
	v_mad_u64_u32 v[70:71], s[8:9], v1, s1, v[0:1]
	v_add_u32_e32 v1, 0x48, v37
	v_min_i32_e32 v1, s11, v1
	;; [unrolled: 4-line block ×8, first 2 shown]
	v_lshrrev_b32_e32 v41, 3, v33
	v_mul_lo_u32 v100, v1, s5
	v_mad_u64_u32 v[102:103], s[8:9], v1, s1, v[0:1]
	v_lshl_add_u32 v1, v37, 2, v41
	v_min_i32_e32 v2, s11, v1
	v_ashrrev_i32_e32 v3, 31, v2
	v_lshrrev_b32_e32 v3, 30, v3
	v_and_b32_e32 v104, 7, v33
	v_mul_lo_u32 v108, v2, s5
	v_add_u32_e32 v3, v2, v3
	v_lshlrev_b32_e32 v13, 5, v2
	v_add_u32_e32 v2, 32, v1
	v_and_b32_e32 v3, -4, v3
	v_lshlrev_b32_e32 v11, 2, v104
	s_movk_i32 s8, 0x6200
	v_min_i32_e32 v2, s11, v2
	v_add3_u32 v12, v3, v11, s8
	v_ashrrev_i32_e32 v3, 31, v2
	v_lshrrev_b32_e32 v3, 30, v3
	v_mul_lo_u32 v112, v2, s5
	v_add_u32_e32 v3, v2, v3
	v_lshlrev_b32_e32 v15, 5, v2
	v_add_u32_e32 v2, 64, v1
	v_and_b32_e32 v3, -4, v3
	v_min_i32_e32 v2, s11, v2
	v_add3_u32 v14, v3, v11, s8
	v_ashrrev_i32_e32 v3, 31, v2
	v_add_u32_e32 v1, 0x60, v1
	v_lshrrev_b32_e32 v3, 30, v3
	v_min_i32_e32 v1, s11, v1
	v_mul_lo_u32 v114, v2, s5
	v_add_u32_e32 v3, v2, v3
	v_lshlrev_b32_e32 v17, 5, v2
	v_ashrrev_i32_e32 v2, 31, v1
	v_mov_b32_e32 v35, 0
	v_lshrrev_b32_e32 v2, 30, v2
	v_lshrrev_b32_e32 v32, 2, v33
	v_and_b32_e32 v34, 12, v0
	v_mul_lo_u32 v116, v1, s5
	v_add_u32_e32 v2, v1, v2
	v_lshlrev_b32_e32 v18, 5, v1
	v_and_b32_e32 v0, 28, v0
	v_mov_b32_e32 v1, v35
	v_lshl_add_u64 v[118:119], s[2:3], 0, v[0:1]
	v_lshl_add_u32 v0, v37, 3, v32
	v_and_b32_e32 v3, -4, v3
	v_and_b32_e32 v2, -4, v2
	v_and_b32_e32 v1, 63, v0
	v_add3_u32 v16, v3, v11, s8
	v_add3_u32 v11, v2, v11, s8
	s_add_i32 s8, s10, -1
	v_or_b32_e32 v20, s15, v1
	v_and_b32_e32 v0, 3, v33
	v_min_i32_e32 v20, s8, v20
	v_cvt_f64_i32_e32 v[2:3], s8
	v_mad_u64_u32 v[120:121], s[8:9], v20, s4, v[0:1]
	v_lshlrev_b32_e32 v0, 2, v0
	v_add_u32_e32 v39, s15, v37
	v_lshl_or_b32 v0, v1, 4, v0
	v_add_u32_e32 v43, 0x7280, v0
	v_cvt_f64_u32_e32 v[0:1], v39
	v_and_b32_e32 v19, 31, v33
	v_min_f64 v[0:1], v[0:1], v[2:3]
	v_cvt_i32_f64_e32 v0, v[0:1]
	v_lshlrev_b32_e32 v19, 2, v19
	v_lshlrev_b32_e32 v20, 7, v37
	v_mul_lo_u32 v45, s4, v0
	v_or_b32_e32 v0, v20, v19
	v_add_u32_e32 v47, 0x4200, v0
	v_add_u32_e32 v0, 8, v39
	v_cvt_f64_u32_e32 v[0:1], v0
	v_min_f64 v[0:1], v[0:1], v[2:3]
	v_cvt_i32_f64_e32 v0, v[0:1]
	v_mul_lo_u32 v49, s4, v0
	v_lshl_or_b32 v0, v4, 7, v19
	v_add_u32_e32 v51, 0x4200, v0
	v_add_u32_e32 v0, 16, v39
	v_cvt_f64_u32_e32 v[0:1], v0
	v_min_f64 v[0:1], v[0:1], v[2:3]
	v_cvt_i32_f64_e32 v0, v[0:1]
	v_mul_lo_u32 v53, s4, v0
	v_lshl_or_b32 v0, v5, 7, v19
	;; [unrolled: 7-line block ×7, first 2 shown]
	v_add_u32_e32 v75, 0x4200, v0
	v_add_u32_e32 v0, 32, v33
	v_add_u32_e32 v1, 64, v33
	v_add_u32_e32 v2, 0x60, v33
	s_mov_b32 s0, 0
	v_lshlrev_b32_e32 v3, 5, v33
	v_lshrrev_b32_e32 v81, 3, v0
	v_and_b32_e32 v2, 0x1fc, v2
	v_and_b32_e32 v1, 0x1fc, v1
	;; [unrolled: 1-line block ×4, first 2 shown]
	v_add_u32_e32 v2, v3, v2
	v_add_u32_e32 v1, v3, v1
	;; [unrolled: 1-line block ×4, first 2 shown]
	v_mov_b32_e32 v4, 0x7280
	v_mad_u32_u24 v105, v33, s1, 64
	s_mov_b32 s1, s0
	v_mul_u32_u24_e32 v77, 0x84, v33
	v_add_u32_e32 v83, 0x6e00, v2
	v_add_u32_e32 v85, 0x6a00, v1
	;; [unrolled: 1-line block ×5, first 2 shown]
	v_lshl_add_u32 v95, v37, 4, v4
	v_add_u32_e32 v97, 0x6e10, v2
	v_add_u32_e32 v99, 0x6a10, v1
	v_add_u32_e32 v101, 0x6610, v0
	v_add_u32_e32 v103, 0x6210, v3
	v_mov_b64_e32 v[110:111], s[0:1]
	v_add_u32_e32 v109, v12, v13
	v_add_u32_e32 v113, v14, v15
	;; [unrolled: 1-line block ×4, first 2 shown]
	s_mov_b32 s4, 0x41000000
	v_mov_b64_e32 v[30:31], s[0:1]
	v_mov_b64_e32 v[22:23], s[0:1]
	;; [unrolled: 1-line block ×15, first 2 shown]
	s_branch .LBB118_6
.LBB118_5:                              ;   in Loop: Header=BB118_6 Depth=1
	s_add_i32 s0, s0, 8
	s_cmp_ge_i32 s0, s5
	s_cbranch_scc1 .LBB118_12
.LBB118_6:                              ; =>This Loop Header: Depth=1
                                        ;     Child Loop BB118_7 Depth 2
                                        ;     Child Loop BB118_10 Depth 2
	s_mul_i32 s8, s0, 18
	s_mul_hi_u32 s1, s0, 18
	s_add_u32 s8, s6, s8
	s_addc_u32 s9, s7, s1
	v_mad_u64_u32 v[0:1], s[18:19], v32, 18, s[8:9]
	v_lshl_add_u64 v[0:1], v[0:1], 0, v[34:35]
	v_lshl_add_u64 v[0:1], v[0:1], 0, 2
	v_mad_i64_i32 v[2:3], s[18:19], v36, 18, v[0:1]
	v_mad_i64_i32 v[4:5], s[18:19], v40, 18, v[0:1]
	;; [unrolled: 1-line block ×8, first 2 shown]
	global_load_dword v132, v[2:3], off
	global_load_dword v133, v[4:5], off
	;; [unrolled: 1-line block ×7, first 2 shown]
                                        ; kill: killed $vgpr128_vgpr129
                                        ; kill: killed $vgpr126_vgpr127
	s_nop 0
	global_load_dword v130, v[130:131], off
	v_mad_i64_i32 v[2:3], s[18:19], v68, 18, v[0:1]
	v_mad_i64_i32 v[4:5], s[18:19], v72, 18, v[0:1]
	;; [unrolled: 1-line block ×8, first 2 shown]
	global_load_dword v131, v[2:3], off
	global_load_dword v139, v[4:5], off
	;; [unrolled: 1-line block ×8, first 2 shown]
	v_mad_u64_u32 v[0:1], s[8:9], v104, 18, s[8:9]
	v_mad_i64_i32 v[2:3], s[8:9], v108, 18, v[0:1]
	v_mad_i64_i32 v[4:5], s[8:9], v112, 18, v[0:1]
	;; [unrolled: 1-line block ×4, first 2 shown]
	v_add_u32_e32 v128, s0, v41
	global_load_ushort v146, v[2:3], off
	global_load_ushort v147, v[4:5], off
	;; [unrolled: 1-line block ×4, first 2 shown]
	v_add_u32_e32 v0, v128, v45
	v_add_u32_e32 v2, v128, v49
	;; [unrolled: 1-line block ×5, first 2 shown]
	v_mad_i64_i32 v[0:1], s[8:9], v0, 36, v[118:119]
	v_mad_i64_i32 v[2:3], s[8:9], v2, 36, v[118:119]
	;; [unrolled: 1-line block ×5, first 2 shown]
	v_add_u32_e32 v124, v128, v65
	v_add_u32_e32 v126, v128, v69
	;; [unrolled: 1-line block ×3, first 2 shown]
	v_mad_i64_i32 v[124:125], s[8:9], v124, 36, v[118:119]
	v_mad_i64_i32 v[126:127], s[8:9], v126, 36, v[118:119]
	;; [unrolled: 1-line block ×3, first 2 shown]
	global_load_dword v150, v[0:1], off offset:4
	s_nop 0
	global_load_dword v2, v[2:3], off offset:4
	s_nop 0
	;; [unrolled: 2-line block ×3, first 2 shown]
	global_load_dword v4, v[6:7], off offset:4
	global_load_dword v5, v[122:123], off offset:4
	s_nop 0
	global_load_dword v6, v[124:125], off offset:4
	global_load_dword v7, v[126:127], off offset:4
	;; [unrolled: 1-line block ×3, first 2 shown]
	v_add_u32_e32 v121, s0, v120
	v_mad_u64_u32 v[0:1], s[8:9], v121, 36, s[2:3]
	global_load_dword v0, v[0:1], off
	s_mov_b32 s1, -4
	v_mov_b32_e32 v127, v77
	v_mov_b32_e32 v129, v89
	s_waitcnt vmcnt(28)
	ds_write_b32 v38, v132
	s_waitcnt vmcnt(27)
	ds_write_b32 v42, v133
	;; [unrolled: 2-line block ×16, first 2 shown]
	v_mov_b32_e32 v132, v87
	v_mov_b32_e32 v133, v85
	;; [unrolled: 1-line block ×3, first 2 shown]
	s_waitcnt vmcnt(12)
	v_cvt_f32_f16_e32 v1, v146
	s_waitcnt vmcnt(11)
	v_cvt_f32_f16_e32 v123, v147
	;; [unrolled: 2-line block ×4, first 2 shown]
	ds_write_b32 v109, v1
	ds_write_b32 v113, v123
	;; [unrolled: 1-line block ×4, first 2 shown]
	s_waitcnt vmcnt(8)
	ds_write_b32 v47, v150
	s_waitcnt vmcnt(7)
	ds_write_b32 v51, v2
	;; [unrolled: 2-line block ×9, first 2 shown]
	v_mov_b32_e32 v123, v95
	v_mov_b32_e32 v125, v91
	s_waitcnt lgkmcnt(0)
	s_barrier
.LBB118_7:                              ;   Parent Loop BB118_6 Depth=1
                                        ; =>  This Inner Loop Header: Depth=2
	ds_read_b128 v[0:3], v125
	ds_read_b128 v[4:7], v125 offset:16
	ds_read2_b32 v[130:131], v123 offset1:32
	ds_read_b32 v122, v129
	ds_read2_b32 v[136:137], v127 offset1:1
	ds_read2_b32 v[144:145], v127 offset0:2 offset1:3
	v_add_u32_e32 v126, 0x1080, v127
	v_add_u32_e32 v128, 0x2100, v127
	v_mov_b32_e32 v172, 0
	s_waitcnt lgkmcnt(1)
	v_lshrrev_b32_e32 v124, 4, v136
	v_and_b32_e32 v135, 0xf0f0f0f, v136
	v_and_b32_e32 v136, 0xf0f0f0f, v124
	v_lshrrev_b32_e32 v124, 4, v137
	v_and_b32_e32 v140, 0xf0f0f0f, v124
	s_waitcnt lgkmcnt(0)
	v_lshrrev_b32_e32 v124, 4, v144
	v_and_b32_e32 v142, 0xf0f0f0f, v124
	v_lshrrev_b32_e32 v124, 4, v145
	v_and_b32_e32 v143, 0xf0f0f0f, v145
	v_and_b32_e32 v145, 0xf0f0f0f, v124
	ds_read_b32 v124, v132
	ds_read2_b32 v[146:147], v126 offset1:1
	v_and_b32_e32 v138, 0xf0f0f0f, v137
	v_and_b32_e32 v141, 0xf0f0f0f, v144
	v_mov_b32_e32 v174, 0
	v_mov_b32_e32 v175, 0
	s_waitcnt lgkmcnt(0)
	v_lshrrev_b32_e32 v126, 4, v146
	v_and_b32_e32 v139, 0xf0f0f0f, v126
	v_lshrrev_b32_e32 v126, 4, v147
	v_and_b32_e32 v137, 0xf0f0f0f, v146
	v_and_b32_e32 v146, 0xf0f0f0f, v126
	v_add_u32_e32 v126, 0x1088, v127
	ds_read2_b32 v[152:153], v126 offset1:1
	v_and_b32_e32 v144, 0xf0f0f0f, v147
	v_dot4c_i32_i8_e32 v172, v135, v0
	v_dot4c_i32_i8_e32 v174, v137, v0
	v_dot4c_i32_i8_e32 v172, v136, v4
	s_waitcnt lgkmcnt(0)
	v_lshrrev_b32_e32 v126, 4, v152
	v_and_b32_e32 v150, 0xf0f0f0f, v126
	v_lshrrev_b32_e32 v126, 4, v153
	v_and_b32_e32 v149, 0xf0f0f0f, v152
	v_and_b32_e32 v152, 0xf0f0f0f, v126
	ds_read_b32 v126, v133
	ds_read2_b32 v[154:155], v128 offset1:1
	v_and_b32_e32 v151, 0xf0f0f0f, v153
	v_dot4c_i32_i8_e32 v174, v139, v4
	v_dot4c_i32_i8_e32 v172, v138, v1
	;; [unrolled: 1-line block ×3, first 2 shown]
	s_waitcnt lgkmcnt(0)
	v_lshrrev_b32_e32 v128, 4, v154
	v_and_b32_e32 v148, 0xf0f0f0f, v128
	v_lshrrev_b32_e32 v128, 4, v155
	v_and_b32_e32 v147, 0xf0f0f0f, v154
	v_and_b32_e32 v154, 0xf0f0f0f, v128
	v_add_u32_e32 v128, 0x2108, v127
	ds_read2_b32 v[160:161], v128 offset1:1
	v_and_b32_e32 v153, 0xf0f0f0f, v155
	v_add_u32_e32 v155, 0x3180, v127
	v_dot4c_i32_i8_e32 v175, v147, v0
	v_dot4c_i32_i8_e32 v175, v148, v4
	s_waitcnt lgkmcnt(0)
	v_lshrrev_b32_e32 v128, 4, v160
	v_and_b32_e32 v158, 0xf0f0f0f, v128
	v_lshrrev_b32_e32 v128, 4, v161
	v_and_b32_e32 v157, 0xf0f0f0f, v160
	v_and_b32_e32 v160, 0xf0f0f0f, v128
	ds_read_b32 v128, v134
	ds_read2_b32 v[162:163], v155 offset1:1
	v_and_b32_e32 v159, 0xf0f0f0f, v161
	v_mov_b32_e32 v161, 0
	v_dot4c_i32_i8_e32 v175, v153, v1
	v_dot4c_i32_i8_e32 v172, v140, v5
	s_waitcnt lgkmcnt(0)
	v_and_b32_e32 v155, 0xf0f0f0f, v162
	v_lshrrev_b32_e32 v156, 4, v162
	v_and_b32_e32 v156, 0xf0f0f0f, v156
	v_dot4c_i32_i8_e32 v161, v155, v0
	v_dot4c_i32_i8_e32 v161, v156, v4
	v_and_b32_e32 v0, 0xf0f0f0f, v163
	v_dot4c_i32_i8_e32 v161, v0, v1
	v_add_u32_e32 v1, 0x3188, v127
	v_lshrrev_b32_e32 v4, 4, v163
	ds_read2_b32 v[162:163], v1 offset1:1
	v_and_b32_e32 v4, 0xf0f0f0f, v4
	v_dot4c_i32_i8_e32 v174, v146, v5
	v_dot4c_i32_i8_e32 v175, v154, v5
	;; [unrolled: 1-line block ×3, first 2 shown]
	s_waitcnt lgkmcnt(0)
	v_and_b32_e32 v1, 0xf0f0f0f, v162
	v_lshrrev_b32_e32 v5, 4, v162
	v_dot4c_i32_i8_e32 v172, v141, v2
	v_dot4c_i32_i8_e32 v174, v149, v2
	;; [unrolled: 1-line block ×3, first 2 shown]
	v_and_b32_e32 v5, 0xf0f0f0f, v5
	v_dot4c_i32_i8_e32 v161, v1, v2
	v_dot4c_i32_i8_e32 v172, v142, v6
	;; [unrolled: 1-line block ×5, first 2 shown]
	v_and_b32_e32 v2, 0xf0f0f0f, v163
	v_lshrrev_b32_e32 v6, 4, v163
	ds_read_b128 v[162:165], v125 offset:1024
	ds_read_b128 v[166:169], v125 offset:1040
	v_dot4c_i32_i8_e32 v172, v143, v3
	v_dot4c_i32_i8_e32 v174, v151, v3
	;; [unrolled: 1-line block ×4, first 2 shown]
	v_mov_b32_e32 v3, 0
	s_waitcnt lgkmcnt(1)
	v_dot4c_i32_i8_e32 v3, v135, v162
	s_waitcnt lgkmcnt(0)
	v_dot4c_i32_i8_e32 v3, v136, v166
	v_dot4c_i32_i8_e32 v3, v138, v163
	;; [unrolled: 1-line block ×8, first 2 shown]
	v_cvt_f32_f16_e32 v171, v131
	v_cvt_f32_f16_e32 v170, v130
	v_cvt_f32_i32_e32 v173, v3
	v_mov_b32_e32 v3, 0
	v_dot4c_i32_i8_e32 v3, v137, v162
	v_dot4c_i32_i8_e32 v3, v139, v166
	v_cvt_f32_f16_sdwa v131, v131 dst_sel:DWORD dst_unused:UNUSED_PAD src0_sel:WORD_1
	v_cvt_f32_f16_sdwa v130, v130 dst_sel:DWORD dst_unused:UNUSED_PAD src0_sel:WORD_1
	v_dot4c_i32_i8_e32 v3, v144, v163
	v_cvt_f32_i32_e32 v172, v172
	v_dot4c_i32_i8_e32 v3, v146, v167
	v_dot4c_i32_i8_e32 v3, v149, v164
	;; [unrolled: 1-line block ×3, first 2 shown]
	v_pk_mul_f32 v[130:131], v[130:131], s[4:5] op_sel_hi:[1,0]
	v_dot4c_i32_i8_e32 v3, v151, v165
	v_pk_fma_f32 v[172:173], v[170:171], v[172:173], v[130:131] neg_lo:[0,0,1] neg_hi:[0,0,1]
	v_dot4c_i32_i8_e32 v3, v152, v169
	v_pk_fma_f32 v[110:111], v[122:123], v[172:173], v[110:111] op_sel_hi:[0,1,1]
	v_dot4c_i32_i8_e32 v174, v152, v7
	v_and_b32_e32 v6, 0xf0f0f0f, v6
	v_cvt_f32_i32_e32 v173, v3
	v_mov_b32_e32 v3, 0
	v_dot4c_i32_i8_e32 v3, v147, v162
	v_dot4c_i32_i8_e32 v3, v148, v166
	;; [unrolled: 1-line block ×3, first 2 shown]
	v_cvt_f32_i32_e32 v172, v174
	v_dot4c_i32_i8_e32 v3, v154, v167
	v_dot4c_i32_i8_e32 v3, v157, v164
	v_dot4c_i32_i8_e32 v3, v158, v168
	v_dot4c_i32_i8_e32 v3, v159, v165
	v_pk_fma_f32 v[172:173], v[170:171], v[172:173], v[130:131] neg_lo:[0,0,1] neg_hi:[0,0,1]
	v_dot4c_i32_i8_e32 v3, v160, v169
	v_pk_fma_f32 v[106:107], v[124:125], v[172:173], v[106:107] op_sel_hi:[0,1,1]
	v_dot4c_i32_i8_e32 v175, v160, v7
	v_dot4c_i32_i8_e32 v161, v6, v7
	v_cvt_f32_i32_e32 v173, v3
	v_mov_b32_e32 v3, 0
	v_dot4c_i32_i8_e32 v3, v155, v162
	v_dot4c_i32_i8_e32 v3, v156, v166
	;; [unrolled: 1-line block ×8, first 2 shown]
	v_cvt_f32_i32_e32 v172, v175
	v_cvt_f32_i32_e32 v162, v161
	v_mov_b32_e32 v7, 0
	v_cvt_f32_i32_e32 v163, v3
	v_pk_fma_f32 v[172:173], v[170:171], v[172:173], v[130:131] neg_lo:[0,0,1] neg_hi:[0,0,1]
	v_mov_b32_e32 v3, 0
	v_mov_b32_e32 v161, 0
	v_pk_fma_f32 v[130:131], v[170:171], v[162:163], v[130:131] neg_lo:[0,0,1] neg_hi:[0,0,1]
	v_mov_b32_e32 v174, 0
	v_pk_fma_f32 v[78:79], v[128:129], v[130:131], v[78:79] op_sel_hi:[0,1,1]
	ds_read_b128 v[162:165], v125 offset:2048
	ds_read_b128 v[166:169], v125 offset:2064
	ds_read2_b32 v[130:131], v123 offset0:64 offset1:96
	v_pk_fma_f32 v[92:93], v[126:127], v[172:173], v[92:93] op_sel_hi:[0,1,1]
	v_mov_b32_e32 v172, 0
	s_waitcnt lgkmcnt(2)
	v_dot4c_i32_i8_e32 v3, v135, v162
	v_dot4c_i32_i8_e32 v7, v137, v162
	;; [unrolled: 1-line block ×4, first 2 shown]
	s_waitcnt lgkmcnt(1)
	v_dot4c_i32_i8_e32 v3, v136, v166
	v_dot4c_i32_i8_e32 v7, v139, v166
	;; [unrolled: 1-line block ×28, first 2 shown]
	ds_read_b128 v[162:165], v125 offset:3072
	ds_read_b128 v[166:169], v125 offset:3088
	s_waitcnt lgkmcnt(2)
	v_cvt_f32_f16_e32 v171, v131
	v_cvt_f32_f16_e32 v170, v130
	v_cvt_f32_f16_sdwa v131, v131 dst_sel:DWORD dst_unused:UNUSED_PAD src0_sel:WORD_1
	s_waitcnt lgkmcnt(1)
	v_dot4c_i32_i8_e32 v172, v135, v162
	s_waitcnt lgkmcnt(0)
	v_dot4c_i32_i8_e32 v172, v136, v166
	v_dot4c_i32_i8_e32 v172, v138, v163
	;; [unrolled: 1-line block ×7, first 2 shown]
	v_cvt_f32_f16_sdwa v130, v130 dst_sel:DWORD dst_unused:UNUSED_PAD src0_sel:WORD_1
	s_add_i32 s1, s1, 4
	v_add_u32_e32 v134, 4, v134
	v_cvt_f32_i32_e32 v173, v172
	v_cvt_f32_i32_e32 v172, v3
	v_mov_b32_e32 v3, 0
	v_dot4c_i32_i8_e32 v3, v137, v162
	v_dot4c_i32_i8_e32 v3, v139, v166
	;; [unrolled: 1-line block ×6, first 2 shown]
	v_pk_mul_f32 v[130:131], v[130:131], s[4:5] op_sel_hi:[1,0]
	v_dot4c_i32_i8_e32 v3, v151, v165
	v_pk_fma_f32 v[172:173], v[172:173], v[170:171], v[130:131] neg_lo:[0,0,1] neg_hi:[0,0,1]
	v_dot4c_i32_i8_e32 v3, v152, v169
	v_pk_fma_f32 v[30:31], v[122:123], v[172:173], v[30:31] op_sel_hi:[0,1,1]
	v_cvt_f32_i32_e32 v172, v7
	v_mov_b32_e32 v7, 0
	v_cvt_f32_i32_e32 v173, v3
	v_mov_b32_e32 v3, 0
	v_dot4c_i32_i8_e32 v3, v147, v162
	v_dot4c_i32_i8_e32 v3, v148, v166
	;; [unrolled: 1-line block ×7, first 2 shown]
	v_pk_fma_f32 v[172:173], v[172:173], v[170:171], v[130:131] neg_lo:[0,0,1] neg_hi:[0,0,1]
	v_dot4c_i32_i8_e32 v3, v160, v169
	v_pk_fma_f32 v[28:29], v[124:125], v[172:173], v[28:29] op_sel_hi:[0,1,1]
	v_cvt_f32_i32_e32 v172, v161
	v_mov_b32_e32 v161, 0
	v_cvt_f32_i32_e32 v173, v3
	v_mov_b32_e32 v3, 0
	v_dot4c_i32_i8_e32 v3, v155, v162
	v_dot4c_i32_i8_e32 v3, v156, v166
	;; [unrolled: 1-line block ×8, first 2 shown]
	v_cvt_f32_i32_e32 v162, v174
	v_pk_fma_f32 v[172:173], v[172:173], v[170:171], v[130:131] neg_lo:[0,0,1] neg_hi:[0,0,1]
	v_mov_b32_e32 v174, 0
	v_cvt_f32_i32_e32 v163, v3
	v_mov_b32_e32 v3, 0
	v_pk_fma_f32 v[26:27], v[126:127], v[172:173], v[26:27] op_sel_hi:[0,1,1]
	v_mov_b32_e32 v172, 0
	v_pk_fma_f32 v[130:131], v[162:163], v[170:171], v[130:131] neg_lo:[0,0,1] neg_hi:[0,0,1]
	v_add_u32_e32 v133, 4, v133
	v_pk_fma_f32 v[24:25], v[128:129], v[130:131], v[24:25] op_sel_hi:[0,1,1]
	ds_read_b128 v[162:165], v125 offset:4096
	ds_read_b128 v[166:169], v125 offset:4112
	ds_read2_b32 v[130:131], v123 offset0:128 offset1:160
	v_add_u32_e32 v132, 4, v132
	s_cmp_lt_u32 s1, 12
	s_waitcnt lgkmcnt(2)
	v_dot4c_i32_i8_e32 v3, v135, v162
	v_dot4c_i32_i8_e32 v7, v137, v162
	;; [unrolled: 1-line block ×4, first 2 shown]
	s_waitcnt lgkmcnt(1)
	v_dot4c_i32_i8_e32 v3, v136, v166
	v_dot4c_i32_i8_e32 v7, v139, v166
	;; [unrolled: 1-line block ×28, first 2 shown]
	ds_read_b128 v[162:165], v125 offset:5120
	ds_read_b128 v[166:169], v125 offset:5136
	s_waitcnt lgkmcnt(2)
	v_cvt_f32_f16_e32 v171, v131
	v_cvt_f32_f16_e32 v170, v130
	v_cvt_f32_f16_sdwa v131, v131 dst_sel:DWORD dst_unused:UNUSED_PAD src0_sel:WORD_1
	s_waitcnt lgkmcnt(1)
	v_dot4c_i32_i8_e32 v172, v135, v162
	s_waitcnt lgkmcnt(0)
	v_dot4c_i32_i8_e32 v172, v136, v166
	v_dot4c_i32_i8_e32 v172, v138, v163
	;; [unrolled: 1-line block ×7, first 2 shown]
	v_cvt_f32_f16_sdwa v130, v130 dst_sel:DWORD dst_unused:UNUSED_PAD src0_sel:WORD_1
	v_pk_mul_f32 v[130:131], v[130:131], s[4:5] op_sel_hi:[1,0]
	s_nop 0
	v_cvt_f32_i32_e32 v173, v172
	v_cvt_f32_i32_e32 v172, v3
	v_mov_b32_e32 v3, 0
	v_dot4c_i32_i8_e32 v3, v137, v162
	v_dot4c_i32_i8_e32 v3, v139, v166
	;; [unrolled: 1-line block ×7, first 2 shown]
	v_pk_fma_f32 v[172:173], v[172:173], v[170:171], v[130:131] neg_lo:[0,0,1] neg_hi:[0,0,1]
	v_dot4c_i32_i8_e32 v3, v152, v169
	v_pk_fma_f32 v[22:23], v[122:123], v[172:173], v[22:23] op_sel_hi:[0,1,1]
	v_cvt_f32_i32_e32 v172, v7
	v_mov_b32_e32 v7, 0
	v_cvt_f32_i32_e32 v173, v3
	v_mov_b32_e32 v3, 0
	v_dot4c_i32_i8_e32 v3, v147, v162
	v_dot4c_i32_i8_e32 v3, v148, v166
	;; [unrolled: 1-line block ×7, first 2 shown]
	v_pk_fma_f32 v[172:173], v[172:173], v[170:171], v[130:131] neg_lo:[0,0,1] neg_hi:[0,0,1]
	v_dot4c_i32_i8_e32 v3, v160, v169
	v_pk_fma_f32 v[20:21], v[124:125], v[172:173], v[20:21] op_sel_hi:[0,1,1]
	v_cvt_f32_i32_e32 v172, v161
	v_mov_b32_e32 v161, 0
	v_cvt_f32_i32_e32 v173, v3
	v_mov_b32_e32 v3, 0
	v_dot4c_i32_i8_e32 v3, v155, v162
	v_dot4c_i32_i8_e32 v3, v156, v166
	;; [unrolled: 1-line block ×8, first 2 shown]
	v_cvt_f32_i32_e32 v162, v174
	v_pk_fma_f32 v[172:173], v[172:173], v[170:171], v[130:131] neg_lo:[0,0,1] neg_hi:[0,0,1]
	s_nop 0
	v_cvt_f32_i32_e32 v163, v3
	v_mov_b32_e32 v3, 0
	v_pk_fma_f32 v[18:19], v[126:127], v[172:173], v[18:19] op_sel_hi:[0,1,1]
	v_pk_fma_f32 v[130:131], v[162:163], v[170:171], v[130:131] neg_lo:[0,0,1] neg_hi:[0,0,1]
	s_nop 0
	v_pk_fma_f32 v[16:17], v[128:129], v[130:131], v[16:17] op_sel_hi:[0,1,1]
	ds_read_b128 v[162:165], v125 offset:6144
	ds_read_b128 v[166:169], v125 offset:6160
	ds_read2_b32 v[130:131], v123 offset0:192 offset1:224
	v_mov_b32_e32 v170, 0
	v_mov_b32_e32 v171, 0
	s_waitcnt lgkmcnt(2)
	v_dot4c_i32_i8_e32 v3, v135, v162
	v_dot4c_i32_i8_e32 v7, v137, v162
	;; [unrolled: 1-line block ×4, first 2 shown]
	s_waitcnt lgkmcnt(1)
	v_dot4c_i32_i8_e32 v3, v136, v166
	v_dot4c_i32_i8_e32 v7, v139, v166
	;; [unrolled: 1-line block ×28, first 2 shown]
	ds_read_b128 v[162:165], v125 offset:7168
	ds_read_b128 v[166:169], v125 offset:7184
	s_waitcnt lgkmcnt(1)
	v_dot4c_i32_i8_e32 v171, v135, v162
	s_waitcnt lgkmcnt(0)
	v_dot4c_i32_i8_e32 v171, v136, v166
	v_dot4c_i32_i8_e32 v171, v138, v163
	;; [unrolled: 1-line block ×5, first 2 shown]
	v_cvt_f32_i32_e32 v142, v3
	v_mov_b32_e32 v3, 0
	v_dot4c_i32_i8_e32 v3, v137, v162
	v_dot4c_i32_i8_e32 v3, v139, v166
	;; [unrolled: 1-line block ×8, first 2 shown]
	v_cvt_f32_f16_e32 v141, v131
	v_cvt_f32_f16_e32 v140, v130
	v_cvt_f32_f16_sdwa v131, v131 dst_sel:DWORD dst_unused:UNUSED_PAD src0_sel:WORD_1
	v_cvt_f32_i32_e32 v137, v3
	v_mov_b32_e32 v3, 0
	v_dot4c_i32_i8_e32 v3, v147, v162
	v_dot4c_i32_i8_e32 v3, v148, v166
	v_cvt_f32_f16_sdwa v130, v130 dst_sel:DWORD dst_unused:UNUSED_PAD src0_sel:WORD_1
	v_dot4c_i32_i8_e32 v3, v153, v163
	v_cvt_f32_i32_e32 v136, v7
	v_dot4c_i32_i8_e32 v3, v154, v167
	v_dot4c_i32_i8_e32 v3, v157, v164
	;; [unrolled: 1-line block ×3, first 2 shown]
	v_pk_mul_f32 v[130:131], v[130:131], s[4:5] op_sel_hi:[1,0]
	v_dot4c_i32_i8_e32 v3, v159, v165
	v_pk_fma_f32 v[136:137], v[136:137], v[140:141], v[130:131] neg_lo:[0,0,1] neg_hi:[0,0,1]
	v_dot4c_i32_i8_e32 v3, v160, v169
	v_pk_fma_f32 v[12:13], v[124:125], v[136:137], v[12:13] op_sel_hi:[0,1,1]
	v_dot4c_i32_i8_e32 v171, v143, v165
	v_dot4c_i32_i8_e32 v171, v145, v169
	v_cvt_f32_i32_e32 v137, v3
	v_mov_b32_e32 v3, 0
	v_dot4c_i32_i8_e32 v3, v155, v162
	v_dot4c_i32_i8_e32 v3, v156, v166
	;; [unrolled: 1-line block ×8, first 2 shown]
	v_cvt_f32_i32_e32 v143, v171
	v_cvt_f32_i32_e32 v136, v161
	;; [unrolled: 1-line block ×4, first 2 shown]
	v_pk_fma_f32 v[142:143], v[142:143], v[140:141], v[130:131] neg_lo:[0,0,1] neg_hi:[0,0,1]
	v_pk_fma_f32 v[136:137], v[136:137], v[140:141], v[130:131] neg_lo:[0,0,1] neg_hi:[0,0,1]
	v_pk_fma_f32 v[14:15], v[122:123], v[142:143], v[14:15] op_sel_hi:[0,1,1]
	v_pk_fma_f32 v[0:1], v[0:1], v[140:141], v[130:131] neg_lo:[0,0,1] neg_hi:[0,0,1]
	v_pk_fma_f32 v[10:11], v[126:127], v[136:137], v[10:11] op_sel_hi:[0,1,1]
	v_pk_fma_f32 v[8:9], v[128:129], v[0:1], v[8:9] op_sel_hi:[0,1,1]
	v_add_u32_e32 v129, 4, v129
	v_add_u32_e32 v127, 16, v127
	;; [unrolled: 1-line block ×4, first 2 shown]
	s_cbranch_scc1 .LBB118_7
; %bb.8:                                ;   in Loop: Header=BB118_6 Depth=1
	s_or_b32 s1, s0, 4
	s_cmp_ge_i32 s1, s5
	s_barrier
	s_cbranch_scc1 .LBB118_5
; %bb.9:                                ;   in Loop: Header=BB118_6 Depth=1
	v_add_u32_e32 v128, s0, v81
	v_add_u32_e32 v0, v128, v45
	;; [unrolled: 1-line block ×6, first 2 shown]
	v_mad_i64_i32 v[0:1], s[8:9], v0, 36, v[118:119]
	v_mad_i64_i32 v[2:3], s[8:9], v2, 36, v[118:119]
	;; [unrolled: 1-line block ×5, first 2 shown]
	v_add_u32_e32 v124, v128, v65
	v_add_u32_e32 v126, v128, v69
	;; [unrolled: 1-line block ×3, first 2 shown]
	v_mad_i64_i32 v[124:125], s[8:9], v124, 36, v[118:119]
	v_mad_i64_i32 v[126:127], s[8:9], v126, 36, v[118:119]
	;; [unrolled: 1-line block ×3, first 2 shown]
	global_load_dword v130, v[0:1], off offset:4
	s_nop 0
	global_load_dword v2, v[2:3], off offset:4
	s_nop 0
	;; [unrolled: 2-line block ×3, first 2 shown]
	global_load_dword v4, v[6:7], off offset:4
	global_load_dword v5, v[122:123], off offset:4
	s_nop 0
	global_load_dword v6, v[124:125], off offset:4
                                        ; kill: killed $vgpr124_vgpr125
                                        ; kill: killed $vgpr122_vgpr123
	global_load_dword v7, v[126:127], off offset:4
	global_load_dword v122, v[128:129], off offset:4
	v_add_u32_e32 v0, 4, v121
	v_mad_u64_u32 v[0:1], s[8:9], v0, 36, s[2:3]
	global_load_dword v0, v[0:1], off
	s_mov_b32 s1, 12
	v_mov_b32_e32 v121, v95
	v_mov_b32_e32 v123, v91
	;; [unrolled: 1-line block ×7, first 2 shown]
	s_waitcnt vmcnt(8)
	ds_write_b32 v47, v130
	s_waitcnt vmcnt(7)
	ds_write_b32 v51, v2
	;; [unrolled: 2-line block ×9, first 2 shown]
	s_waitcnt lgkmcnt(0)
	s_barrier
.LBB118_10:                             ;   Parent Loop BB118_6 Depth=1
                                        ; =>  This Inner Loop Header: Depth=2
	ds_read_b128 v[0:3], v123
	ds_read_b128 v[4:7], v123 offset:16
	ds_read2_b32 v[130:131], v121 offset1:32
	ds_read_b32 v122, v127
	ds_read2_b32 v[138:139], v125 offset1:1
	ds_read2_b32 v[142:143], v125 offset0:2 offset1:3
	v_add_u32_e32 v126, 0x1080, v125
	v_add_u32_e32 v128, 0x2100, v125
	v_mov_b32_e32 v170, 0
	s_waitcnt lgkmcnt(1)
	v_lshrrev_b32_e32 v124, 4, v138
	v_and_b32_e32 v135, 0xf0f0f0f, v124
	v_lshrrev_b32_e32 v124, 4, v139
	v_and_b32_e32 v137, 0xf0f0f0f, v139
	v_and_b32_e32 v139, 0xf0f0f0f, v124
	s_waitcnt lgkmcnt(0)
	v_lshrrev_b32_e32 v124, 4, v142
	v_and_b32_e32 v141, 0xf0f0f0f, v124
	v_lshrrev_b32_e32 v124, 4, v143
	v_and_b32_e32 v144, 0xf0f0f0f, v124
	ds_read_b32 v124, v129
	ds_read2_b32 v[146:147], v126 offset1:1
	v_and_b32_e32 v134, 0xf0f0f0f, v138
	v_and_b32_e32 v140, 0xf0f0f0f, v142
	;; [unrolled: 1-line block ×3, first 2 shown]
	v_mov_b32_e32 v172, 0
	s_waitcnt lgkmcnt(0)
	v_lshrrev_b32_e32 v126, 4, v146
	v_and_b32_e32 v138, 0xf0f0f0f, v126
	v_lshrrev_b32_e32 v126, 4, v147
	v_and_b32_e32 v145, 0xf0f0f0f, v126
	v_add_u32_e32 v126, 0x1088, v125
	v_and_b32_e32 v136, 0xf0f0f0f, v146
	v_and_b32_e32 v143, 0xf0f0f0f, v147
	ds_read2_b32 v[146:147], v126 offset1:1
	v_mov_b32_e32 v173, 0
	v_mov_b32_e32 v174, 0
	v_dot4c_i32_i8_e32 v170, v134, v0
	v_dot4c_i32_i8_e32 v172, v136, v0
	s_waitcnt lgkmcnt(0)
	v_lshrrev_b32_e32 v126, 4, v146
	v_and_b32_e32 v149, 0xf0f0f0f, v126
	v_lshrrev_b32_e32 v126, 4, v147
	v_and_b32_e32 v151, 0xf0f0f0f, v126
	ds_read_b32 v126, v132
	ds_read2_b32 v[152:153], v128 offset1:1
	v_and_b32_e32 v150, 0xf0f0f0f, v147
	v_and_b32_e32 v148, 0xf0f0f0f, v146
	v_dot4c_i32_i8_e32 v170, v135, v4
	v_dot4c_i32_i8_e32 v172, v138, v4
	s_waitcnt lgkmcnt(0)
	v_lshrrev_b32_e32 v128, 4, v152
	v_and_b32_e32 v147, 0xf0f0f0f, v128
	v_lshrrev_b32_e32 v128, 4, v153
	v_and_b32_e32 v146, 0xf0f0f0f, v152
	v_and_b32_e32 v152, 0xf0f0f0f, v153
	;; [unrolled: 1-line block ×3, first 2 shown]
	v_add_u32_e32 v128, 0x2108, v125
	ds_read2_b32 v[154:155], v128 offset1:1
	v_dot4c_i32_i8_e32 v173, v146, v0
	v_dot4c_i32_i8_e32 v173, v147, v4
	;; [unrolled: 1-line block ×4, first 2 shown]
	s_waitcnt lgkmcnt(0)
	v_lshrrev_b32_e32 v128, 4, v154
	v_and_b32_e32 v157, 0xf0f0f0f, v128
	v_lshrrev_b32_e32 v128, 4, v155
	v_and_b32_e32 v156, 0xf0f0f0f, v154
	v_and_b32_e32 v159, 0xf0f0f0f, v128
	v_add_u32_e32 v154, 0x3180, v125
	ds_read_b32 v128, v133
	ds_read2_b32 v[160:161], v154 offset1:1
	v_and_b32_e32 v158, 0xf0f0f0f, v155
	v_dot4c_i32_i8_e32 v173, v152, v1
	v_dot4c_i32_i8_e32 v170, v139, v5
	;; [unrolled: 1-line block ×3, first 2 shown]
	s_waitcnt lgkmcnt(0)
	v_and_b32_e32 v154, 0xf0f0f0f, v160
	v_lshrrev_b32_e32 v155, 4, v160
	v_and_b32_e32 v155, 0xf0f0f0f, v155
	v_dot4c_i32_i8_e32 v174, v154, v0
	v_dot4c_i32_i8_e32 v174, v155, v4
	v_and_b32_e32 v0, 0xf0f0f0f, v161
	v_dot4c_i32_i8_e32 v174, v0, v1
	v_add_u32_e32 v1, 0x3188, v125
	v_lshrrev_b32_e32 v4, 4, v161
	ds_read2_b32 v[160:161], v1 offset1:1
	v_and_b32_e32 v4, 0xf0f0f0f, v4
	v_dot4c_i32_i8_e32 v173, v153, v5
	v_dot4c_i32_i8_e32 v174, v4, v5
	;; [unrolled: 1-line block ×3, first 2 shown]
	s_waitcnt lgkmcnt(0)
	v_and_b32_e32 v1, 0xf0f0f0f, v160
	v_lshrrev_b32_e32 v5, 4, v160
	v_dot4c_i32_i8_e32 v172, v148, v2
	v_dot4c_i32_i8_e32 v173, v156, v2
	v_and_b32_e32 v5, 0xf0f0f0f, v5
	v_dot4c_i32_i8_e32 v174, v1, v2
	v_dot4c_i32_i8_e32 v170, v141, v6
	;; [unrolled: 1-line block ×5, first 2 shown]
	v_and_b32_e32 v2, 0xf0f0f0f, v161
	v_lshrrev_b32_e32 v6, 4, v161
	ds_read_b128 v[160:163], v123 offset:1024
	ds_read_b128 v[164:167], v123 offset:1040
	v_dot4c_i32_i8_e32 v170, v142, v3
	v_dot4c_i32_i8_e32 v172, v150, v3
	v_dot4c_i32_i8_e32 v173, v158, v3
	v_dot4c_i32_i8_e32 v174, v2, v3
	v_mov_b32_e32 v3, 0
	s_waitcnt lgkmcnt(1)
	v_dot4c_i32_i8_e32 v3, v134, v160
	s_waitcnt lgkmcnt(0)
	v_dot4c_i32_i8_e32 v3, v135, v164
	v_dot4c_i32_i8_e32 v3, v137, v161
	;; [unrolled: 1-line block ×8, first 2 shown]
	v_cvt_f32_f16_e32 v169, v131
	v_cvt_f32_f16_e32 v168, v130
	v_cvt_f32_i32_e32 v171, v3
	v_mov_b32_e32 v3, 0
	v_dot4c_i32_i8_e32 v3, v136, v160
	v_dot4c_i32_i8_e32 v3, v138, v164
	v_cvt_f32_f16_sdwa v131, v131 dst_sel:DWORD dst_unused:UNUSED_PAD src0_sel:WORD_1
	v_cvt_f32_f16_sdwa v130, v130 dst_sel:DWORD dst_unused:UNUSED_PAD src0_sel:WORD_1
	v_dot4c_i32_i8_e32 v3, v143, v161
	v_cvt_f32_i32_e32 v170, v170
	v_dot4c_i32_i8_e32 v3, v145, v165
	v_dot4c_i32_i8_e32 v3, v148, v162
	;; [unrolled: 1-line block ×3, first 2 shown]
	v_pk_mul_f32 v[130:131], v[130:131], s[4:5] op_sel_hi:[1,0]
	v_dot4c_i32_i8_e32 v3, v150, v163
	v_pk_fma_f32 v[170:171], v[168:169], v[170:171], v[130:131] neg_lo:[0,0,1] neg_hi:[0,0,1]
	v_dot4c_i32_i8_e32 v3, v151, v167
	v_pk_fma_f32 v[110:111], v[122:123], v[170:171], v[110:111] op_sel_hi:[0,1,1]
	v_dot4c_i32_i8_e32 v172, v151, v7
	v_and_b32_e32 v6, 0xf0f0f0f, v6
	v_cvt_f32_i32_e32 v171, v3
	v_mov_b32_e32 v3, 0
	v_dot4c_i32_i8_e32 v3, v146, v160
	v_dot4c_i32_i8_e32 v3, v147, v164
	;; [unrolled: 1-line block ×3, first 2 shown]
	v_cvt_f32_i32_e32 v170, v172
	v_dot4c_i32_i8_e32 v3, v153, v165
	v_dot4c_i32_i8_e32 v3, v156, v162
	;; [unrolled: 1-line block ×4, first 2 shown]
	v_pk_fma_f32 v[170:171], v[168:169], v[170:171], v[130:131] neg_lo:[0,0,1] neg_hi:[0,0,1]
	v_dot4c_i32_i8_e32 v3, v159, v167
	v_pk_fma_f32 v[106:107], v[124:125], v[170:171], v[106:107] op_sel_hi:[0,1,1]
	v_dot4c_i32_i8_e32 v173, v159, v7
	v_dot4c_i32_i8_e32 v174, v6, v7
	v_cvt_f32_i32_e32 v171, v3
	v_mov_b32_e32 v3, 0
	v_dot4c_i32_i8_e32 v3, v154, v160
	v_dot4c_i32_i8_e32 v3, v155, v164
	;; [unrolled: 1-line block ×8, first 2 shown]
	v_cvt_f32_i32_e32 v170, v173
	v_cvt_f32_i32_e32 v160, v174
	v_mov_b32_e32 v7, 0
	v_cvt_f32_i32_e32 v161, v3
	v_pk_fma_f32 v[170:171], v[168:169], v[170:171], v[130:131] neg_lo:[0,0,1] neg_hi:[0,0,1]
	v_mov_b32_e32 v3, 0
	v_mov_b32_e32 v172, 0
	v_pk_fma_f32 v[130:131], v[168:169], v[160:161], v[130:131] neg_lo:[0,0,1] neg_hi:[0,0,1]
	v_mov_b32_e32 v173, 0
	v_pk_fma_f32 v[78:79], v[128:129], v[130:131], v[78:79] op_sel_hi:[0,1,1]
	ds_read_b128 v[160:163], v123 offset:2048
	ds_read_b128 v[164:167], v123 offset:2064
	ds_read2_b32 v[130:131], v121 offset0:64 offset1:96
	v_pk_fma_f32 v[92:93], v[126:127], v[170:171], v[92:93] op_sel_hi:[0,1,1]
	v_mov_b32_e32 v170, 0
	s_waitcnt lgkmcnt(2)
	v_dot4c_i32_i8_e32 v3, v134, v160
	v_dot4c_i32_i8_e32 v7, v136, v160
	;; [unrolled: 1-line block ×4, first 2 shown]
	s_waitcnt lgkmcnt(1)
	v_dot4c_i32_i8_e32 v3, v135, v164
	v_dot4c_i32_i8_e32 v7, v138, v164
	;; [unrolled: 1-line block ×28, first 2 shown]
	ds_read_b128 v[160:163], v123 offset:3072
	ds_read_b128 v[164:167], v123 offset:3088
	s_waitcnt lgkmcnt(2)
	v_cvt_f32_f16_e32 v169, v131
	v_cvt_f32_f16_e32 v168, v130
	v_cvt_f32_f16_sdwa v131, v131 dst_sel:DWORD dst_unused:UNUSED_PAD src0_sel:WORD_1
	s_waitcnt lgkmcnt(1)
	v_dot4c_i32_i8_e32 v170, v134, v160
	s_waitcnt lgkmcnt(0)
	v_dot4c_i32_i8_e32 v170, v135, v164
	v_dot4c_i32_i8_e32 v170, v137, v161
	;; [unrolled: 1-line block ×7, first 2 shown]
	v_cvt_f32_f16_sdwa v130, v130 dst_sel:DWORD dst_unused:UNUSED_PAD src0_sel:WORD_1
	s_add_i32 s1, s1, 4
	v_add_u32_e32 v133, 4, v133
	v_cvt_f32_i32_e32 v171, v170
	v_cvt_f32_i32_e32 v170, v3
	v_mov_b32_e32 v3, 0
	v_dot4c_i32_i8_e32 v3, v136, v160
	v_dot4c_i32_i8_e32 v3, v138, v164
	;; [unrolled: 1-line block ×6, first 2 shown]
	v_pk_mul_f32 v[130:131], v[130:131], s[4:5] op_sel_hi:[1,0]
	v_dot4c_i32_i8_e32 v3, v150, v163
	v_pk_fma_f32 v[170:171], v[170:171], v[168:169], v[130:131] neg_lo:[0,0,1] neg_hi:[0,0,1]
	v_dot4c_i32_i8_e32 v3, v151, v167
	v_pk_fma_f32 v[30:31], v[122:123], v[170:171], v[30:31] op_sel_hi:[0,1,1]
	v_cvt_f32_i32_e32 v170, v7
	v_mov_b32_e32 v7, 0
	v_cvt_f32_i32_e32 v171, v3
	v_mov_b32_e32 v3, 0
	v_dot4c_i32_i8_e32 v3, v146, v160
	v_dot4c_i32_i8_e32 v3, v147, v164
	;; [unrolled: 1-line block ×7, first 2 shown]
	v_pk_fma_f32 v[170:171], v[170:171], v[168:169], v[130:131] neg_lo:[0,0,1] neg_hi:[0,0,1]
	v_dot4c_i32_i8_e32 v3, v159, v167
	v_pk_fma_f32 v[28:29], v[124:125], v[170:171], v[28:29] op_sel_hi:[0,1,1]
	v_cvt_f32_i32_e32 v170, v172
	v_mov_b32_e32 v172, 0
	v_cvt_f32_i32_e32 v171, v3
	v_mov_b32_e32 v3, 0
	v_dot4c_i32_i8_e32 v3, v154, v160
	v_dot4c_i32_i8_e32 v3, v155, v164
	;; [unrolled: 1-line block ×8, first 2 shown]
	v_cvt_f32_i32_e32 v160, v173
	v_pk_fma_f32 v[170:171], v[170:171], v[168:169], v[130:131] neg_lo:[0,0,1] neg_hi:[0,0,1]
	v_mov_b32_e32 v173, 0
	v_cvt_f32_i32_e32 v161, v3
	v_mov_b32_e32 v3, 0
	v_pk_fma_f32 v[26:27], v[126:127], v[170:171], v[26:27] op_sel_hi:[0,1,1]
	v_mov_b32_e32 v170, 0
	v_pk_fma_f32 v[130:131], v[160:161], v[168:169], v[130:131] neg_lo:[0,0,1] neg_hi:[0,0,1]
	v_add_u32_e32 v132, 4, v132
	v_pk_fma_f32 v[24:25], v[128:129], v[130:131], v[24:25] op_sel_hi:[0,1,1]
	ds_read_b128 v[160:163], v123 offset:4096
	ds_read_b128 v[164:167], v123 offset:4112
	ds_read2_b32 v[130:131], v121 offset0:128 offset1:160
	s_cmp_lt_u32 s1, 28
	s_waitcnt lgkmcnt(2)
	v_dot4c_i32_i8_e32 v3, v134, v160
	v_dot4c_i32_i8_e32 v7, v136, v160
	;; [unrolled: 1-line block ×4, first 2 shown]
	s_waitcnt lgkmcnt(1)
	v_dot4c_i32_i8_e32 v3, v135, v164
	v_dot4c_i32_i8_e32 v7, v138, v164
	;; [unrolled: 1-line block ×28, first 2 shown]
	ds_read_b128 v[160:163], v123 offset:5120
	ds_read_b128 v[164:167], v123 offset:5136
	s_waitcnt lgkmcnt(2)
	v_cvt_f32_f16_e32 v169, v131
	v_cvt_f32_f16_e32 v168, v130
	v_cvt_f32_f16_sdwa v131, v131 dst_sel:DWORD dst_unused:UNUSED_PAD src0_sel:WORD_1
	s_waitcnt lgkmcnt(1)
	v_dot4c_i32_i8_e32 v170, v134, v160
	s_waitcnt lgkmcnt(0)
	v_dot4c_i32_i8_e32 v170, v135, v164
	v_dot4c_i32_i8_e32 v170, v137, v161
	;; [unrolled: 1-line block ×7, first 2 shown]
	v_cvt_f32_f16_sdwa v130, v130 dst_sel:DWORD dst_unused:UNUSED_PAD src0_sel:WORD_1
	v_pk_mul_f32 v[130:131], v[130:131], s[4:5] op_sel_hi:[1,0]
	s_nop 0
	v_cvt_f32_i32_e32 v171, v170
	v_cvt_f32_i32_e32 v170, v3
	v_mov_b32_e32 v3, 0
	v_dot4c_i32_i8_e32 v3, v136, v160
	v_dot4c_i32_i8_e32 v3, v138, v164
	;; [unrolled: 1-line block ×7, first 2 shown]
	v_pk_fma_f32 v[170:171], v[170:171], v[168:169], v[130:131] neg_lo:[0,0,1] neg_hi:[0,0,1]
	v_dot4c_i32_i8_e32 v3, v151, v167
	v_pk_fma_f32 v[22:23], v[122:123], v[170:171], v[22:23] op_sel_hi:[0,1,1]
	v_cvt_f32_i32_e32 v170, v7
	v_mov_b32_e32 v7, 0
	v_cvt_f32_i32_e32 v171, v3
	v_mov_b32_e32 v3, 0
	v_dot4c_i32_i8_e32 v3, v146, v160
	v_dot4c_i32_i8_e32 v3, v147, v164
	;; [unrolled: 1-line block ×7, first 2 shown]
	v_pk_fma_f32 v[170:171], v[170:171], v[168:169], v[130:131] neg_lo:[0,0,1] neg_hi:[0,0,1]
	v_dot4c_i32_i8_e32 v3, v159, v167
	v_pk_fma_f32 v[20:21], v[124:125], v[170:171], v[20:21] op_sel_hi:[0,1,1]
	v_cvt_f32_i32_e32 v170, v172
	s_nop 0
	v_cvt_f32_i32_e32 v171, v3
	v_mov_b32_e32 v3, 0
	v_dot4c_i32_i8_e32 v3, v154, v160
	v_dot4c_i32_i8_e32 v3, v155, v164
	;; [unrolled: 1-line block ×8, first 2 shown]
	v_cvt_f32_i32_e32 v160, v173
	v_pk_fma_f32 v[170:171], v[170:171], v[168:169], v[130:131] neg_lo:[0,0,1] neg_hi:[0,0,1]
	s_nop 0
	v_cvt_f32_i32_e32 v161, v3
	v_mov_b32_e32 v3, 0
	v_pk_fma_f32 v[18:19], v[126:127], v[170:171], v[18:19] op_sel_hi:[0,1,1]
	v_mov_b32_e32 v170, 0
	v_pk_fma_f32 v[130:131], v[160:161], v[168:169], v[130:131] neg_lo:[0,0,1] neg_hi:[0,0,1]
	v_mov_b32_e32 v168, 0
	v_pk_fma_f32 v[16:17], v[128:129], v[130:131], v[16:17] op_sel_hi:[0,1,1]
	ds_read_b128 v[160:163], v123 offset:6144
	ds_read_b128 v[164:167], v123 offset:6160
	ds_read2_b32 v[130:131], v121 offset0:192 offset1:224
	v_mov_b32_e32 v169, 0
	v_add_u32_e32 v121, 4, v121
	s_waitcnt lgkmcnt(2)
	v_dot4c_i32_i8_e32 v3, v134, v160
	v_dot4c_i32_i8_e32 v7, v136, v160
	;; [unrolled: 1-line block ×4, first 2 shown]
	s_waitcnt lgkmcnt(1)
	v_dot4c_i32_i8_e32 v3, v135, v164
	v_dot4c_i32_i8_e32 v7, v138, v164
	;; [unrolled: 1-line block ×28, first 2 shown]
	ds_read_b128 v[160:163], v123 offset:7168
	ds_read_b128 v[164:167], v123 offset:7184
	s_waitcnt lgkmcnt(1)
	v_dot4c_i32_i8_e32 v170, v134, v160
	s_waitcnt lgkmcnt(0)
	v_dot4c_i32_i8_e32 v170, v135, v164
	v_dot4c_i32_i8_e32 v170, v137, v161
	;; [unrolled: 1-line block ×4, first 2 shown]
	v_cvt_f32_i32_e32 v140, v3
	v_mov_b32_e32 v3, 0
	v_dot4c_i32_i8_e32 v3, v136, v160
	v_dot4c_i32_i8_e32 v3, v138, v164
	;; [unrolled: 1-line block ×8, first 2 shown]
	v_cvt_f32_f16_e32 v135, v131
	v_cvt_f32_f16_e32 v134, v130
	v_cvt_f32_f16_sdwa v131, v131 dst_sel:DWORD dst_unused:UNUSED_PAD src0_sel:WORD_1
	v_cvt_f32_i32_e32 v137, v3
	v_mov_b32_e32 v3, 0
	v_dot4c_i32_i8_e32 v3, v146, v160
	v_dot4c_i32_i8_e32 v3, v147, v164
	v_cvt_f32_f16_sdwa v130, v130 dst_sel:DWORD dst_unused:UNUSED_PAD src0_sel:WORD_1
	v_dot4c_i32_i8_e32 v3, v152, v161
	v_cvt_f32_i32_e32 v136, v7
	v_dot4c_i32_i8_e32 v3, v153, v165
	v_dot4c_i32_i8_e32 v3, v156, v162
	;; [unrolled: 1-line block ×3, first 2 shown]
	v_pk_mul_f32 v[130:131], v[130:131], s[4:5] op_sel_hi:[1,0]
	v_dot4c_i32_i8_e32 v3, v158, v163
	v_pk_fma_f32 v[136:137], v[136:137], v[134:135], v[130:131] neg_lo:[0,0,1] neg_hi:[0,0,1]
	v_dot4c_i32_i8_e32 v3, v159, v167
	v_pk_fma_f32 v[12:13], v[124:125], v[136:137], v[12:13] op_sel_hi:[0,1,1]
	v_dot4c_i32_i8_e32 v170, v141, v166
	v_dot4c_i32_i8_e32 v170, v142, v163
	v_cvt_f32_i32_e32 v137, v3
	v_mov_b32_e32 v3, 0
	v_dot4c_i32_i8_e32 v3, v154, v160
	v_dot4c_i32_i8_e32 v3, v155, v164
	;; [unrolled: 1-line block ×9, first 2 shown]
	v_cvt_f32_i32_e32 v136, v168
	v_cvt_f32_i32_e32 v0, v169
	;; [unrolled: 1-line block ×4, first 2 shown]
	v_pk_fma_f32 v[136:137], v[136:137], v[134:135], v[130:131] neg_lo:[0,0,1] neg_hi:[0,0,1]
	v_add_u32_e32 v125, 16, v125
	v_pk_fma_f32 v[140:141], v[140:141], v[134:135], v[130:131] neg_lo:[0,0,1] neg_hi:[0,0,1]
	v_pk_fma_f32 v[0:1], v[0:1], v[134:135], v[130:131] neg_lo:[0,0,1] neg_hi:[0,0,1]
	v_pk_fma_f32 v[14:15], v[122:123], v[140:141], v[14:15] op_sel_hi:[0,1,1]
	v_pk_fma_f32 v[10:11], v[126:127], v[136:137], v[10:11] op_sel_hi:[0,1,1]
	;; [unrolled: 1-line block ×3, first 2 shown]
	v_add_u32_e32 v129, 4, v129
	v_add_u32_e32 v127, 4, v127
	;; [unrolled: 1-line block ×3, first 2 shown]
	s_cbranch_scc1 .LBB118_10
; %bb.11:                               ;   in Loop: Header=BB118_6 Depth=1
	s_barrier
	s_branch .LBB118_5
.LBB118_12:
	v_mov_b32_e32 v1, v37
.LBB118_13:
	v_cmp_gt_u32_e32 vcc, s10, v39
	s_and_saveexec_b64 s[0:1], vcc
	s_cbranch_execz .LBB118_64
; %bb.14:
	v_add_u32_e32 v0, s16, v33
	v_mul_lo_u32 v5, v39, s14
	v_cmp_gt_u32_e32 vcc, s14, v0
	s_and_saveexec_b64 s[0:1], vcc
	s_cbranch_execz .LBB118_16
; %bb.15:
	v_add_u32_e32 v2, v0, v5
	v_mov_b32_e32 v3, 0
	s_waitcnt lgkmcnt(0)
	v_lshl_add_u64 v[2:3], v[2:3], 2, s[12:13]
	global_store_dword v[2:3], v110, off
.LBB118_16:
	s_or_b64 exec, exec, s[0:1]
	v_add_u32_e32 v2, 32, v0
	v_cmp_gt_u32_e64 s[0:1], s14, v2
	s_and_saveexec_b64 s[2:3], s[0:1]
	s_cbranch_execz .LBB118_18
; %bb.17:
	v_add_u32_e32 v6, v2, v5
	v_mov_b32_e32 v7, 0
	s_waitcnt lgkmcnt(0)
	v_lshl_add_u64 v[6:7], v[6:7], 2, s[12:13]
	global_store_dword v[6:7], v106, off
.LBB118_18:
	s_or_b64 exec, exec, s[2:3]
	v_add_u32_e32 v3, 64, v0
	v_cmp_gt_u32_e64 s[2:3], s14, v3
	s_and_saveexec_b64 s[4:5], s[2:3]
	;; [unrolled: 12-line block ×3, first 2 shown]
	s_cbranch_execz .LBB118_22
; %bb.21:
	v_add_u32_e32 v6, v4, v5
	v_mov_b32_e32 v7, 0
	s_waitcnt lgkmcnt(0)
	v_lshl_add_u64 v[6:7], v[6:7], 2, s[12:13]
	global_store_dword v[6:7], v78, off
.LBB118_22:
	s_or_b64 exec, exec, s[6:7]
	v_add3_u32 v5, v1, s15, 8
	v_cmp_gt_u32_e64 s[6:7], s10, v5
	s_and_b64 exec, exec, s[6:7]
	s_cbranch_execz .LBB118_64
; %bb.23:
	v_mul_lo_u32 v5, v5, s14
	s_and_saveexec_b64 s[6:7], vcc
	s_cbranch_execnz .LBB118_65
; %bb.24:
	s_or_b64 exec, exec, s[6:7]
	s_and_saveexec_b64 s[6:7], s[0:1]
	s_cbranch_execnz .LBB118_66
.LBB118_25:
	s_or_b64 exec, exec, s[6:7]
	s_and_saveexec_b64 s[6:7], s[2:3]
	s_cbranch_execnz .LBB118_67
.LBB118_26:
	s_or_b64 exec, exec, s[6:7]
	s_and_saveexec_b64 s[6:7], s[4:5]
	s_cbranch_execz .LBB118_28
.LBB118_27:
	v_add_u32_e32 v6, v5, v4
	v_mov_b32_e32 v7, 0
	s_waitcnt lgkmcnt(0)
	v_lshl_add_u64 v[6:7], v[6:7], 2, s[12:13]
	global_store_dword v[6:7], v79, off
.LBB118_28:
	s_or_b64 exec, exec, s[6:7]
	v_add3_u32 v5, v1, s15, 16
	v_cmp_gt_u32_e64 s[6:7], s10, v5
	s_and_b64 exec, exec, s[6:7]
	s_cbranch_execz .LBB118_64
; %bb.29:
	v_mul_lo_u32 v5, v5, s14
	s_and_saveexec_b64 s[6:7], vcc
	s_cbranch_execnz .LBB118_68
; %bb.30:
	s_or_b64 exec, exec, s[6:7]
	s_and_saveexec_b64 s[6:7], s[0:1]
	s_cbranch_execnz .LBB118_69
.LBB118_31:
	s_or_b64 exec, exec, s[6:7]
	s_and_saveexec_b64 s[6:7], s[2:3]
	s_cbranch_execnz .LBB118_70
.LBB118_32:
	s_or_b64 exec, exec, s[6:7]
	s_and_saveexec_b64 s[6:7], s[4:5]
	s_cbranch_execz .LBB118_34
.LBB118_33:
	v_add_u32_e32 v6, v5, v4
	v_mov_b32_e32 v7, 0
	s_waitcnt lgkmcnt(0)
	v_lshl_add_u64 v[6:7], v[6:7], 2, s[12:13]
	global_store_dword v[6:7], v24, off
.LBB118_34:
	s_or_b64 exec, exec, s[6:7]
	v_add3_u32 v5, v1, s15, 24
	v_cmp_gt_u32_e64 s[6:7], s10, v5
	s_and_b64 exec, exec, s[6:7]
	s_cbranch_execz .LBB118_64
; %bb.35:
	v_mul_lo_u32 v5, v5, s14
	s_and_saveexec_b64 s[6:7], vcc
	s_cbranch_execnz .LBB118_71
; %bb.36:
	s_or_b64 exec, exec, s[6:7]
	s_and_saveexec_b64 s[6:7], s[0:1]
	s_cbranch_execnz .LBB118_72
.LBB118_37:
	s_or_b64 exec, exec, s[6:7]
	s_and_saveexec_b64 s[6:7], s[2:3]
	s_cbranch_execnz .LBB118_73
.LBB118_38:
	s_or_b64 exec, exec, s[6:7]
	s_and_saveexec_b64 s[6:7], s[4:5]
	s_cbranch_execz .LBB118_40
.LBB118_39:
	v_add_u32_e32 v6, v5, v4
	v_mov_b32_e32 v7, 0
	s_waitcnt lgkmcnt(0)
	v_lshl_add_u64 v[6:7], v[6:7], 2, s[12:13]
	global_store_dword v[6:7], v25, off
.LBB118_40:
	s_or_b64 exec, exec, s[6:7]
	v_add3_u32 v5, v1, s15, 32
	v_cmp_gt_u32_e64 s[6:7], s10, v5
	s_and_b64 exec, exec, s[6:7]
	s_cbranch_execz .LBB118_64
; %bb.41:
	v_mul_lo_u32 v5, v5, s14
	s_and_saveexec_b64 s[6:7], vcc
	s_cbranch_execnz .LBB118_74
; %bb.42:
	s_or_b64 exec, exec, s[6:7]
	s_and_saveexec_b64 s[6:7], s[0:1]
	s_cbranch_execnz .LBB118_75
.LBB118_43:
	s_or_b64 exec, exec, s[6:7]
	s_and_saveexec_b64 s[6:7], s[2:3]
	s_cbranch_execnz .LBB118_76
.LBB118_44:
	s_or_b64 exec, exec, s[6:7]
	s_and_saveexec_b64 s[6:7], s[4:5]
	s_cbranch_execz .LBB118_46
.LBB118_45:
	v_add_u32_e32 v6, v5, v4
	v_mov_b32_e32 v7, 0
	s_waitcnt lgkmcnt(0)
	v_lshl_add_u64 v[6:7], v[6:7], 2, s[12:13]
	global_store_dword v[6:7], v16, off
.LBB118_46:
	s_or_b64 exec, exec, s[6:7]
	v_add3_u32 v5, v1, s15, 40
	v_cmp_gt_u32_e64 s[6:7], s10, v5
	s_and_b64 exec, exec, s[6:7]
	s_cbranch_execz .LBB118_64
; %bb.47:
	v_mul_lo_u32 v5, v5, s14
	s_and_saveexec_b64 s[6:7], vcc
	s_cbranch_execnz .LBB118_77
; %bb.48:
	s_or_b64 exec, exec, s[6:7]
	s_and_saveexec_b64 s[6:7], s[0:1]
	s_cbranch_execnz .LBB118_78
.LBB118_49:
	s_or_b64 exec, exec, s[6:7]
	s_and_saveexec_b64 s[6:7], s[2:3]
	s_cbranch_execnz .LBB118_79
.LBB118_50:
	s_or_b64 exec, exec, s[6:7]
	s_and_saveexec_b64 s[6:7], s[4:5]
	s_cbranch_execz .LBB118_52
.LBB118_51:
	v_add_u32_e32 v6, v5, v4
	v_mov_b32_e32 v7, 0
	s_waitcnt lgkmcnt(0)
	v_lshl_add_u64 v[6:7], v[6:7], 2, s[12:13]
	global_store_dword v[6:7], v17, off
.LBB118_52:
	s_or_b64 exec, exec, s[6:7]
	v_add3_u32 v5, v1, s15, 48
	v_cmp_gt_u32_e64 s[6:7], s10, v5
	s_and_b64 exec, exec, s[6:7]
	s_cbranch_execz .LBB118_64
; %bb.53:
	v_mul_lo_u32 v5, v5, s14
	s_and_saveexec_b64 s[6:7], vcc
	s_cbranch_execnz .LBB118_80
; %bb.54:
	s_or_b64 exec, exec, s[6:7]
	s_and_saveexec_b64 s[6:7], s[0:1]
	s_cbranch_execnz .LBB118_81
.LBB118_55:
	s_or_b64 exec, exec, s[6:7]
	s_and_saveexec_b64 s[6:7], s[2:3]
	s_cbranch_execnz .LBB118_82
.LBB118_56:
	s_or_b64 exec, exec, s[6:7]
	s_and_saveexec_b64 s[6:7], s[4:5]
	s_cbranch_execz .LBB118_58
.LBB118_57:
	v_add_u32_e32 v6, v5, v4
	v_mov_b32_e32 v7, 0
	s_waitcnt lgkmcnt(0)
	v_lshl_add_u64 v[6:7], v[6:7], 2, s[12:13]
	global_store_dword v[6:7], v8, off
.LBB118_58:
	s_or_b64 exec, exec, s[6:7]
	v_add3_u32 v1, v1, s15, 56
	v_cmp_gt_u32_e64 s[6:7], s10, v1
	s_and_b64 exec, exec, s[6:7]
	s_cbranch_execz .LBB118_64
; %bb.59:
	v_mul_lo_u32 v1, v1, s14
	s_and_saveexec_b64 s[6:7], vcc
	s_cbranch_execnz .LBB118_83
; %bb.60:
	s_or_b64 exec, exec, s[6:7]
	s_and_saveexec_b64 s[6:7], s[0:1]
	s_cbranch_execnz .LBB118_84
.LBB118_61:
	s_or_b64 exec, exec, s[6:7]
	s_and_saveexec_b64 s[0:1], s[2:3]
	s_cbranch_execnz .LBB118_85
.LBB118_62:
	s_or_b64 exec, exec, s[0:1]
	s_and_b64 exec, exec, s[4:5]
	s_cbranch_execz .LBB118_64
.LBB118_63:
	v_add_u32_e32 v0, v1, v4
	v_mov_b32_e32 v1, 0
	s_waitcnt lgkmcnt(0)
	v_lshl_add_u64 v[0:1], v[0:1], 2, s[12:13]
	global_store_dword v[0:1], v9, off
.LBB118_64:
	s_endpgm
.LBB118_65:
	v_add_u32_e32 v6, v5, v0
	v_mov_b32_e32 v7, 0
	s_waitcnt lgkmcnt(0)
	v_lshl_add_u64 v[6:7], v[6:7], 2, s[12:13]
	global_store_dword v[6:7], v111, off
	s_or_b64 exec, exec, s[6:7]
	s_and_saveexec_b64 s[6:7], s[0:1]
	s_cbranch_execz .LBB118_25
.LBB118_66:
	v_add_u32_e32 v6, v5, v2
	v_mov_b32_e32 v7, 0
	s_waitcnt lgkmcnt(0)
	v_lshl_add_u64 v[6:7], v[6:7], 2, s[12:13]
	global_store_dword v[6:7], v107, off
	s_or_b64 exec, exec, s[6:7]
	s_and_saveexec_b64 s[6:7], s[2:3]
	s_cbranch_execz .LBB118_26
.LBB118_67:
	v_add_u32_e32 v6, v5, v3
	v_mov_b32_e32 v7, 0
	s_waitcnt lgkmcnt(0)
	v_lshl_add_u64 v[6:7], v[6:7], 2, s[12:13]
	global_store_dword v[6:7], v93, off
	s_or_b64 exec, exec, s[6:7]
	s_and_saveexec_b64 s[6:7], s[4:5]
	s_cbranch_execnz .LBB118_27
	s_branch .LBB118_28
.LBB118_68:
	v_add_u32_e32 v6, v5, v0
	v_mov_b32_e32 v7, 0
	s_waitcnt lgkmcnt(0)
	v_lshl_add_u64 v[6:7], v[6:7], 2, s[12:13]
	global_store_dword v[6:7], v30, off
	s_or_b64 exec, exec, s[6:7]
	s_and_saveexec_b64 s[6:7], s[0:1]
	s_cbranch_execz .LBB118_31
.LBB118_69:
	v_add_u32_e32 v6, v5, v2
	v_mov_b32_e32 v7, 0
	s_waitcnt lgkmcnt(0)
	v_lshl_add_u64 v[6:7], v[6:7], 2, s[12:13]
	global_store_dword v[6:7], v28, off
	s_or_b64 exec, exec, s[6:7]
	s_and_saveexec_b64 s[6:7], s[2:3]
	s_cbranch_execz .LBB118_32
.LBB118_70:
	v_add_u32_e32 v6, v5, v3
	v_mov_b32_e32 v7, 0
	s_waitcnt lgkmcnt(0)
	v_lshl_add_u64 v[6:7], v[6:7], 2, s[12:13]
	global_store_dword v[6:7], v26, off
	s_or_b64 exec, exec, s[6:7]
	s_and_saveexec_b64 s[6:7], s[4:5]
	s_cbranch_execnz .LBB118_33
	s_branch .LBB118_34
.LBB118_71:
	v_add_u32_e32 v6, v5, v0
	v_mov_b32_e32 v7, 0
	s_waitcnt lgkmcnt(0)
	v_lshl_add_u64 v[6:7], v[6:7], 2, s[12:13]
	global_store_dword v[6:7], v31, off
	s_or_b64 exec, exec, s[6:7]
	s_and_saveexec_b64 s[6:7], s[0:1]
	s_cbranch_execz .LBB118_37
.LBB118_72:
	v_add_u32_e32 v6, v5, v2
	v_mov_b32_e32 v7, 0
	s_waitcnt lgkmcnt(0)
	v_lshl_add_u64 v[6:7], v[6:7], 2, s[12:13]
	global_store_dword v[6:7], v29, off
	s_or_b64 exec, exec, s[6:7]
	s_and_saveexec_b64 s[6:7], s[2:3]
	s_cbranch_execz .LBB118_38
.LBB118_73:
	v_add_u32_e32 v6, v5, v3
	v_mov_b32_e32 v7, 0
	s_waitcnt lgkmcnt(0)
	v_lshl_add_u64 v[6:7], v[6:7], 2, s[12:13]
	global_store_dword v[6:7], v27, off
	s_or_b64 exec, exec, s[6:7]
	s_and_saveexec_b64 s[6:7], s[4:5]
	s_cbranch_execnz .LBB118_39
	s_branch .LBB118_40
.LBB118_74:
	v_add_u32_e32 v6, v5, v0
	v_mov_b32_e32 v7, 0
	s_waitcnt lgkmcnt(0)
	v_lshl_add_u64 v[6:7], v[6:7], 2, s[12:13]
	global_store_dword v[6:7], v22, off
	s_or_b64 exec, exec, s[6:7]
	s_and_saveexec_b64 s[6:7], s[0:1]
	s_cbranch_execz .LBB118_43
.LBB118_75:
	v_add_u32_e32 v6, v5, v2
	v_mov_b32_e32 v7, 0
	s_waitcnt lgkmcnt(0)
	v_lshl_add_u64 v[6:7], v[6:7], 2, s[12:13]
	global_store_dword v[6:7], v20, off
	s_or_b64 exec, exec, s[6:7]
	s_and_saveexec_b64 s[6:7], s[2:3]
	s_cbranch_execz .LBB118_44
.LBB118_76:
	v_add_u32_e32 v6, v5, v3
	v_mov_b32_e32 v7, 0
	s_waitcnt lgkmcnt(0)
	v_lshl_add_u64 v[6:7], v[6:7], 2, s[12:13]
	global_store_dword v[6:7], v18, off
	s_or_b64 exec, exec, s[6:7]
	s_and_saveexec_b64 s[6:7], s[4:5]
	s_cbranch_execnz .LBB118_45
	s_branch .LBB118_46
.LBB118_77:
	v_add_u32_e32 v6, v5, v0
	v_mov_b32_e32 v7, 0
	s_waitcnt lgkmcnt(0)
	v_lshl_add_u64 v[6:7], v[6:7], 2, s[12:13]
	global_store_dword v[6:7], v23, off
	s_or_b64 exec, exec, s[6:7]
	s_and_saveexec_b64 s[6:7], s[0:1]
	s_cbranch_execz .LBB118_49
.LBB118_78:
	v_add_u32_e32 v6, v5, v2
	v_mov_b32_e32 v7, 0
	s_waitcnt lgkmcnt(0)
	v_lshl_add_u64 v[6:7], v[6:7], 2, s[12:13]
	global_store_dword v[6:7], v21, off
	s_or_b64 exec, exec, s[6:7]
	s_and_saveexec_b64 s[6:7], s[2:3]
	s_cbranch_execz .LBB118_50
.LBB118_79:
	v_add_u32_e32 v6, v5, v3
	v_mov_b32_e32 v7, 0
	s_waitcnt lgkmcnt(0)
	v_lshl_add_u64 v[6:7], v[6:7], 2, s[12:13]
	global_store_dword v[6:7], v19, off
	s_or_b64 exec, exec, s[6:7]
	s_and_saveexec_b64 s[6:7], s[4:5]
	s_cbranch_execnz .LBB118_51
	s_branch .LBB118_52
.LBB118_80:
	v_add_u32_e32 v6, v5, v0
	v_mov_b32_e32 v7, 0
	s_waitcnt lgkmcnt(0)
	v_lshl_add_u64 v[6:7], v[6:7], 2, s[12:13]
	global_store_dword v[6:7], v14, off
	s_or_b64 exec, exec, s[6:7]
	s_and_saveexec_b64 s[6:7], s[0:1]
	s_cbranch_execz .LBB118_55
.LBB118_81:
	v_add_u32_e32 v6, v5, v2
	v_mov_b32_e32 v7, 0
	s_waitcnt lgkmcnt(0)
	v_lshl_add_u64 v[6:7], v[6:7], 2, s[12:13]
	global_store_dword v[6:7], v12, off
	s_or_b64 exec, exec, s[6:7]
	s_and_saveexec_b64 s[6:7], s[2:3]
	s_cbranch_execz .LBB118_56
.LBB118_82:
	v_add_u32_e32 v6, v5, v3
	v_mov_b32_e32 v7, 0
	s_waitcnt lgkmcnt(0)
	v_lshl_add_u64 v[6:7], v[6:7], 2, s[12:13]
	global_store_dword v[6:7], v10, off
	s_or_b64 exec, exec, s[6:7]
	s_and_saveexec_b64 s[6:7], s[4:5]
	s_cbranch_execnz .LBB118_57
	s_branch .LBB118_58
.LBB118_83:
	v_add_u32_e32 v6, v1, v0
	v_mov_b32_e32 v7, 0
	s_waitcnt lgkmcnt(0)
	v_lshl_add_u64 v[6:7], v[6:7], 2, s[12:13]
	global_store_dword v[6:7], v15, off
	s_or_b64 exec, exec, s[6:7]
	s_and_saveexec_b64 s[6:7], s[0:1]
	s_cbranch_execz .LBB118_61
.LBB118_84:
	v_add_u32_e32 v6, v1, v2
	v_mov_b32_e32 v7, 0
	s_waitcnt lgkmcnt(0)
	v_lshl_add_u64 v[6:7], v[6:7], 2, s[12:13]
	global_store_dword v[6:7], v13, off
	s_or_b64 exec, exec, s[6:7]
	s_and_saveexec_b64 s[0:1], s[2:3]
	s_cbranch_execz .LBB118_62
.LBB118_85:
	v_add_u32_e32 v2, v1, v3
	v_mov_b32_e32 v3, 0
	s_waitcnt lgkmcnt(0)
	v_lshl_add_u64 v[2:3], v[2:3], 2, s[12:13]
	global_store_dword v[2:3], v11, off
	s_or_b64 exec, exec, s[0:1]
	s_and_b64 exec, exec, s[4:5]
	s_cbranch_execnz .LBB118_63
	s_branch .LBB118_64
	.section	.rodata,"a",@progbits
	.p2align	6, 0x0
	.amdhsa_kernel _ZL12mul_mat_q4_0IfLb1EEvPKvS1_PT_iiiii
		.amdhsa_group_segment_fixed_size 30336
		.amdhsa_private_segment_fixed_size 0
		.amdhsa_kernarg_size 44
		.amdhsa_user_sgpr_count 2
		.amdhsa_user_sgpr_dispatch_ptr 0
		.amdhsa_user_sgpr_queue_ptr 0
		.amdhsa_user_sgpr_kernarg_segment_ptr 1
		.amdhsa_user_sgpr_dispatch_id 0
		.amdhsa_user_sgpr_kernarg_preload_length 0
		.amdhsa_user_sgpr_kernarg_preload_offset 0
		.amdhsa_user_sgpr_private_segment_size 0
		.amdhsa_uses_dynamic_stack 0
		.amdhsa_enable_private_segment 0
		.amdhsa_system_sgpr_workgroup_id_x 1
		.amdhsa_system_sgpr_workgroup_id_y 1
		.amdhsa_system_sgpr_workgroup_id_z 0
		.amdhsa_system_sgpr_workgroup_info 0
		.amdhsa_system_vgpr_workitem_id 1
		.amdhsa_next_free_vgpr 176
		.amdhsa_next_free_sgpr 20
		.amdhsa_accum_offset 176
		.amdhsa_reserve_vcc 1
		.amdhsa_float_round_mode_32 0
		.amdhsa_float_round_mode_16_64 0
		.amdhsa_float_denorm_mode_32 3
		.amdhsa_float_denorm_mode_16_64 3
		.amdhsa_dx10_clamp 1
		.amdhsa_ieee_mode 1
		.amdhsa_fp16_overflow 0
		.amdhsa_tg_split 0
		.amdhsa_exception_fp_ieee_invalid_op 0
		.amdhsa_exception_fp_denorm_src 0
		.amdhsa_exception_fp_ieee_div_zero 0
		.amdhsa_exception_fp_ieee_overflow 0
		.amdhsa_exception_fp_ieee_underflow 0
		.amdhsa_exception_fp_ieee_inexact 0
		.amdhsa_exception_int_div_zero 0
	.end_amdhsa_kernel
	.section	.text._ZL12mul_mat_q4_0IfLb1EEvPKvS1_PT_iiiii,"axG",@progbits,_ZL12mul_mat_q4_0IfLb1EEvPKvS1_PT_iiiii,comdat
.Lfunc_end118:
	.size	_ZL12mul_mat_q4_0IfLb1EEvPKvS1_PT_iiiii, .Lfunc_end118-_ZL12mul_mat_q4_0IfLb1EEvPKvS1_PT_iiiii
                                        ; -- End function
	.section	.AMDGPU.csdata,"",@progbits
; Kernel info:
; codeLenInByte = 9672
; NumSgprs: 26
; NumVgprs: 176
; NumAgprs: 0
; TotalNumVgprs: 176
; ScratchSize: 0
; MemoryBound: 0
; FloatMode: 240
; IeeeMode: 1
; LDSByteSize: 30336 bytes/workgroup (compile time only)
; SGPRBlocks: 3
; VGPRBlocks: 21
; NumSGPRsForWavesPerEU: 26
; NumVGPRsForWavesPerEU: 176
; AccumOffset: 176
; Occupancy: 2
; WaveLimiterHint : 0
; COMPUTE_PGM_RSRC2:SCRATCH_EN: 0
; COMPUTE_PGM_RSRC2:USER_SGPR: 2
; COMPUTE_PGM_RSRC2:TRAP_HANDLER: 0
; COMPUTE_PGM_RSRC2:TGID_X_EN: 1
; COMPUTE_PGM_RSRC2:TGID_Y_EN: 1
; COMPUTE_PGM_RSRC2:TGID_Z_EN: 0
; COMPUTE_PGM_RSRC2:TIDIG_COMP_CNT: 1
; COMPUTE_PGM_RSRC3_GFX90A:ACCUM_OFFSET: 43
; COMPUTE_PGM_RSRC3_GFX90A:TG_SPLIT: 0
	.section	.text._ZL12mul_mat_q4_1IfLb0EEvPKvS1_PT_iiiii,"axG",@progbits,_ZL12mul_mat_q4_1IfLb0EEvPKvS1_PT_iiiii,comdat
	.globl	_ZL12mul_mat_q4_1IfLb0EEvPKvS1_PT_iiiii ; -- Begin function _ZL12mul_mat_q4_1IfLb0EEvPKvS1_PT_iiiii
	.p2align	8
	.type	_ZL12mul_mat_q4_1IfLb0EEvPKvS1_PT_iiiii,@function
_ZL12mul_mat_q4_1IfLb0EEvPKvS1_PT_iiiii: ; @_ZL12mul_mat_q4_1IfLb0EEvPKvS1_PT_iiiii
; %bb.0:
	s_load_dword s7, s[0:1], 0x18
	s_load_dwordx4 s[8:11], s[0:1], 0x20
	s_waitcnt lgkmcnt(0)
	s_lshl_b32 s11, s3, 6
	v_bfe_u32 v53, v0, 10, 10
	s_cmp_gt_i32 s7, 31
	s_cbranch_scc1 .LBB119_2
; %bb.1:
	v_bfe_u32 v1, v0, 10, 10
	v_and_b32_e32 v47, 0x3ff, v0
	v_add_u32_e32 v63, s11, v1
	s_mov_b64 s[4:5], 0
	s_mov_b32 s3, 0
	s_branch .LBB119_3
.LBB119_2:
	s_mov_b64 s[4:5], -1
                                        ; implicit-def: $sgpr3
                                        ; implicit-def: $vgpr1
                                        ; implicit-def: $vgpr47
                                        ; implicit-def: $vgpr63
.LBB119_3:
	s_load_dwordx2 s[12:13], s[0:1], 0x10
	s_lshl_b32 s6, s2, 7
	s_andn2_b64 vcc, exec, s[4:5]
	v_mov_b32_e32 v9, s3
	v_mov_b32_e32 v19, s3
	;; [unrolled: 1-line block ×32, first 2 shown]
	s_cbranch_vccnz .LBB119_13
; %bb.4:
	s_ashr_i32 s4, s7, 31
	s_load_dwordx4 s[0:3], s[0:1], 0x0
	s_lshr_b32 s4, s4, 27
	s_ashr_i32 s5, s9, 31
	s_add_i32 s7, s7, s4
	s_lshr_b32 s5, s5, 27
	s_ashr_i32 s4, s7, 5
	s_add_i32 s5, s9, s5
	s_ashr_i32 s9, s5, 5
	s_mul_i32 s5, s4, s6
	s_mul_hi_i32 s14, s5, 20
	s_mul_i32 s5, s5, 20
	s_waitcnt lgkmcnt(0)
	s_add_u32 s0, s0, s5
	s_addc_u32 s1, s1, s14
	v_mul_lo_u32 v12, s4, v53
	s_lshl_b32 s14, s4, 3
	v_add_u32_e32 v14, s14, v12
	v_add_u32_e32 v16, s14, v14
	;; [unrolled: 1-line block ×11, first 2 shown]
	v_and_b32_e32 v47, 0x3ff, v0
	v_add_u32_e32 v36, s14, v34
	v_add_u32_e32 v38, s14, v36
	v_lshrrev_b32_e32 v86, 3, v47
	v_add_u32_e32 v40, s14, v38
	v_and_b32_e32 v44, 7, v47
	v_lshl_add_u32 v0, v53, 2, v86
	v_add_u32_e32 v42, s14, v40
	v_and_b32_e32 v1, 0x7fc, v0
	v_lshlrev_b32_e32 v3, 2, v44
	s_movk_i32 s14, 0x6200
	v_add3_u32 v4, v1, v3, s14
	v_add_u32_e32 v1, 32, v0
	v_mul_lo_u32 v46, s4, v0
	v_lshlrev_b32_e32 v5, 5, v0
	v_and_b32_e32 v6, 0xffc, v1
	v_lshlrev_b32_e32 v7, 5, v1
	v_add_u32_e32 v1, 64, v0
	v_add_u32_e32 v0, 0x60, v0
	v_mov_b32_e32 v11, 0
	v_lshlrev_b32_e32 v2, 2, v47
	s_movk_i32 s16, 0x84
	v_and_b32_e32 v9, 0xffc, v1
	v_lshlrev_b32_e32 v13, 5, v1
	v_and_b32_e32 v1, 0xffc, v0
	v_lshrrev_b32_e32 v8, 2, v47
	v_and_b32_e32 v10, 12, v2
	v_mad_u32_u24 v67, v53, s16, v2
	s_andn2_b32 s7, s7, 31
	v_add3_u32 v6, v6, v3, s14
	v_add3_u32 v9, v9, v3, s14
	;; [unrolled: 1-line block ×3, first 2 shown]
	v_and_b32_e32 v2, 28, v2
	v_mov_b32_e32 v3, v11
	v_add_u32_e32 v48, s7, v46
	v_lshl_add_u64 v[54:55], s[2:3], 0, v[2:3]
	v_lshl_add_u32 v2, v53, 3, v8
	v_add_u32_e32 v50, s7, v48
	v_and_b32_e32 v3, 63, v2
	v_add_u32_e32 v52, s7, v50
	s_add_i32 s7, s8, -1
	v_or_b32_e32 v21, s11, v3
	v_and_b32_e32 v2, 3, v47
	v_min_i32_e32 v21, s7, v21
	v_mad_u64_u32 v[56:57], s[14:15], v21, s9, v[2:3]
	v_lshlrev_b32_e32 v2, 2, v2
	v_add_u32_e32 v63, s11, v53
	v_lshl_or_b32 v2, v3, 4, v2
	v_lshlrev_b32_e32 v17, 5, v0
	v_cvt_f64_i32_e32 v[0:1], s7
	v_add_u32_e32 v89, 0x7280, v2
	v_cvt_f64_u32_e32 v[2:3], v63
	v_min_f64 v[2:3], v[2:3], v[0:1]
	v_cvt_i32_f64_e32 v2, v[2:3]
	v_mul_lo_u32 v90, s9, v2
	v_add_u32_e32 v2, 8, v63
	v_cvt_f64_u32_e32 v[2:3], v2
	v_min_f64 v[2:3], v[2:3], v[0:1]
	v_cvt_i32_f64_e32 v2, v[2:3]
	v_mul_lo_u32 v92, s9, v2
	;; [unrolled: 5-line block ×7, first 2 shown]
	v_add_u32_e32 v2, 56, v63
	v_cvt_f64_u32_e32 v[2:3], v2
	v_min_f64 v[0:1], v[2:3], v[0:1]
	v_and_b32_e32 v19, 31, v47
	v_lshlrev_b32_e32 v21, 7, v53
	v_cvt_i32_f64_e32 v0, v[0:1]
	v_lshl_or_b32 v19, v19, 2, v21
	v_mul_lo_u32 v104, s9, v0
	v_add_u32_e32 v0, 32, v47
	v_add_u32_e32 v1, 64, v47
	;; [unrolled: 1-line block ×11, first 2 shown]
	v_lshlrev_b32_e32 v3, 5, v47
	v_lshrrev_b32_e32 v107, 3, v0
	v_and_b32_e32 v2, 0x1fc, v2
	v_and_b32_e32 v1, 0x1fc, v1
	;; [unrolled: 1-line block ×4, first 2 shown]
	v_add_u32_e32 v2, v3, v2
	v_add_u32_e32 v1, v3, v1
	;; [unrolled: 1-line block ×4, first 2 shown]
	v_mov_b32_e32 v19, 0x7280
	s_mov_b32 s5, 0
	v_add_u32_e32 v69, 0x420, v67
	v_add_u32_e32 v70, 0x840, v67
	;; [unrolled: 1-line block ×15, first 2 shown]
	v_mul_u32_u24_e32 v106, 0x84, v47
	v_add_u32_e32 v108, 0x6e00, v2
	v_add_u32_e32 v109, 0x6a00, v1
	v_add_u32_e32 v110, 0x6600, v0
	v_add_u32_e32 v111, 0x6200, v3
	v_add_u32_e32 v112, 0x4200, v21
	v_lshl_add_u32 v113, v53, 4, v19
	v_add_u32_e32 v114, 0x6e10, v2
	v_add_u32_e32 v115, 0x6a10, v1
	;; [unrolled: 1-line block ×4, first 2 shown]
	v_mad_u32_u24 v118, v47, s16, 64
	v_add_u32_e32 v119, v4, v5
	v_add_u32_e32 v120, v6, v7
	;; [unrolled: 1-line block ×4, first 2 shown]
	v_mov_b32_e32 v88, v11
	v_mov_b32_e32 v68, v11
	;; [unrolled: 1-line block ×32, first 2 shown]
	s_branch .LBB119_6
.LBB119_5:                              ;   in Loop: Header=BB119_6 Depth=1
	s_add_i32 s5, s5, 8
	s_cmp_ge_i32 s5, s4
	s_cbranch_scc1 .LBB119_12
.LBB119_6:                              ; =>This Loop Header: Depth=1
                                        ;     Child Loop BB119_7 Depth 2
                                        ;     Child Loop BB119_10 Depth 2
	s_mul_i32 s9, s5, 20
	s_mul_hi_u32 s7, s5, 20
	s_add_u32 s14, s0, s9
	s_addc_u32 s15, s1, s7
	v_mad_u64_u32 v[0:1], s[16:17], v8, 20, s[14:15]
	v_lshl_add_u64 v[0:1], v[0:1], 0, v[10:11]
	v_lshl_add_u64 v[0:1], v[0:1], 0, 4
	v_mad_u64_u32 v[2:3], s[16:17], v12, 20, v[0:1]
	v_mad_u64_u32 v[4:5], s[16:17], v14, 20, v[0:1]
	;; [unrolled: 1-line block ×8, first 2 shown]
	global_load_dword v132, v[2:3], off
	global_load_dword v133, v[4:5], off
	;; [unrolled: 1-line block ×7, first 2 shown]
                                        ; kill: killed $vgpr128_vgpr129
                                        ; kill: killed $vgpr126_vgpr127
	s_nop 0
	global_load_dword v130, v[130:131], off
	v_mad_u64_u32 v[2:3], s[16:17], v28, 20, v[0:1]
	v_mad_u64_u32 v[4:5], s[16:17], v30, 20, v[0:1]
	;; [unrolled: 1-line block ×8, first 2 shown]
	global_load_dword v131, v[2:3], off
	global_load_dword v139, v[4:5], off
	;; [unrolled: 1-line block ×8, first 2 shown]
	v_mad_u64_u32 v[0:1], s[14:15], v44, 20, s[14:15]
	v_mad_u64_u32 v[2:3], s[14:15], v46, 20, v[0:1]
	v_mad_u64_u32 v[4:5], s[14:15], v48, 20, v[0:1]
	v_mad_u64_u32 v[6:7], s[14:15], v50, 20, v[0:1]
	v_mad_u64_u32 v[0:1], s[14:15], v52, 20, v[0:1]
	v_add_u32_e32 v128, s5, v86
	global_load_dword v146, v[2:3], off
	global_load_dword v147, v[4:5], off
	global_load_dword v148, v[6:7], off
	global_load_dword v149, v[0:1], off
	v_add_u32_e32 v0, v128, v90
	v_add_u32_e32 v2, v128, v92
	;; [unrolled: 1-line block ×5, first 2 shown]
	v_mad_i64_i32 v[0:1], s[14:15], v0, 36, v[54:55]
	v_mad_i64_i32 v[2:3], s[14:15], v2, 36, v[54:55]
	;; [unrolled: 1-line block ×5, first 2 shown]
	v_add_u32_e32 v124, v128, v100
	v_add_u32_e32 v126, v128, v102
	;; [unrolled: 1-line block ×3, first 2 shown]
	v_mad_i64_i32 v[124:125], s[14:15], v124, 36, v[54:55]
	v_mad_i64_i32 v[126:127], s[14:15], v126, 36, v[54:55]
	;; [unrolled: 1-line block ×3, first 2 shown]
	global_load_dword v150, v[0:1], off offset:4
	s_nop 0
	global_load_dword v2, v[2:3], off offset:4
	s_nop 0
	;; [unrolled: 2-line block ×3, first 2 shown]
	global_load_dword v4, v[6:7], off offset:4
	global_load_dword v5, v[58:59], off offset:4
	s_nop 0
	global_load_dword v6, v[124:125], off offset:4
	global_load_dword v7, v[126:127], off offset:4
	global_load_dword v58, v[128:129], off offset:4
	v_add_u32_e32 v123, s5, v56
	v_mad_u64_u32 v[0:1], s[14:15], v123, 36, s[2:3]
	global_load_dword v0, v[0:1], off
	s_mov_b32 s7, -4
	v_mov_b32_e32 v124, v113
	v_mov_b32_e32 v125, v112
	;; [unrolled: 1-line block ×6, first 2 shown]
	s_waitcnt vmcnt(28)
	ds_write_b32 v67, v132
	s_waitcnt vmcnt(27)
	ds_write_b32 v69, v133
	;; [unrolled: 2-line block ×29, first 2 shown]
	v_mov_b32_e32 v130, v108
	s_waitcnt lgkmcnt(0)
	s_barrier
.LBB119_7:                              ;   Parent Loop BB119_6 Depth=1
                                        ; =>  This Inner Loop Header: Depth=2
	ds_read_b128 v[0:3], v125
	ds_read_b128 v[4:7], v125 offset:16
	ds_read2_b32 v[58:59], v124 offset1:32
	ds_read_b32 v131, v127
	ds_read2_b32 v[134:135], v126 offset1:1
	ds_read2_b32 v[138:139], v126 offset0:2 offset1:3
	v_mov_b32_e32 v140, 0
	v_mov_b32_e32 v150, 0
	s_waitcnt lgkmcnt(2)
	v_pk_mul_f16 v141, v58, v131
	s_waitcnt lgkmcnt(1)
	v_and_b32_e32 v132, 0xf0f0f0f, v134
	v_lshrrev_b32_e32 v133, 4, v134
	v_and_b32_e32 v133, 0xf0f0f0f, v133
	v_dot4c_i32_i8_e32 v140, v132, v0
	v_dot4c_i32_i8_e32 v140, v133, v4
	v_and_b32_e32 v134, 0xf0f0f0f, v135
	v_lshrrev_b32_e32 v135, 4, v135
	v_and_b32_e32 v135, 0xf0f0f0f, v135
	v_dot4c_i32_i8_e32 v140, v134, v1
	v_dot4c_i32_i8_e32 v140, v135, v5
	s_waitcnt lgkmcnt(0)
	v_and_b32_e32 v136, 0xf0f0f0f, v138
	v_lshrrev_b32_e32 v137, 4, v138
	v_and_b32_e32 v137, 0xf0f0f0f, v137
	v_dot4c_i32_i8_e32 v140, v136, v2
	v_dot4c_i32_i8_e32 v140, v137, v6
	v_and_b32_e32 v138, 0xf0f0f0f, v139
	v_lshrrev_b32_e32 v139, 4, v139
	v_and_b32_e32 v139, 0xf0f0f0f, v139
	v_dot4c_i32_i8_e32 v140, v138, v3
	v_dot4c_i32_i8_e32 v140, v139, v7
	v_add_u32_e32 v154, 0x2108, v126
	v_mov_b32_e32 v156, 0
	v_mov_b32_e32 v163, 0
	v_cvt_f32_i32_e32 v140, v140
	s_add_i32 s7, s7, 4
	v_add_u32_e32 v127, 4, v127
	s_cmp_lt_u32 s7, 12
	v_fma_mix_f32 v140, v141, v140, v141 op_sel:[0,0,1] op_sel_hi:[1,0,1]
	v_add_u32_e32 v141, 0x1080, v126
	v_add_f32_e32 v88, v88, v140
	ds_read_b32 v140, v128
	ds_read2_b32 v[144:145], v141 offset1:1
	v_add_u32_e32 v128, 4, v128
	s_waitcnt lgkmcnt(0)
	v_and_b32_e32 v141, 0xf0f0f0f, v144
	v_lshrrev_b32_e32 v142, 4, v144
	v_and_b32_e32 v143, 0xf0f0f0f, v145
	v_lshrrev_b32_e32 v144, 4, v145
	v_add_u32_e32 v145, 0x1088, v126
	ds_read2_b32 v[146:147], v145 offset1:1
	v_and_b32_e32 v142, 0xf0f0f0f, v142
	v_dot4c_i32_i8_e32 v150, v141, v0
	v_dot4c_i32_i8_e32 v150, v142, v4
	v_and_b32_e32 v144, 0xf0f0f0f, v144
	v_dot4c_i32_i8_e32 v150, v143, v1
	v_dot4c_i32_i8_e32 v150, v144, v5
	s_waitcnt lgkmcnt(0)
	v_and_b32_e32 v145, 0xf0f0f0f, v146
	v_lshrrev_b32_e32 v146, 4, v146
	v_and_b32_e32 v146, 0xf0f0f0f, v146
	v_dot4c_i32_i8_e32 v150, v145, v2
	v_dot4c_i32_i8_e32 v150, v146, v6
	v_and_b32_e32 v148, 0xf0f0f0f, v147
	v_lshrrev_b32_e32 v147, 4, v147
	v_and_b32_e32 v149, 0xf0f0f0f, v147
	v_dot4c_i32_i8_e32 v150, v148, v3
	v_dot4c_i32_i8_e32 v150, v149, v7
	v_pk_mul_f16 v147, v58, v140
	s_nop 1
	v_cvt_f32_i32_e32 v150, v150
	v_fma_mix_f32 v147, v147, v150, v147 op_sel:[0,0,1] op_sel_hi:[1,0,1]
	s_nop 0
	v_add_f32_e32 v87, v87, v147
	v_add_u32_e32 v150, 0x2100, v126
	ds_read_b32 v147, v129
	ds_read2_b32 v[152:153], v150 offset1:1
	ds_read2_b32 v[158:159], v154 offset1:1
	v_add_u32_e32 v129, 4, v129
	s_waitcnt lgkmcnt(1)
	v_and_b32_e32 v150, 0xf0f0f0f, v152
	v_lshrrev_b32_e32 v151, 4, v152
	v_and_b32_e32 v151, 0xf0f0f0f, v151
	v_dot4c_i32_i8_e32 v156, v150, v0
	v_dot4c_i32_i8_e32 v156, v151, v4
	v_and_b32_e32 v152, 0xf0f0f0f, v153
	v_lshrrev_b32_e32 v153, 4, v153
	v_and_b32_e32 v153, 0xf0f0f0f, v153
	v_dot4c_i32_i8_e32 v156, v152, v1
	v_dot4c_i32_i8_e32 v156, v153, v5
	s_waitcnt lgkmcnt(0)
	v_and_b32_e32 v154, 0xf0f0f0f, v158
	v_lshrrev_b32_e32 v155, 4, v158
	v_and_b32_e32 v155, 0xf0f0f0f, v155
	v_dot4c_i32_i8_e32 v156, v154, v2
	v_dot4c_i32_i8_e32 v156, v155, v6
	v_and_b32_e32 v157, 0xf0f0f0f, v159
	v_lshrrev_b32_e32 v158, 4, v159
	v_and_b32_e32 v158, 0xf0f0f0f, v158
	v_dot4c_i32_i8_e32 v156, v157, v3
	v_dot4c_i32_i8_e32 v156, v158, v7
	v_pk_mul_f16 v159, v58, v147
	s_nop 1
	v_cvt_f32_i32_e32 v156, v156
	v_fma_mix_f32 v156, v159, v156, v159 op_sel:[0,0,1] op_sel_hi:[1,0,1]
	s_nop 0
	v_add_f32_e32 v82, v82, v156
	v_add_u32_e32 v159, 0x3180, v126
	ds_read_b32 v156, v130
	ds_read2_b32 v[160:161], v159 offset1:1
	v_add_u32_e32 v130, 4, v130
	s_waitcnt lgkmcnt(0)
	v_and_b32_e32 v159, 0xf0f0f0f, v160
	v_lshrrev_b32_e32 v160, 4, v160
	v_and_b32_e32 v160, 0xf0f0f0f, v160
	v_dot4c_i32_i8_e32 v163, v159, v0
	v_lshrrev_b32_e32 v0, 4, v161
	v_dot4c_i32_i8_e32 v163, v160, v4
	v_and_b32_e32 v4, 0xf0f0f0f, v161
	v_and_b32_e32 v161, 0xf0f0f0f, v0
	v_add_u32_e32 v0, 0x3188, v126
	v_dot4c_i32_i8_e32 v163, v4, v1
	ds_read2_b32 v[0:1], v0 offset1:1
	v_dot4c_i32_i8_e32 v163, v161, v5
	ds_read_b128 v[164:167], v125 offset:1024
	ds_read_b128 v[168:171], v125 offset:1040
	v_add_u32_e32 v126, 16, v126
	s_waitcnt lgkmcnt(2)
	v_and_b32_e32 v5, 0xf0f0f0f, v0
	v_lshrrev_b32_e32 v0, 4, v0
	v_and_b32_e32 v162, 0xf0f0f0f, v0
	v_dot4c_i32_i8_e32 v163, v5, v2
	v_dot4c_i32_i8_e32 v163, v162, v6
	v_and_b32_e32 v2, 0xf0f0f0f, v1
	v_lshrrev_b32_e32 v0, 4, v1
	v_and_b32_e32 v6, 0xf0f0f0f, v0
	v_dot4c_i32_i8_e32 v163, v2, v3
	v_dot4c_i32_i8_e32 v163, v6, v7
	v_pk_mul_f16 v0, v58, v156
	v_mov_b32_e32 v3, 0
	s_nop 0
	v_cvt_f32_i32_e32 v1, v163
	v_fma_mix_f32 v0, v0, v1, v0 op_sel:[0,0,1] op_sel_hi:[1,0,1]
	s_nop 0
	v_add_f32_e32 v76, v76, v0
	v_mov_b32_e32 v0, 0
	s_waitcnt lgkmcnt(1)
	v_dot4c_i32_i8_e32 v0, v132, v164
	s_waitcnt lgkmcnt(0)
	v_dot4c_i32_i8_e32 v0, v133, v168
	v_dot4c_i32_i8_e32 v0, v134, v165
	v_dot4c_i32_i8_e32 v0, v135, v169
	v_dot4c_i32_i8_e32 v0, v136, v166
	v_dot4c_i32_i8_e32 v0, v137, v170
	v_dot4c_i32_i8_e32 v0, v138, v167
	v_dot4c_i32_i8_e32 v0, v139, v171
	v_pk_mul_f16 v1, v131, v59
	s_nop 1
	v_cvt_f32_i32_e32 v0, v0
	v_fma_mix_f32 v0, v0, v1, v1 op_sel:[0,0,1] op_sel_hi:[0,1,1]
	v_add_f32_e32 v68, v68, v0
	v_mov_b32_e32 v0, 0
	v_dot4c_i32_i8_e32 v0, v141, v164
	v_dot4c_i32_i8_e32 v0, v142, v168
	v_dot4c_i32_i8_e32 v0, v143, v165
	v_dot4c_i32_i8_e32 v0, v144, v169
	v_dot4c_i32_i8_e32 v0, v145, v166
	v_dot4c_i32_i8_e32 v0, v146, v170
	v_dot4c_i32_i8_e32 v0, v148, v167
	v_dot4c_i32_i8_e32 v0, v149, v171
	v_pk_mul_f16 v1, v140, v59
	s_nop 1
	v_cvt_f32_i32_e32 v0, v0
	v_fma_mix_f32 v0, v0, v1, v1 op_sel:[0,0,1] op_sel_hi:[0,1,1]
	v_add_f32_e32 v66, v66, v0
	v_mov_b32_e32 v0, 0
	v_dot4c_i32_i8_e32 v0, v150, v164
	;; [unrolled: 14-line block ×3, first 2 shown]
	v_dot4c_i32_i8_e32 v0, v160, v168
	v_dot4c_i32_i8_e32 v0, v4, v165
	;; [unrolled: 1-line block ×7, first 2 shown]
	v_pk_mul_f16 v1, v156, v59
	s_nop 1
	v_cvt_f32_i32_e32 v0, v0
	v_fma_mix_f32 v0, v0, v1, v1 op_sel:[0,0,1] op_sel_hi:[0,1,1]
	v_add_f32_e32 v64, v64, v0
	ds_read_b128 v[164:167], v125 offset:2048
	ds_read_b128 v[168:171], v125 offset:2064
	ds_read2_b32 v[0:1], v124 offset0:64 offset1:96
	s_waitcnt lgkmcnt(2)
	v_dot4c_i32_i8_e32 v3, v132, v164
	s_waitcnt lgkmcnt(1)
	v_dot4c_i32_i8_e32 v3, v133, v168
	v_dot4c_i32_i8_e32 v3, v134, v165
	;; [unrolled: 1-line block ×7, first 2 shown]
	s_waitcnt lgkmcnt(0)
	v_pk_mul_f16 v7, v131, v0
	s_nop 0
	v_cvt_f32_i32_e32 v3, v3
	v_fma_mix_f32 v3, v3, v7, v7 op_sel:[0,0,1] op_sel_hi:[0,1,1]
	v_add_f32_e32 v62, v62, v3
	v_mov_b32_e32 v3, 0
	v_dot4c_i32_i8_e32 v3, v141, v164
	v_dot4c_i32_i8_e32 v3, v142, v168
	;; [unrolled: 1-line block ×8, first 2 shown]
	v_pk_mul_f16 v7, v140, v0
	s_nop 1
	v_cvt_f32_i32_e32 v3, v3
	v_fma_mix_f32 v3, v3, v7, v7 op_sel:[0,0,1] op_sel_hi:[0,1,1]
	v_add_f32_e32 v61, v61, v3
	v_mov_b32_e32 v3, 0
	v_dot4c_i32_i8_e32 v3, v150, v164
	v_dot4c_i32_i8_e32 v3, v151, v168
	;; [unrolled: 1-line block ×8, first 2 shown]
	v_pk_mul_f16 v7, v147, v0
	v_pk_mul_f16 v0, v156, v0
	s_nop 0
	v_cvt_f32_i32_e32 v3, v3
	v_fma_mix_f32 v3, v3, v7, v7 op_sel:[0,0,1] op_sel_hi:[0,1,1]
	v_add_f32_e32 v60, v60, v3
	v_mov_b32_e32 v3, 0
	v_dot4c_i32_i8_e32 v3, v159, v164
	v_dot4c_i32_i8_e32 v3, v160, v168
	;; [unrolled: 1-line block ×8, first 2 shown]
	ds_read_b128 v[164:167], v125 offset:3072
	ds_read_b128 v[168:171], v125 offset:3088
	s_nop 0
	v_cvt_f32_i32_e32 v3, v3
	v_fma_mix_f32 v0, v3, v0, v0 op_sel:[0,0,1] op_sel_hi:[0,1,1]
	v_add_f32_e32 v57, v57, v0
	v_mov_b32_e32 v0, 0
	s_waitcnt lgkmcnt(1)
	v_dot4c_i32_i8_e32 v0, v132, v164
	s_waitcnt lgkmcnt(0)
	v_dot4c_i32_i8_e32 v0, v133, v168
	v_dot4c_i32_i8_e32 v0, v134, v165
	;; [unrolled: 1-line block ×7, first 2 shown]
	v_pk_mul_f16 v3, v131, v1
	s_nop 1
	v_cvt_f32_i32_e32 v0, v0
	v_fma_mix_f32 v0, v0, v3, v3 op_sel:[0,0,1] op_sel_hi:[0,1,1]
	v_add_f32_e32 v51, v51, v0
	v_mov_b32_e32 v0, 0
	v_dot4c_i32_i8_e32 v0, v141, v164
	v_dot4c_i32_i8_e32 v0, v142, v168
	;; [unrolled: 1-line block ×8, first 2 shown]
	v_pk_mul_f16 v3, v140, v1
	s_nop 1
	v_cvt_f32_i32_e32 v0, v0
	v_fma_mix_f32 v0, v0, v3, v3 op_sel:[0,0,1] op_sel_hi:[0,1,1]
	v_add_f32_e32 v49, v49, v0
	v_mov_b32_e32 v0, 0
	v_dot4c_i32_i8_e32 v0, v150, v164
	v_dot4c_i32_i8_e32 v0, v151, v168
	;; [unrolled: 1-line block ×8, first 2 shown]
	v_pk_mul_f16 v3, v147, v1
	v_pk_mul_f16 v1, v156, v1
	s_nop 0
	v_cvt_f32_i32_e32 v0, v0
	v_fma_mix_f32 v0, v0, v3, v3 op_sel:[0,0,1] op_sel_hi:[0,1,1]
	v_add_f32_e32 v45, v45, v0
	v_mov_b32_e32 v0, 0
	v_dot4c_i32_i8_e32 v0, v159, v164
	v_dot4c_i32_i8_e32 v0, v160, v168
	;; [unrolled: 1-line block ×8, first 2 shown]
	v_mov_b32_e32 v3, 0
	s_nop 1
	v_cvt_f32_i32_e32 v0, v0
	v_fma_mix_f32 v0, v0, v1, v1 op_sel:[0,0,1] op_sel_hi:[0,1,1]
	v_add_f32_e32 v43, v43, v0
	ds_read_b128 v[164:167], v125 offset:4096
	ds_read_b128 v[168:171], v125 offset:4112
	ds_read2_b32 v[0:1], v124 offset0:128 offset1:160
	s_waitcnt lgkmcnt(2)
	v_dot4c_i32_i8_e32 v3, v132, v164
	s_waitcnt lgkmcnt(1)
	v_dot4c_i32_i8_e32 v3, v133, v168
	v_dot4c_i32_i8_e32 v3, v134, v165
	;; [unrolled: 1-line block ×7, first 2 shown]
	s_waitcnt lgkmcnt(0)
	v_pk_mul_f16 v7, v131, v0
	s_nop 0
	v_cvt_f32_i32_e32 v3, v3
	v_fma_mix_f32 v3, v3, v7, v7 op_sel:[0,0,1] op_sel_hi:[0,1,1]
	v_add_f32_e32 v41, v41, v3
	v_mov_b32_e32 v3, 0
	v_dot4c_i32_i8_e32 v3, v141, v164
	v_dot4c_i32_i8_e32 v3, v142, v168
	;; [unrolled: 1-line block ×8, first 2 shown]
	v_pk_mul_f16 v7, v140, v0
	s_nop 1
	v_cvt_f32_i32_e32 v3, v3
	v_fma_mix_f32 v3, v3, v7, v7 op_sel:[0,0,1] op_sel_hi:[0,1,1]
	v_add_f32_e32 v39, v39, v3
	v_mov_b32_e32 v3, 0
	v_dot4c_i32_i8_e32 v3, v150, v164
	v_dot4c_i32_i8_e32 v3, v151, v168
	;; [unrolled: 1-line block ×8, first 2 shown]
	v_pk_mul_f16 v7, v147, v0
	v_pk_mul_f16 v0, v156, v0
	s_nop 0
	v_cvt_f32_i32_e32 v3, v3
	v_fma_mix_f32 v3, v3, v7, v7 op_sel:[0,0,1] op_sel_hi:[0,1,1]
	v_add_f32_e32 v37, v37, v3
	v_mov_b32_e32 v3, 0
	v_dot4c_i32_i8_e32 v3, v159, v164
	v_dot4c_i32_i8_e32 v3, v160, v168
	;; [unrolled: 1-line block ×8, first 2 shown]
	ds_read_b128 v[164:167], v125 offset:5120
	ds_read_b128 v[168:171], v125 offset:5136
	s_nop 0
	v_cvt_f32_i32_e32 v3, v3
	v_fma_mix_f32 v0, v3, v0, v0 op_sel:[0,0,1] op_sel_hi:[0,1,1]
	v_add_f32_e32 v35, v35, v0
	v_mov_b32_e32 v0, 0
	s_waitcnt lgkmcnt(1)
	v_dot4c_i32_i8_e32 v0, v132, v164
	s_waitcnt lgkmcnt(0)
	v_dot4c_i32_i8_e32 v0, v133, v168
	v_dot4c_i32_i8_e32 v0, v134, v165
	;; [unrolled: 1-line block ×7, first 2 shown]
	v_pk_mul_f16 v3, v131, v1
	s_nop 1
	v_cvt_f32_i32_e32 v0, v0
	v_fma_mix_f32 v0, v0, v3, v3 op_sel:[0,0,1] op_sel_hi:[0,1,1]
	v_add_f32_e32 v33, v33, v0
	v_mov_b32_e32 v0, 0
	v_dot4c_i32_i8_e32 v0, v141, v164
	v_dot4c_i32_i8_e32 v0, v142, v168
	;; [unrolled: 1-line block ×8, first 2 shown]
	v_pk_mul_f16 v3, v140, v1
	s_nop 1
	v_cvt_f32_i32_e32 v0, v0
	v_fma_mix_f32 v0, v0, v3, v3 op_sel:[0,0,1] op_sel_hi:[0,1,1]
	v_add_f32_e32 v31, v31, v0
	v_mov_b32_e32 v0, 0
	v_dot4c_i32_i8_e32 v0, v150, v164
	v_dot4c_i32_i8_e32 v0, v151, v168
	;; [unrolled: 1-line block ×8, first 2 shown]
	v_pk_mul_f16 v3, v147, v1
	v_pk_mul_f16 v1, v156, v1
	s_nop 0
	v_cvt_f32_i32_e32 v0, v0
	v_fma_mix_f32 v0, v0, v3, v3 op_sel:[0,0,1] op_sel_hi:[0,1,1]
	v_add_f32_e32 v29, v29, v0
	v_mov_b32_e32 v0, 0
	v_dot4c_i32_i8_e32 v0, v159, v164
	v_dot4c_i32_i8_e32 v0, v160, v168
	;; [unrolled: 1-line block ×8, first 2 shown]
	v_mov_b32_e32 v3, 0
	s_nop 1
	v_cvt_f32_i32_e32 v0, v0
	v_fma_mix_f32 v0, v0, v1, v1 op_sel:[0,0,1] op_sel_hi:[0,1,1]
	v_add_f32_e32 v27, v27, v0
	ds_read_b128 v[164:167], v125 offset:6144
	ds_read_b128 v[168:171], v125 offset:6160
	ds_read2_b32 v[0:1], v124 offset0:192 offset1:224
	v_add_u32_e32 v124, 4, v124
	s_waitcnt lgkmcnt(2)
	v_dot4c_i32_i8_e32 v3, v132, v164
	s_waitcnt lgkmcnt(1)
	v_dot4c_i32_i8_e32 v3, v133, v168
	v_dot4c_i32_i8_e32 v3, v134, v165
	;; [unrolled: 1-line block ×7, first 2 shown]
	s_waitcnt lgkmcnt(0)
	v_pk_mul_f16 v7, v131, v0
	s_nop 0
	v_cvt_f32_i32_e32 v3, v3
	v_fma_mix_f32 v3, v3, v7, v7 op_sel:[0,0,1] op_sel_hi:[0,1,1]
	v_add_f32_e32 v25, v25, v3
	v_mov_b32_e32 v3, 0
	v_dot4c_i32_i8_e32 v3, v141, v164
	v_dot4c_i32_i8_e32 v3, v142, v168
	;; [unrolled: 1-line block ×8, first 2 shown]
	v_pk_mul_f16 v7, v140, v0
	s_nop 1
	v_cvt_f32_i32_e32 v3, v3
	v_fma_mix_f32 v3, v3, v7, v7 op_sel:[0,0,1] op_sel_hi:[0,1,1]
	v_add_f32_e32 v23, v23, v3
	v_mov_b32_e32 v3, 0
	v_dot4c_i32_i8_e32 v3, v150, v164
	v_dot4c_i32_i8_e32 v3, v151, v168
	;; [unrolled: 1-line block ×8, first 2 shown]
	v_pk_mul_f16 v7, v147, v0
	v_pk_mul_f16 v0, v156, v0
	s_nop 0
	v_cvt_f32_i32_e32 v3, v3
	v_fma_mix_f32 v3, v3, v7, v7 op_sel:[0,0,1] op_sel_hi:[0,1,1]
	v_add_f32_e32 v21, v21, v3
	v_mov_b32_e32 v3, 0
	v_dot4c_i32_i8_e32 v3, v159, v164
	v_dot4c_i32_i8_e32 v3, v160, v168
	;; [unrolled: 1-line block ×8, first 2 shown]
	ds_read_b128 v[164:167], v125 offset:7168
	ds_read_b128 v[168:171], v125 offset:7184
	v_add_u32_e32 v125, 32, v125
	v_cvt_f32_i32_e32 v3, v3
	v_fma_mix_f32 v0, v3, v0, v0 op_sel:[0,0,1] op_sel_hi:[0,1,1]
	v_add_f32_e32 v19, v19, v0
	v_mov_b32_e32 v0, 0
	s_waitcnt lgkmcnt(1)
	v_dot4c_i32_i8_e32 v0, v132, v164
	s_waitcnt lgkmcnt(0)
	v_dot4c_i32_i8_e32 v0, v133, v168
	v_dot4c_i32_i8_e32 v0, v134, v165
	;; [unrolled: 1-line block ×7, first 2 shown]
	v_pk_mul_f16 v3, v131, v1
	s_nop 1
	v_cvt_f32_i32_e32 v0, v0
	v_fma_mix_f32 v0, v0, v3, v3 op_sel:[0,0,1] op_sel_hi:[0,1,1]
	v_add_f32_e32 v17, v17, v0
	v_mov_b32_e32 v0, 0
	v_dot4c_i32_i8_e32 v0, v141, v164
	v_dot4c_i32_i8_e32 v0, v142, v168
	;; [unrolled: 1-line block ×8, first 2 shown]
	v_pk_mul_f16 v3, v140, v1
	s_nop 1
	v_cvt_f32_i32_e32 v0, v0
	v_fma_mix_f32 v0, v0, v3, v3 op_sel:[0,0,1] op_sel_hi:[0,1,1]
	v_add_f32_e32 v15, v15, v0
	v_mov_b32_e32 v0, 0
	v_dot4c_i32_i8_e32 v0, v150, v164
	v_dot4c_i32_i8_e32 v0, v151, v168
	v_dot4c_i32_i8_e32 v0, v152, v165
	v_dot4c_i32_i8_e32 v0, v153, v169
	v_dot4c_i32_i8_e32 v0, v154, v166
	v_dot4c_i32_i8_e32 v0, v155, v170
	v_dot4c_i32_i8_e32 v0, v157, v167
	v_dot4c_i32_i8_e32 v0, v158, v171
	v_pk_mul_f16 v3, v147, v1
	v_pk_mul_f16 v1, v156, v1
	s_nop 0
	v_cvt_f32_i32_e32 v0, v0
	v_fma_mix_f32 v0, v0, v3, v3 op_sel:[0,0,1] op_sel_hi:[0,1,1]
	v_add_f32_e32 v13, v13, v0
	v_mov_b32_e32 v0, 0
	v_dot4c_i32_i8_e32 v0, v159, v164
	v_dot4c_i32_i8_e32 v0, v160, v168
	;; [unrolled: 1-line block ×8, first 2 shown]
	s_nop 2
	v_cvt_f32_i32_e32 v0, v0
	v_fma_mix_f32 v0, v0, v1, v1 op_sel:[0,0,1] op_sel_hi:[0,1,1]
	v_add_f32_e32 v9, v9, v0
	s_cbranch_scc1 .LBB119_7
; %bb.8:                                ;   in Loop: Header=BB119_6 Depth=1
	s_or_b32 s7, s5, 4
	s_cmp_ge_i32 s7, s4
	s_barrier
	s_cbranch_scc1 .LBB119_5
; %bb.9:                                ;   in Loop: Header=BB119_6 Depth=1
	v_add_u32_e32 v128, s5, v107
	v_add_u32_e32 v0, v128, v90
	v_add_u32_e32 v2, v128, v92
	v_add_u32_e32 v4, v128, v94
	v_add_u32_e32 v6, v128, v96
	v_add_u32_e32 v58, v128, v98
	v_mad_i64_i32 v[0:1], s[14:15], v0, 36, v[54:55]
	v_mad_i64_i32 v[2:3], s[14:15], v2, 36, v[54:55]
	;; [unrolled: 1-line block ×5, first 2 shown]
	v_add_u32_e32 v124, v128, v100
	v_add_u32_e32 v126, v128, v102
	;; [unrolled: 1-line block ×3, first 2 shown]
	v_mad_i64_i32 v[124:125], s[14:15], v124, 36, v[54:55]
	v_mad_i64_i32 v[126:127], s[14:15], v126, 36, v[54:55]
	;; [unrolled: 1-line block ×3, first 2 shown]
	global_load_dword v130, v[0:1], off offset:4
	s_nop 0
	global_load_dword v2, v[2:3], off offset:4
	s_nop 0
	;; [unrolled: 2-line block ×3, first 2 shown]
	global_load_dword v4, v[6:7], off offset:4
	global_load_dword v5, v[58:59], off offset:4
	s_nop 0
	global_load_dword v6, v[124:125], off offset:4
                                        ; kill: killed $vgpr124_vgpr125
                                        ; kill: killed $vgpr58_vgpr59
	global_load_dword v7, v[126:127], off offset:4
	global_load_dword v58, v[128:129], off offset:4
	v_add_u32_e32 v0, 4, v123
	v_mad_u64_u32 v[0:1], s[14:15], v0, 36, s[2:3]
	global_load_dword v0, v[0:1], off
	s_mov_b32 s7, 12
	v_mov_b32_e32 v123, v113
	v_mov_b32_e32 v124, v112
	;; [unrolled: 1-line block ×7, first 2 shown]
	s_waitcnt vmcnt(8)
	ds_write_b32 v91, v130
	s_waitcnt vmcnt(7)
	ds_write_b32 v93, v2
	;; [unrolled: 2-line block ×9, first 2 shown]
	s_waitcnt lgkmcnt(0)
	s_barrier
.LBB119_10:                             ;   Parent Loop BB119_6 Depth=1
                                        ; =>  This Inner Loop Header: Depth=2
	ds_read_b128 v[0:3], v124
	ds_read_b128 v[4:7], v124 offset:16
	ds_read2_b32 v[58:59], v123 offset1:32
	ds_read_b32 v130, v126
	ds_read2_b32 v[134:135], v125 offset1:1
	ds_read2_b32 v[138:139], v125 offset0:2 offset1:3
	v_mov_b32_e32 v140, 0
	v_add_u32_e32 v144, 0x1088, v125
	v_mov_b32_e32 v146, 0
	s_waitcnt lgkmcnt(1)
	v_and_b32_e32 v131, 0xf0f0f0f, v134
	v_lshrrev_b32_e32 v132, 4, v134
	v_and_b32_e32 v132, 0xf0f0f0f, v132
	v_dot4c_i32_i8_e32 v140, v131, v0
	v_dot4c_i32_i8_e32 v140, v132, v4
	v_and_b32_e32 v133, 0xf0f0f0f, v135
	v_lshrrev_b32_e32 v134, 4, v135
	v_and_b32_e32 v134, 0xf0f0f0f, v134
	v_dot4c_i32_i8_e32 v140, v133, v1
	v_dot4c_i32_i8_e32 v140, v134, v5
	s_waitcnt lgkmcnt(0)
	v_and_b32_e32 v135, 0xf0f0f0f, v138
	v_lshrrev_b32_e32 v136, 4, v138
	v_and_b32_e32 v136, 0xf0f0f0f, v136
	v_dot4c_i32_i8_e32 v140, v135, v2
	v_dot4c_i32_i8_e32 v140, v136, v6
	v_and_b32_e32 v137, 0xf0f0f0f, v139
	v_lshrrev_b32_e32 v138, 4, v139
	v_and_b32_e32 v138, 0xf0f0f0f, v138
	v_dot4c_i32_i8_e32 v140, v137, v3
	v_dot4c_i32_i8_e32 v140, v138, v7
	v_pk_mul_f16 v139, v58, v130
	v_mov_b32_e32 v158, 0
	v_mov_b32_e32 v162, 0
	v_cvt_f32_i32_e32 v140, v140
	s_add_i32 s7, s7, 4
	v_add_u32_e32 v126, 4, v126
	s_cmp_lt_u32 s7, 28
	v_fma_mix_f32 v139, v139, v140, v139 op_sel:[0,0,1] op_sel_hi:[1,0,1]
	v_add_u32_e32 v140, 0x1080, v125
	v_add_f32_e32 v88, v88, v139
	ds_read_b32 v139, v127
	ds_read2_b32 v[142:143], v140 offset1:1
	ds_read2_b32 v[148:149], v144 offset1:1
	v_add_u32_e32 v127, 4, v127
	s_waitcnt lgkmcnt(1)
	v_and_b32_e32 v140, 0xf0f0f0f, v142
	v_lshrrev_b32_e32 v141, 4, v142
	v_and_b32_e32 v141, 0xf0f0f0f, v141
	v_dot4c_i32_i8_e32 v146, v140, v0
	v_dot4c_i32_i8_e32 v146, v141, v4
	v_and_b32_e32 v142, 0xf0f0f0f, v143
	v_lshrrev_b32_e32 v143, 4, v143
	v_and_b32_e32 v143, 0xf0f0f0f, v143
	v_dot4c_i32_i8_e32 v146, v142, v1
	v_dot4c_i32_i8_e32 v146, v143, v5
	s_waitcnt lgkmcnt(0)
	v_and_b32_e32 v144, 0xf0f0f0f, v148
	v_lshrrev_b32_e32 v145, 4, v148
	v_and_b32_e32 v145, 0xf0f0f0f, v145
	v_dot4c_i32_i8_e32 v146, v144, v2
	v_dot4c_i32_i8_e32 v146, v145, v6
	v_and_b32_e32 v147, 0xf0f0f0f, v149
	v_lshrrev_b32_e32 v148, 4, v149
	v_and_b32_e32 v148, 0xf0f0f0f, v148
	v_dot4c_i32_i8_e32 v146, v147, v3
	v_dot4c_i32_i8_e32 v146, v148, v7
	v_pk_mul_f16 v149, v58, v139
	s_nop 1
	v_cvt_f32_i32_e32 v146, v146
	v_fma_mix_f32 v146, v149, v146, v149 op_sel:[0,0,1] op_sel_hi:[1,0,1]
	s_nop 0
	v_add_f32_e32 v87, v87, v146
	v_add_u32_e32 v149, 0x2100, v125
	ds_read_b32 v146, v128
	ds_read2_b32 v[152:153], v149 offset1:1
	v_add_u32_e32 v128, 4, v128
	s_waitcnt lgkmcnt(0)
	v_and_b32_e32 v149, 0xf0f0f0f, v152
	v_lshrrev_b32_e32 v150, 4, v152
	v_and_b32_e32 v151, 0xf0f0f0f, v153
	v_lshrrev_b32_e32 v152, 4, v153
	v_add_u32_e32 v153, 0x2108, v125
	ds_read2_b32 v[154:155], v153 offset1:1
	v_and_b32_e32 v150, 0xf0f0f0f, v150
	v_dot4c_i32_i8_e32 v158, v149, v0
	v_dot4c_i32_i8_e32 v158, v150, v4
	v_and_b32_e32 v152, 0xf0f0f0f, v152
	v_dot4c_i32_i8_e32 v158, v151, v1
	v_dot4c_i32_i8_e32 v158, v152, v5
	s_waitcnt lgkmcnt(0)
	v_and_b32_e32 v153, 0xf0f0f0f, v154
	v_lshrrev_b32_e32 v154, 4, v154
	v_and_b32_e32 v154, 0xf0f0f0f, v154
	v_dot4c_i32_i8_e32 v158, v153, v2
	v_dot4c_i32_i8_e32 v158, v154, v6
	v_and_b32_e32 v156, 0xf0f0f0f, v155
	v_lshrrev_b32_e32 v155, 4, v155
	v_and_b32_e32 v157, 0xf0f0f0f, v155
	v_dot4c_i32_i8_e32 v158, v156, v3
	v_dot4c_i32_i8_e32 v158, v157, v7
	v_pk_mul_f16 v155, v58, v146
	s_nop 1
	v_cvt_f32_i32_e32 v158, v158
	v_fma_mix_f32 v155, v155, v158, v155 op_sel:[0,0,1] op_sel_hi:[1,0,1]
	s_nop 0
	v_add_f32_e32 v82, v82, v155
	v_add_u32_e32 v158, 0x3180, v125
	ds_read_b32 v155, v129
	ds_read2_b32 v[160:161], v158 offset1:1
	v_add_u32_e32 v129, 4, v129
	s_waitcnt lgkmcnt(0)
	v_and_b32_e32 v158, 0xf0f0f0f, v160
	v_lshrrev_b32_e32 v159, 4, v160
	v_and_b32_e32 v159, 0xf0f0f0f, v159
	v_dot4c_i32_i8_e32 v162, v158, v0
	v_lshrrev_b32_e32 v0, 4, v161
	v_dot4c_i32_i8_e32 v162, v159, v4
	v_and_b32_e32 v4, 0xf0f0f0f, v161
	v_and_b32_e32 v160, 0xf0f0f0f, v0
	v_add_u32_e32 v0, 0x3188, v125
	v_dot4c_i32_i8_e32 v162, v4, v1
	ds_read2_b32 v[0:1], v0 offset1:1
	v_dot4c_i32_i8_e32 v162, v160, v5
	v_add_u32_e32 v125, 16, v125
	s_waitcnt lgkmcnt(0)
	v_and_b32_e32 v5, 0xf0f0f0f, v0
	v_lshrrev_b32_e32 v0, 4, v0
	v_and_b32_e32 v161, 0xf0f0f0f, v0
	v_dot4c_i32_i8_e32 v162, v5, v2
	v_dot4c_i32_i8_e32 v162, v161, v6
	v_and_b32_e32 v2, 0xf0f0f0f, v1
	v_lshrrev_b32_e32 v0, 4, v1
	v_and_b32_e32 v6, 0xf0f0f0f, v0
	v_dot4c_i32_i8_e32 v162, v2, v3
	v_dot4c_i32_i8_e32 v162, v6, v7
	v_pk_mul_f16 v0, v58, v155
	v_mov_b32_e32 v3, 0
	s_nop 0
	v_cvt_f32_i32_e32 v1, v162
	ds_read_b128 v[162:165], v124 offset:1024
	ds_read_b128 v[166:169], v124 offset:1040
	v_fma_mix_f32 v0, v0, v1, v0 op_sel:[0,0,1] op_sel_hi:[1,0,1]
	s_nop 0
	v_add_f32_e32 v76, v76, v0
	v_mov_b32_e32 v0, 0
	s_waitcnt lgkmcnt(1)
	v_dot4c_i32_i8_e32 v0, v131, v162
	s_waitcnt lgkmcnt(0)
	v_dot4c_i32_i8_e32 v0, v132, v166
	v_dot4c_i32_i8_e32 v0, v133, v163
	v_dot4c_i32_i8_e32 v0, v134, v167
	v_dot4c_i32_i8_e32 v0, v135, v164
	v_dot4c_i32_i8_e32 v0, v136, v168
	v_dot4c_i32_i8_e32 v0, v137, v165
	v_dot4c_i32_i8_e32 v0, v138, v169
	v_pk_mul_f16 v1, v130, v59
	s_nop 1
	v_cvt_f32_i32_e32 v0, v0
	v_fma_mix_f32 v0, v0, v1, v1 op_sel:[0,0,1] op_sel_hi:[0,1,1]
	v_add_f32_e32 v68, v68, v0
	v_mov_b32_e32 v0, 0
	v_dot4c_i32_i8_e32 v0, v140, v162
	v_dot4c_i32_i8_e32 v0, v141, v166
	v_dot4c_i32_i8_e32 v0, v142, v163
	v_dot4c_i32_i8_e32 v0, v143, v167
	v_dot4c_i32_i8_e32 v0, v144, v164
	v_dot4c_i32_i8_e32 v0, v145, v168
	v_dot4c_i32_i8_e32 v0, v147, v165
	v_dot4c_i32_i8_e32 v0, v148, v169
	v_pk_mul_f16 v1, v139, v59
	s_nop 1
	v_cvt_f32_i32_e32 v0, v0
	v_fma_mix_f32 v0, v0, v1, v1 op_sel:[0,0,1] op_sel_hi:[0,1,1]
	v_add_f32_e32 v66, v66, v0
	v_mov_b32_e32 v0, 0
	v_dot4c_i32_i8_e32 v0, v149, v162
	;; [unrolled: 14-line block ×3, first 2 shown]
	v_dot4c_i32_i8_e32 v0, v159, v166
	v_dot4c_i32_i8_e32 v0, v4, v163
	;; [unrolled: 1-line block ×7, first 2 shown]
	v_pk_mul_f16 v1, v155, v59
	s_nop 1
	v_cvt_f32_i32_e32 v0, v0
	v_fma_mix_f32 v0, v0, v1, v1 op_sel:[0,0,1] op_sel_hi:[0,1,1]
	v_add_f32_e32 v64, v64, v0
	ds_read_b128 v[162:165], v124 offset:2048
	ds_read_b128 v[166:169], v124 offset:2064
	ds_read2_b32 v[0:1], v123 offset0:64 offset1:96
	s_waitcnt lgkmcnt(2)
	v_dot4c_i32_i8_e32 v3, v131, v162
	s_waitcnt lgkmcnt(1)
	v_dot4c_i32_i8_e32 v3, v132, v166
	v_dot4c_i32_i8_e32 v3, v133, v163
	;; [unrolled: 1-line block ×7, first 2 shown]
	s_waitcnt lgkmcnt(0)
	v_pk_mul_f16 v7, v130, v0
	s_nop 0
	v_cvt_f32_i32_e32 v3, v3
	v_fma_mix_f32 v3, v3, v7, v7 op_sel:[0,0,1] op_sel_hi:[0,1,1]
	v_add_f32_e32 v62, v62, v3
	v_mov_b32_e32 v3, 0
	v_dot4c_i32_i8_e32 v3, v140, v162
	v_dot4c_i32_i8_e32 v3, v141, v166
	;; [unrolled: 1-line block ×8, first 2 shown]
	v_pk_mul_f16 v7, v139, v0
	s_nop 1
	v_cvt_f32_i32_e32 v3, v3
	v_fma_mix_f32 v3, v3, v7, v7 op_sel:[0,0,1] op_sel_hi:[0,1,1]
	v_add_f32_e32 v61, v61, v3
	v_mov_b32_e32 v3, 0
	v_dot4c_i32_i8_e32 v3, v149, v162
	v_dot4c_i32_i8_e32 v3, v150, v166
	;; [unrolled: 1-line block ×8, first 2 shown]
	v_pk_mul_f16 v7, v146, v0
	v_pk_mul_f16 v0, v155, v0
	s_nop 0
	v_cvt_f32_i32_e32 v3, v3
	v_fma_mix_f32 v3, v3, v7, v7 op_sel:[0,0,1] op_sel_hi:[0,1,1]
	v_add_f32_e32 v60, v60, v3
	v_mov_b32_e32 v3, 0
	v_dot4c_i32_i8_e32 v3, v158, v162
	v_dot4c_i32_i8_e32 v3, v159, v166
	;; [unrolled: 1-line block ×8, first 2 shown]
	ds_read_b128 v[162:165], v124 offset:3072
	ds_read_b128 v[166:169], v124 offset:3088
	s_nop 0
	v_cvt_f32_i32_e32 v3, v3
	v_fma_mix_f32 v0, v3, v0, v0 op_sel:[0,0,1] op_sel_hi:[0,1,1]
	v_add_f32_e32 v57, v57, v0
	v_mov_b32_e32 v0, 0
	s_waitcnt lgkmcnt(1)
	v_dot4c_i32_i8_e32 v0, v131, v162
	s_waitcnt lgkmcnt(0)
	v_dot4c_i32_i8_e32 v0, v132, v166
	v_dot4c_i32_i8_e32 v0, v133, v163
	;; [unrolled: 1-line block ×7, first 2 shown]
	v_pk_mul_f16 v3, v130, v1
	s_nop 1
	v_cvt_f32_i32_e32 v0, v0
	v_fma_mix_f32 v0, v0, v3, v3 op_sel:[0,0,1] op_sel_hi:[0,1,1]
	v_add_f32_e32 v51, v51, v0
	v_mov_b32_e32 v0, 0
	v_dot4c_i32_i8_e32 v0, v140, v162
	v_dot4c_i32_i8_e32 v0, v141, v166
	;; [unrolled: 1-line block ×8, first 2 shown]
	v_pk_mul_f16 v3, v139, v1
	s_nop 1
	v_cvt_f32_i32_e32 v0, v0
	v_fma_mix_f32 v0, v0, v3, v3 op_sel:[0,0,1] op_sel_hi:[0,1,1]
	v_add_f32_e32 v49, v49, v0
	v_mov_b32_e32 v0, 0
	v_dot4c_i32_i8_e32 v0, v149, v162
	v_dot4c_i32_i8_e32 v0, v150, v166
	;; [unrolled: 1-line block ×8, first 2 shown]
	v_pk_mul_f16 v3, v146, v1
	v_pk_mul_f16 v1, v155, v1
	s_nop 0
	v_cvt_f32_i32_e32 v0, v0
	v_fma_mix_f32 v0, v0, v3, v3 op_sel:[0,0,1] op_sel_hi:[0,1,1]
	v_add_f32_e32 v45, v45, v0
	v_mov_b32_e32 v0, 0
	v_dot4c_i32_i8_e32 v0, v158, v162
	v_dot4c_i32_i8_e32 v0, v159, v166
	;; [unrolled: 1-line block ×8, first 2 shown]
	v_mov_b32_e32 v3, 0
	s_nop 1
	v_cvt_f32_i32_e32 v0, v0
	v_fma_mix_f32 v0, v0, v1, v1 op_sel:[0,0,1] op_sel_hi:[0,1,1]
	v_add_f32_e32 v43, v43, v0
	ds_read_b128 v[162:165], v124 offset:4096
	ds_read_b128 v[166:169], v124 offset:4112
	ds_read2_b32 v[0:1], v123 offset0:128 offset1:160
	s_waitcnt lgkmcnt(2)
	v_dot4c_i32_i8_e32 v3, v131, v162
	s_waitcnt lgkmcnt(1)
	v_dot4c_i32_i8_e32 v3, v132, v166
	v_dot4c_i32_i8_e32 v3, v133, v163
	;; [unrolled: 1-line block ×7, first 2 shown]
	s_waitcnt lgkmcnt(0)
	v_pk_mul_f16 v7, v130, v0
	s_nop 0
	v_cvt_f32_i32_e32 v3, v3
	v_fma_mix_f32 v3, v3, v7, v7 op_sel:[0,0,1] op_sel_hi:[0,1,1]
	v_add_f32_e32 v41, v41, v3
	v_mov_b32_e32 v3, 0
	v_dot4c_i32_i8_e32 v3, v140, v162
	v_dot4c_i32_i8_e32 v3, v141, v166
	;; [unrolled: 1-line block ×8, first 2 shown]
	v_pk_mul_f16 v7, v139, v0
	s_nop 1
	v_cvt_f32_i32_e32 v3, v3
	v_fma_mix_f32 v3, v3, v7, v7 op_sel:[0,0,1] op_sel_hi:[0,1,1]
	v_add_f32_e32 v39, v39, v3
	v_mov_b32_e32 v3, 0
	v_dot4c_i32_i8_e32 v3, v149, v162
	v_dot4c_i32_i8_e32 v3, v150, v166
	;; [unrolled: 1-line block ×8, first 2 shown]
	v_pk_mul_f16 v7, v146, v0
	v_pk_mul_f16 v0, v155, v0
	s_nop 0
	v_cvt_f32_i32_e32 v3, v3
	v_fma_mix_f32 v3, v3, v7, v7 op_sel:[0,0,1] op_sel_hi:[0,1,1]
	v_add_f32_e32 v37, v37, v3
	v_mov_b32_e32 v3, 0
	v_dot4c_i32_i8_e32 v3, v158, v162
	v_dot4c_i32_i8_e32 v3, v159, v166
	;; [unrolled: 1-line block ×8, first 2 shown]
	ds_read_b128 v[162:165], v124 offset:5120
	ds_read_b128 v[166:169], v124 offset:5136
	s_nop 0
	v_cvt_f32_i32_e32 v3, v3
	v_fma_mix_f32 v0, v3, v0, v0 op_sel:[0,0,1] op_sel_hi:[0,1,1]
	v_add_f32_e32 v35, v35, v0
	v_mov_b32_e32 v0, 0
	s_waitcnt lgkmcnt(1)
	v_dot4c_i32_i8_e32 v0, v131, v162
	s_waitcnt lgkmcnt(0)
	v_dot4c_i32_i8_e32 v0, v132, v166
	v_dot4c_i32_i8_e32 v0, v133, v163
	;; [unrolled: 1-line block ×7, first 2 shown]
	v_pk_mul_f16 v3, v130, v1
	s_nop 1
	v_cvt_f32_i32_e32 v0, v0
	v_fma_mix_f32 v0, v0, v3, v3 op_sel:[0,0,1] op_sel_hi:[0,1,1]
	v_add_f32_e32 v33, v33, v0
	v_mov_b32_e32 v0, 0
	v_dot4c_i32_i8_e32 v0, v140, v162
	v_dot4c_i32_i8_e32 v0, v141, v166
	;; [unrolled: 1-line block ×8, first 2 shown]
	v_pk_mul_f16 v3, v139, v1
	s_nop 1
	v_cvt_f32_i32_e32 v0, v0
	v_fma_mix_f32 v0, v0, v3, v3 op_sel:[0,0,1] op_sel_hi:[0,1,1]
	v_add_f32_e32 v31, v31, v0
	v_mov_b32_e32 v0, 0
	v_dot4c_i32_i8_e32 v0, v149, v162
	v_dot4c_i32_i8_e32 v0, v150, v166
	;; [unrolled: 1-line block ×8, first 2 shown]
	v_pk_mul_f16 v3, v146, v1
	v_pk_mul_f16 v1, v155, v1
	s_nop 0
	v_cvt_f32_i32_e32 v0, v0
	v_fma_mix_f32 v0, v0, v3, v3 op_sel:[0,0,1] op_sel_hi:[0,1,1]
	v_add_f32_e32 v29, v29, v0
	v_mov_b32_e32 v0, 0
	v_dot4c_i32_i8_e32 v0, v158, v162
	v_dot4c_i32_i8_e32 v0, v159, v166
	;; [unrolled: 1-line block ×8, first 2 shown]
	v_mov_b32_e32 v3, 0
	s_nop 1
	v_cvt_f32_i32_e32 v0, v0
	v_fma_mix_f32 v0, v0, v1, v1 op_sel:[0,0,1] op_sel_hi:[0,1,1]
	v_add_f32_e32 v27, v27, v0
	ds_read_b128 v[162:165], v124 offset:6144
	ds_read_b128 v[166:169], v124 offset:6160
	ds_read2_b32 v[0:1], v123 offset0:192 offset1:224
	v_add_u32_e32 v123, 4, v123
	s_waitcnt lgkmcnt(2)
	v_dot4c_i32_i8_e32 v3, v131, v162
	s_waitcnt lgkmcnt(1)
	v_dot4c_i32_i8_e32 v3, v132, v166
	v_dot4c_i32_i8_e32 v3, v133, v163
	v_dot4c_i32_i8_e32 v3, v134, v167
	v_dot4c_i32_i8_e32 v3, v135, v164
	v_dot4c_i32_i8_e32 v3, v136, v168
	v_dot4c_i32_i8_e32 v3, v137, v165
	v_dot4c_i32_i8_e32 v3, v138, v169
	s_waitcnt lgkmcnt(0)
	v_pk_mul_f16 v7, v130, v0
	s_nop 0
	v_cvt_f32_i32_e32 v3, v3
	v_fma_mix_f32 v3, v3, v7, v7 op_sel:[0,0,1] op_sel_hi:[0,1,1]
	v_add_f32_e32 v25, v25, v3
	v_mov_b32_e32 v3, 0
	v_dot4c_i32_i8_e32 v3, v140, v162
	v_dot4c_i32_i8_e32 v3, v141, v166
	;; [unrolled: 1-line block ×8, first 2 shown]
	v_pk_mul_f16 v7, v139, v0
	s_nop 1
	v_cvt_f32_i32_e32 v3, v3
	v_fma_mix_f32 v3, v3, v7, v7 op_sel:[0,0,1] op_sel_hi:[0,1,1]
	v_add_f32_e32 v23, v23, v3
	v_mov_b32_e32 v3, 0
	v_dot4c_i32_i8_e32 v3, v149, v162
	v_dot4c_i32_i8_e32 v3, v150, v166
	;; [unrolled: 1-line block ×8, first 2 shown]
	v_pk_mul_f16 v7, v146, v0
	v_pk_mul_f16 v0, v155, v0
	s_nop 0
	v_cvt_f32_i32_e32 v3, v3
	v_fma_mix_f32 v3, v3, v7, v7 op_sel:[0,0,1] op_sel_hi:[0,1,1]
	v_add_f32_e32 v21, v21, v3
	v_mov_b32_e32 v3, 0
	v_dot4c_i32_i8_e32 v3, v158, v162
	v_dot4c_i32_i8_e32 v3, v159, v166
	;; [unrolled: 1-line block ×8, first 2 shown]
	ds_read_b128 v[162:165], v124 offset:7168
	ds_read_b128 v[166:169], v124 offset:7184
	v_add_u32_e32 v124, 32, v124
	v_cvt_f32_i32_e32 v3, v3
	v_fma_mix_f32 v0, v3, v0, v0 op_sel:[0,0,1] op_sel_hi:[0,1,1]
	v_add_f32_e32 v19, v19, v0
	v_mov_b32_e32 v0, 0
	s_waitcnt lgkmcnt(1)
	v_dot4c_i32_i8_e32 v0, v131, v162
	s_waitcnt lgkmcnt(0)
	v_dot4c_i32_i8_e32 v0, v132, v166
	v_dot4c_i32_i8_e32 v0, v133, v163
	;; [unrolled: 1-line block ×7, first 2 shown]
	v_pk_mul_f16 v3, v130, v1
	s_nop 1
	v_cvt_f32_i32_e32 v0, v0
	v_fma_mix_f32 v0, v0, v3, v3 op_sel:[0,0,1] op_sel_hi:[0,1,1]
	v_add_f32_e32 v17, v17, v0
	v_mov_b32_e32 v0, 0
	v_dot4c_i32_i8_e32 v0, v140, v162
	v_dot4c_i32_i8_e32 v0, v141, v166
	;; [unrolled: 1-line block ×8, first 2 shown]
	v_pk_mul_f16 v3, v139, v1
	s_nop 1
	v_cvt_f32_i32_e32 v0, v0
	v_fma_mix_f32 v0, v0, v3, v3 op_sel:[0,0,1] op_sel_hi:[0,1,1]
	v_add_f32_e32 v15, v15, v0
	v_mov_b32_e32 v0, 0
	v_dot4c_i32_i8_e32 v0, v149, v162
	v_dot4c_i32_i8_e32 v0, v150, v166
	;; [unrolled: 1-line block ×8, first 2 shown]
	v_pk_mul_f16 v3, v146, v1
	v_pk_mul_f16 v1, v155, v1
	s_nop 0
	v_cvt_f32_i32_e32 v0, v0
	v_fma_mix_f32 v0, v0, v3, v3 op_sel:[0,0,1] op_sel_hi:[0,1,1]
	v_add_f32_e32 v13, v13, v0
	v_mov_b32_e32 v0, 0
	v_dot4c_i32_i8_e32 v0, v158, v162
	v_dot4c_i32_i8_e32 v0, v159, v166
	;; [unrolled: 1-line block ×8, first 2 shown]
	s_nop 2
	v_cvt_f32_i32_e32 v0, v0
	v_fma_mix_f32 v0, v0, v1, v1 op_sel:[0,0,1] op_sel_hi:[0,1,1]
	v_add_f32_e32 v9, v9, v0
	s_cbranch_scc1 .LBB119_10
; %bb.11:                               ;   in Loop: Header=BB119_6 Depth=1
	s_barrier
	s_branch .LBB119_5
.LBB119_12:
	v_mov_b32_e32 v1, v53
.LBB119_13:
	v_cmp_gt_u32_e32 vcc, s8, v63
	s_and_saveexec_b64 s[0:1], vcc
	s_cbranch_execz .LBB119_64
; %bb.14:
	v_add_u32_e32 v0, s6, v47
	v_mul_lo_u32 v5, v63, s10
	v_cmp_gt_u32_e32 vcc, s10, v0
	s_and_saveexec_b64 s[0:1], vcc
	s_cbranch_execz .LBB119_16
; %bb.15:
	v_add_u32_e32 v2, v0, v5
	v_mov_b32_e32 v3, 0
	s_waitcnt lgkmcnt(0)
	v_lshl_add_u64 v[2:3], v[2:3], 2, s[12:13]
	global_store_dword v[2:3], v88, off
.LBB119_16:
	s_or_b64 exec, exec, s[0:1]
	v_add_u32_e32 v2, 32, v0
	v_cmp_gt_u32_e64 s[0:1], s10, v2
	s_and_saveexec_b64 s[2:3], s[0:1]
	s_cbranch_execz .LBB119_18
; %bb.17:
	v_add_u32_e32 v6, v2, v5
	v_mov_b32_e32 v7, 0
	s_waitcnt lgkmcnt(0)
	v_lshl_add_u64 v[6:7], v[6:7], 2, s[12:13]
	global_store_dword v[6:7], v87, off
.LBB119_18:
	s_or_b64 exec, exec, s[2:3]
	v_add_u32_e32 v3, 64, v0
	v_cmp_gt_u32_e64 s[2:3], s10, v3
	s_and_saveexec_b64 s[4:5], s[2:3]
	s_cbranch_execz .LBB119_20
; %bb.19:
	v_add_u32_e32 v6, v3, v5
	v_mov_b32_e32 v7, 0
	s_waitcnt lgkmcnt(0)
	v_lshl_add_u64 v[6:7], v[6:7], 2, s[12:13]
	global_store_dword v[6:7], v82, off
.LBB119_20:
	s_or_b64 exec, exec, s[4:5]
	v_add_u32_e32 v4, 0x60, v0
	v_cmp_gt_u32_e64 s[4:5], s10, v4
	s_and_saveexec_b64 s[6:7], s[4:5]
	s_cbranch_execz .LBB119_22
; %bb.21:
	v_add_u32_e32 v6, v4, v5
	v_mov_b32_e32 v7, 0
	s_waitcnt lgkmcnt(0)
	v_lshl_add_u64 v[6:7], v[6:7], 2, s[12:13]
	global_store_dword v[6:7], v76, off
.LBB119_22:
	s_or_b64 exec, exec, s[6:7]
	v_add3_u32 v5, v1, s11, 8
	v_cmp_gt_u32_e64 s[6:7], s8, v5
	s_and_b64 exec, exec, s[6:7]
	s_cbranch_execz .LBB119_64
; %bb.23:
	v_mul_lo_u32 v5, v5, s10
	s_and_saveexec_b64 s[6:7], vcc
	s_cbranch_execnz .LBB119_65
; %bb.24:
	s_or_b64 exec, exec, s[6:7]
	s_and_saveexec_b64 s[6:7], s[0:1]
	s_cbranch_execnz .LBB119_66
.LBB119_25:
	s_or_b64 exec, exec, s[6:7]
	s_and_saveexec_b64 s[6:7], s[2:3]
	s_cbranch_execnz .LBB119_67
.LBB119_26:
	s_or_b64 exec, exec, s[6:7]
	s_and_saveexec_b64 s[6:7], s[4:5]
	s_cbranch_execz .LBB119_28
.LBB119_27:
	v_add_u32_e32 v6, v5, v4
	v_mov_b32_e32 v7, 0
	s_waitcnt lgkmcnt(0)
	v_lshl_add_u64 v[6:7], v[6:7], 2, s[12:13]
	global_store_dword v[6:7], v64, off
.LBB119_28:
	s_or_b64 exec, exec, s[6:7]
	v_add3_u32 v5, v1, s11, 16
	v_cmp_gt_u32_e64 s[6:7], s8, v5
	s_and_b64 exec, exec, s[6:7]
	s_cbranch_execz .LBB119_64
; %bb.29:
	v_mul_lo_u32 v5, v5, s10
	s_and_saveexec_b64 s[6:7], vcc
	s_cbranch_execnz .LBB119_68
; %bb.30:
	s_or_b64 exec, exec, s[6:7]
	s_and_saveexec_b64 s[6:7], s[0:1]
	s_cbranch_execnz .LBB119_69
.LBB119_31:
	s_or_b64 exec, exec, s[6:7]
	s_and_saveexec_b64 s[6:7], s[2:3]
	s_cbranch_execnz .LBB119_70
.LBB119_32:
	s_or_b64 exec, exec, s[6:7]
	s_and_saveexec_b64 s[6:7], s[4:5]
	s_cbranch_execz .LBB119_34
.LBB119_33:
	v_add_u32_e32 v6, v5, v4
	v_mov_b32_e32 v7, 0
	s_waitcnt lgkmcnt(0)
	v_lshl_add_u64 v[6:7], v[6:7], 2, s[12:13]
	global_store_dword v[6:7], v57, off
.LBB119_34:
	s_or_b64 exec, exec, s[6:7]
	v_add3_u32 v5, v1, s11, 24
	v_cmp_gt_u32_e64 s[6:7], s8, v5
	s_and_b64 exec, exec, s[6:7]
	s_cbranch_execz .LBB119_64
; %bb.35:
	v_mul_lo_u32 v5, v5, s10
	s_and_saveexec_b64 s[6:7], vcc
	s_cbranch_execnz .LBB119_71
; %bb.36:
	s_or_b64 exec, exec, s[6:7]
	s_and_saveexec_b64 s[6:7], s[0:1]
	s_cbranch_execnz .LBB119_72
.LBB119_37:
	s_or_b64 exec, exec, s[6:7]
	s_and_saveexec_b64 s[6:7], s[2:3]
	s_cbranch_execnz .LBB119_73
.LBB119_38:
	s_or_b64 exec, exec, s[6:7]
	s_and_saveexec_b64 s[6:7], s[4:5]
	s_cbranch_execz .LBB119_40
.LBB119_39:
	v_add_u32_e32 v6, v5, v4
	v_mov_b32_e32 v7, 0
	s_waitcnt lgkmcnt(0)
	v_lshl_add_u64 v[6:7], v[6:7], 2, s[12:13]
	global_store_dword v[6:7], v43, off
.LBB119_40:
	s_or_b64 exec, exec, s[6:7]
	v_add3_u32 v5, v1, s11, 32
	v_cmp_gt_u32_e64 s[6:7], s8, v5
	s_and_b64 exec, exec, s[6:7]
	s_cbranch_execz .LBB119_64
; %bb.41:
	v_mul_lo_u32 v5, v5, s10
	s_and_saveexec_b64 s[6:7], vcc
	s_cbranch_execnz .LBB119_74
; %bb.42:
	s_or_b64 exec, exec, s[6:7]
	s_and_saveexec_b64 s[6:7], s[0:1]
	s_cbranch_execnz .LBB119_75
.LBB119_43:
	s_or_b64 exec, exec, s[6:7]
	s_and_saveexec_b64 s[6:7], s[2:3]
	s_cbranch_execnz .LBB119_76
.LBB119_44:
	s_or_b64 exec, exec, s[6:7]
	s_and_saveexec_b64 s[6:7], s[4:5]
	s_cbranch_execz .LBB119_46
.LBB119_45:
	v_add_u32_e32 v6, v5, v4
	v_mov_b32_e32 v7, 0
	s_waitcnt lgkmcnt(0)
	v_lshl_add_u64 v[6:7], v[6:7], 2, s[12:13]
	global_store_dword v[6:7], v35, off
.LBB119_46:
	s_or_b64 exec, exec, s[6:7]
	v_add3_u32 v5, v1, s11, 40
	v_cmp_gt_u32_e64 s[6:7], s8, v5
	s_and_b64 exec, exec, s[6:7]
	s_cbranch_execz .LBB119_64
; %bb.47:
	v_mul_lo_u32 v5, v5, s10
	s_and_saveexec_b64 s[6:7], vcc
	s_cbranch_execnz .LBB119_77
; %bb.48:
	s_or_b64 exec, exec, s[6:7]
	s_and_saveexec_b64 s[6:7], s[0:1]
	s_cbranch_execnz .LBB119_78
.LBB119_49:
	s_or_b64 exec, exec, s[6:7]
	s_and_saveexec_b64 s[6:7], s[2:3]
	s_cbranch_execnz .LBB119_79
.LBB119_50:
	s_or_b64 exec, exec, s[6:7]
	s_and_saveexec_b64 s[6:7], s[4:5]
	s_cbranch_execz .LBB119_52
.LBB119_51:
	v_add_u32_e32 v6, v5, v4
	v_mov_b32_e32 v7, 0
	s_waitcnt lgkmcnt(0)
	v_lshl_add_u64 v[6:7], v[6:7], 2, s[12:13]
	global_store_dword v[6:7], v27, off
.LBB119_52:
	s_or_b64 exec, exec, s[6:7]
	v_add3_u32 v5, v1, s11, 48
	v_cmp_gt_u32_e64 s[6:7], s8, v5
	s_and_b64 exec, exec, s[6:7]
	s_cbranch_execz .LBB119_64
; %bb.53:
	v_mul_lo_u32 v5, v5, s10
	s_and_saveexec_b64 s[6:7], vcc
	s_cbranch_execnz .LBB119_80
; %bb.54:
	s_or_b64 exec, exec, s[6:7]
	s_and_saveexec_b64 s[6:7], s[0:1]
	s_cbranch_execnz .LBB119_81
.LBB119_55:
	s_or_b64 exec, exec, s[6:7]
	s_and_saveexec_b64 s[6:7], s[2:3]
	s_cbranch_execnz .LBB119_82
.LBB119_56:
	s_or_b64 exec, exec, s[6:7]
	s_and_saveexec_b64 s[6:7], s[4:5]
	s_cbranch_execz .LBB119_58
.LBB119_57:
	v_add_u32_e32 v6, v5, v4
	v_mov_b32_e32 v7, 0
	s_waitcnt lgkmcnt(0)
	v_lshl_add_u64 v[6:7], v[6:7], 2, s[12:13]
	global_store_dword v[6:7], v19, off
.LBB119_58:
	s_or_b64 exec, exec, s[6:7]
	v_add3_u32 v1, v1, s11, 56
	v_cmp_gt_u32_e64 s[6:7], s8, v1
	s_and_b64 exec, exec, s[6:7]
	s_cbranch_execz .LBB119_64
; %bb.59:
	v_mul_lo_u32 v1, v1, s10
	s_and_saveexec_b64 s[6:7], vcc
	s_cbranch_execnz .LBB119_83
; %bb.60:
	s_or_b64 exec, exec, s[6:7]
	s_and_saveexec_b64 s[6:7], s[0:1]
	s_cbranch_execnz .LBB119_84
.LBB119_61:
	s_or_b64 exec, exec, s[6:7]
	s_and_saveexec_b64 s[0:1], s[2:3]
	s_cbranch_execnz .LBB119_85
.LBB119_62:
	s_or_b64 exec, exec, s[0:1]
	s_and_b64 exec, exec, s[4:5]
	s_cbranch_execz .LBB119_64
.LBB119_63:
	v_add_u32_e32 v0, v1, v4
	v_mov_b32_e32 v1, 0
	s_waitcnt lgkmcnt(0)
	v_lshl_add_u64 v[0:1], v[0:1], 2, s[12:13]
	global_store_dword v[0:1], v9, off
.LBB119_64:
	s_endpgm
.LBB119_65:
	v_add_u32_e32 v6, v5, v0
	v_mov_b32_e32 v7, 0
	s_waitcnt lgkmcnt(0)
	v_lshl_add_u64 v[6:7], v[6:7], 2, s[12:13]
	global_store_dword v[6:7], v68, off
	s_or_b64 exec, exec, s[6:7]
	s_and_saveexec_b64 s[6:7], s[0:1]
	s_cbranch_execz .LBB119_25
.LBB119_66:
	v_add_u32_e32 v6, v5, v2
	v_mov_b32_e32 v7, 0
	s_waitcnt lgkmcnt(0)
	v_lshl_add_u64 v[6:7], v[6:7], 2, s[12:13]
	global_store_dword v[6:7], v66, off
	s_or_b64 exec, exec, s[6:7]
	s_and_saveexec_b64 s[6:7], s[2:3]
	s_cbranch_execz .LBB119_26
.LBB119_67:
	v_add_u32_e32 v6, v5, v3
	v_mov_b32_e32 v7, 0
	s_waitcnt lgkmcnt(0)
	v_lshl_add_u64 v[6:7], v[6:7], 2, s[12:13]
	global_store_dword v[6:7], v65, off
	s_or_b64 exec, exec, s[6:7]
	s_and_saveexec_b64 s[6:7], s[4:5]
	s_cbranch_execnz .LBB119_27
	s_branch .LBB119_28
.LBB119_68:
	v_add_u32_e32 v6, v5, v0
	v_mov_b32_e32 v7, 0
	s_waitcnt lgkmcnt(0)
	v_lshl_add_u64 v[6:7], v[6:7], 2, s[12:13]
	global_store_dword v[6:7], v62, off
	s_or_b64 exec, exec, s[6:7]
	s_and_saveexec_b64 s[6:7], s[0:1]
	s_cbranch_execz .LBB119_31
.LBB119_69:
	v_add_u32_e32 v6, v5, v2
	v_mov_b32_e32 v7, 0
	s_waitcnt lgkmcnt(0)
	v_lshl_add_u64 v[6:7], v[6:7], 2, s[12:13]
	global_store_dword v[6:7], v61, off
	s_or_b64 exec, exec, s[6:7]
	s_and_saveexec_b64 s[6:7], s[2:3]
	s_cbranch_execz .LBB119_32
.LBB119_70:
	v_add_u32_e32 v6, v5, v3
	v_mov_b32_e32 v7, 0
	s_waitcnt lgkmcnt(0)
	v_lshl_add_u64 v[6:7], v[6:7], 2, s[12:13]
	global_store_dword v[6:7], v60, off
	s_or_b64 exec, exec, s[6:7]
	s_and_saveexec_b64 s[6:7], s[4:5]
	s_cbranch_execnz .LBB119_33
	s_branch .LBB119_34
.LBB119_71:
	v_add_u32_e32 v6, v5, v0
	v_mov_b32_e32 v7, 0
	s_waitcnt lgkmcnt(0)
	v_lshl_add_u64 v[6:7], v[6:7], 2, s[12:13]
	global_store_dword v[6:7], v51, off
	s_or_b64 exec, exec, s[6:7]
	s_and_saveexec_b64 s[6:7], s[0:1]
	s_cbranch_execz .LBB119_37
.LBB119_72:
	v_add_u32_e32 v6, v5, v2
	v_mov_b32_e32 v7, 0
	s_waitcnt lgkmcnt(0)
	v_lshl_add_u64 v[6:7], v[6:7], 2, s[12:13]
	global_store_dword v[6:7], v49, off
	s_or_b64 exec, exec, s[6:7]
	s_and_saveexec_b64 s[6:7], s[2:3]
	s_cbranch_execz .LBB119_38
.LBB119_73:
	v_add_u32_e32 v6, v5, v3
	v_mov_b32_e32 v7, 0
	s_waitcnt lgkmcnt(0)
	v_lshl_add_u64 v[6:7], v[6:7], 2, s[12:13]
	global_store_dword v[6:7], v45, off
	s_or_b64 exec, exec, s[6:7]
	s_and_saveexec_b64 s[6:7], s[4:5]
	s_cbranch_execnz .LBB119_39
	s_branch .LBB119_40
.LBB119_74:
	v_add_u32_e32 v6, v5, v0
	v_mov_b32_e32 v7, 0
	s_waitcnt lgkmcnt(0)
	v_lshl_add_u64 v[6:7], v[6:7], 2, s[12:13]
	global_store_dword v[6:7], v41, off
	s_or_b64 exec, exec, s[6:7]
	s_and_saveexec_b64 s[6:7], s[0:1]
	s_cbranch_execz .LBB119_43
.LBB119_75:
	v_add_u32_e32 v6, v5, v2
	v_mov_b32_e32 v7, 0
	s_waitcnt lgkmcnt(0)
	v_lshl_add_u64 v[6:7], v[6:7], 2, s[12:13]
	global_store_dword v[6:7], v39, off
	s_or_b64 exec, exec, s[6:7]
	s_and_saveexec_b64 s[6:7], s[2:3]
	s_cbranch_execz .LBB119_44
.LBB119_76:
	v_add_u32_e32 v6, v5, v3
	v_mov_b32_e32 v7, 0
	s_waitcnt lgkmcnt(0)
	v_lshl_add_u64 v[6:7], v[6:7], 2, s[12:13]
	global_store_dword v[6:7], v37, off
	s_or_b64 exec, exec, s[6:7]
	s_and_saveexec_b64 s[6:7], s[4:5]
	s_cbranch_execnz .LBB119_45
	s_branch .LBB119_46
.LBB119_77:
	v_add_u32_e32 v6, v5, v0
	v_mov_b32_e32 v7, 0
	s_waitcnt lgkmcnt(0)
	v_lshl_add_u64 v[6:7], v[6:7], 2, s[12:13]
	global_store_dword v[6:7], v33, off
	s_or_b64 exec, exec, s[6:7]
	s_and_saveexec_b64 s[6:7], s[0:1]
	s_cbranch_execz .LBB119_49
.LBB119_78:
	v_add_u32_e32 v6, v5, v2
	v_mov_b32_e32 v7, 0
	s_waitcnt lgkmcnt(0)
	v_lshl_add_u64 v[6:7], v[6:7], 2, s[12:13]
	global_store_dword v[6:7], v31, off
	s_or_b64 exec, exec, s[6:7]
	s_and_saveexec_b64 s[6:7], s[2:3]
	s_cbranch_execz .LBB119_50
.LBB119_79:
	v_add_u32_e32 v6, v5, v3
	v_mov_b32_e32 v7, 0
	s_waitcnt lgkmcnt(0)
	v_lshl_add_u64 v[6:7], v[6:7], 2, s[12:13]
	global_store_dword v[6:7], v29, off
	s_or_b64 exec, exec, s[6:7]
	s_and_saveexec_b64 s[6:7], s[4:5]
	s_cbranch_execnz .LBB119_51
	s_branch .LBB119_52
.LBB119_80:
	v_add_u32_e32 v6, v5, v0
	v_mov_b32_e32 v7, 0
	s_waitcnt lgkmcnt(0)
	v_lshl_add_u64 v[6:7], v[6:7], 2, s[12:13]
	global_store_dword v[6:7], v25, off
	s_or_b64 exec, exec, s[6:7]
	s_and_saveexec_b64 s[6:7], s[0:1]
	s_cbranch_execz .LBB119_55
.LBB119_81:
	v_add_u32_e32 v6, v5, v2
	v_mov_b32_e32 v7, 0
	s_waitcnt lgkmcnt(0)
	v_lshl_add_u64 v[6:7], v[6:7], 2, s[12:13]
	global_store_dword v[6:7], v23, off
	s_or_b64 exec, exec, s[6:7]
	s_and_saveexec_b64 s[6:7], s[2:3]
	s_cbranch_execz .LBB119_56
.LBB119_82:
	v_add_u32_e32 v6, v5, v3
	v_mov_b32_e32 v7, 0
	s_waitcnt lgkmcnt(0)
	v_lshl_add_u64 v[6:7], v[6:7], 2, s[12:13]
	global_store_dword v[6:7], v21, off
	s_or_b64 exec, exec, s[6:7]
	s_and_saveexec_b64 s[6:7], s[4:5]
	s_cbranch_execnz .LBB119_57
	s_branch .LBB119_58
.LBB119_83:
	v_add_u32_e32 v6, v1, v0
	v_mov_b32_e32 v7, 0
	s_waitcnt lgkmcnt(0)
	v_lshl_add_u64 v[6:7], v[6:7], 2, s[12:13]
	global_store_dword v[6:7], v17, off
	s_or_b64 exec, exec, s[6:7]
	s_and_saveexec_b64 s[6:7], s[0:1]
	s_cbranch_execz .LBB119_61
.LBB119_84:
	v_add_u32_e32 v6, v1, v2
	v_mov_b32_e32 v7, 0
	s_waitcnt lgkmcnt(0)
	v_lshl_add_u64 v[6:7], v[6:7], 2, s[12:13]
	global_store_dword v[6:7], v15, off
	s_or_b64 exec, exec, s[6:7]
	s_and_saveexec_b64 s[0:1], s[2:3]
	s_cbranch_execz .LBB119_62
.LBB119_85:
	v_add_u32_e32 v2, v1, v3
	v_mov_b32_e32 v3, 0
	s_waitcnt lgkmcnt(0)
	v_lshl_add_u64 v[2:3], v[2:3], 2, s[12:13]
	global_store_dword v[2:3], v13, off
	s_or_b64 exec, exec, s[0:1]
	s_and_b64 exec, exec, s[4:5]
	s_cbranch_execnz .LBB119_63
	s_branch .LBB119_64
	.section	.rodata,"a",@progbits
	.p2align	6, 0x0
	.amdhsa_kernel _ZL12mul_mat_q4_1IfLb0EEvPKvS1_PT_iiiii
		.amdhsa_group_segment_fixed_size 30336
		.amdhsa_private_segment_fixed_size 0
		.amdhsa_kernarg_size 44
		.amdhsa_user_sgpr_count 2
		.amdhsa_user_sgpr_dispatch_ptr 0
		.amdhsa_user_sgpr_queue_ptr 0
		.amdhsa_user_sgpr_kernarg_segment_ptr 1
		.amdhsa_user_sgpr_dispatch_id 0
		.amdhsa_user_sgpr_kernarg_preload_length 0
		.amdhsa_user_sgpr_kernarg_preload_offset 0
		.amdhsa_user_sgpr_private_segment_size 0
		.amdhsa_uses_dynamic_stack 0
		.amdhsa_enable_private_segment 0
		.amdhsa_system_sgpr_workgroup_id_x 1
		.amdhsa_system_sgpr_workgroup_id_y 1
		.amdhsa_system_sgpr_workgroup_id_z 0
		.amdhsa_system_sgpr_workgroup_info 0
		.amdhsa_system_vgpr_workitem_id 1
		.amdhsa_next_free_vgpr 172
		.amdhsa_next_free_sgpr 18
		.amdhsa_accum_offset 172
		.amdhsa_reserve_vcc 1
		.amdhsa_float_round_mode_32 0
		.amdhsa_float_round_mode_16_64 0
		.amdhsa_float_denorm_mode_32 3
		.amdhsa_float_denorm_mode_16_64 3
		.amdhsa_dx10_clamp 1
		.amdhsa_ieee_mode 1
		.amdhsa_fp16_overflow 0
		.amdhsa_tg_split 0
		.amdhsa_exception_fp_ieee_invalid_op 0
		.amdhsa_exception_fp_denorm_src 0
		.amdhsa_exception_fp_ieee_div_zero 0
		.amdhsa_exception_fp_ieee_overflow 0
		.amdhsa_exception_fp_ieee_underflow 0
		.amdhsa_exception_fp_ieee_inexact 0
		.amdhsa_exception_int_div_zero 0
	.end_amdhsa_kernel
	.section	.text._ZL12mul_mat_q4_1IfLb0EEvPKvS1_PT_iiiii,"axG",@progbits,_ZL12mul_mat_q4_1IfLb0EEvPKvS1_PT_iiiii,comdat
.Lfunc_end119:
	.size	_ZL12mul_mat_q4_1IfLb0EEvPKvS1_PT_iiiii, .Lfunc_end119-_ZL12mul_mat_q4_1IfLb0EEvPKvS1_PT_iiiii
                                        ; -- End function
	.section	.AMDGPU.csdata,"",@progbits
; Kernel info:
; codeLenInByte = 10204
; NumSgprs: 24
; NumVgprs: 172
; NumAgprs: 0
; TotalNumVgprs: 172
; ScratchSize: 0
; MemoryBound: 0
; FloatMode: 240
; IeeeMode: 1
; LDSByteSize: 30336 bytes/workgroup (compile time only)
; SGPRBlocks: 2
; VGPRBlocks: 21
; NumSGPRsForWavesPerEU: 24
; NumVGPRsForWavesPerEU: 172
; AccumOffset: 172
; Occupancy: 2
; WaveLimiterHint : 0
; COMPUTE_PGM_RSRC2:SCRATCH_EN: 0
; COMPUTE_PGM_RSRC2:USER_SGPR: 2
; COMPUTE_PGM_RSRC2:TRAP_HANDLER: 0
; COMPUTE_PGM_RSRC2:TGID_X_EN: 1
; COMPUTE_PGM_RSRC2:TGID_Y_EN: 1
; COMPUTE_PGM_RSRC2:TGID_Z_EN: 0
; COMPUTE_PGM_RSRC2:TIDIG_COMP_CNT: 1
; COMPUTE_PGM_RSRC3_GFX90A:ACCUM_OFFSET: 42
; COMPUTE_PGM_RSRC3_GFX90A:TG_SPLIT: 0
	.section	.text._ZL12mul_mat_q4_1IfLb1EEvPKvS1_PT_iiiii,"axG",@progbits,_ZL12mul_mat_q4_1IfLb1EEvPKvS1_PT_iiiii,comdat
	.globl	_ZL12mul_mat_q4_1IfLb1EEvPKvS1_PT_iiiii ; -- Begin function _ZL12mul_mat_q4_1IfLb1EEvPKvS1_PT_iiiii
	.p2align	8
	.type	_ZL12mul_mat_q4_1IfLb1EEvPKvS1_PT_iiiii,@function
_ZL12mul_mat_q4_1IfLb1EEvPKvS1_PT_iiiii: ; @_ZL12mul_mat_q4_1IfLb1EEvPKvS1_PT_iiiii
; %bb.0:
	s_load_dwordx4 s[8:11], s[0:1], 0x18
	s_load_dword s14, s[0:1], 0x28
	s_lshl_b32 s15, s3, 6
	v_bfe_u32 v45, v0, 10, 10
	s_waitcnt lgkmcnt(0)
	s_cmp_gt_i32 s8, 31
	s_cbranch_scc1 .LBB120_2
; %bb.1:
	v_bfe_u32 v1, v0, 10, 10
	v_and_b32_e32 v41, 0x3ff, v0
	v_add_u32_e32 v61, s15, v1
	s_mov_b64 s[4:5], 0
	s_mov_b32 s3, 0
	s_branch .LBB120_3
.LBB120_2:
	s_mov_b64 s[4:5], -1
                                        ; implicit-def: $sgpr3
                                        ; implicit-def: $vgpr1
                                        ; implicit-def: $vgpr41
                                        ; implicit-def: $vgpr61
.LBB120_3:
	s_load_dwordx2 s[12:13], s[0:1], 0x10
	s_lshl_b32 s6, s2, 7
	s_andn2_b64 vcc, exec, s[4:5]
	v_mov_b32_e32 v9, s3
	v_mov_b32_e32 v19, s3
	;; [unrolled: 1-line block ×32, first 2 shown]
	s_cbranch_vccnz .LBB120_13
; %bb.4:
	s_ashr_i32 s4, s8, 31
	s_load_dwordx4 s[0:3], s[0:1], 0x0
	s_lshr_b32 s4, s4, 27
	s_ashr_i32 s5, s11, 31
	s_add_i32 s4, s8, s4
	s_lshr_b32 s5, s5, 27
	s_ashr_i32 s4, s4, 5
	s_add_i32 s5, s11, s5
	s_ashr_i32 s8, s5, 5
	s_mul_i32 s5, s4, s6
	s_mul_hi_i32 s7, s5, 20
	s_mul_i32 s5, s5, 20
	s_waitcnt lgkmcnt(0)
	s_add_u32 s0, s0, s5
	s_addc_u32 s1, s1, s7
	s_not_b32 s5, s6
	s_add_i32 s9, s5, s9
	v_and_b32_e32 v41, 0x3ff, v0
	v_lshlrev_b32_e32 v0, 2, v41
	v_min_i32_e32 v1, s9, v45
	s_movk_i32 s7, 0x84
	v_add_u32_e32 v4, 8, v45
	v_mul_lo_u32 v12, v1, s4
	v_mad_u64_u32 v[14:15], s[16:17], v1, s7, v[0:1]
	v_min_i32_e32 v1, s9, v4
	v_add_u32_e32 v5, 16, v45
	v_mul_lo_u32 v16, v1, s4
	v_mad_u64_u32 v[18:19], s[16:17], v1, s7, v[0:1]
	v_min_i32_e32 v1, s9, v5
	;; [unrolled: 4-line block ×7, first 2 shown]
	v_mul_lo_u32 v40, v1, s4
	v_mad_u64_u32 v[42:43], s[16:17], v1, s7, v[0:1]
	v_add_u32_e32 v1, 64, v45
	v_min_i32_e32 v1, s9, v1
	v_mul_lo_u32 v44, v1, s4
	v_mad_u64_u32 v[46:47], s[16:17], v1, s7, v[0:1]
	v_add_u32_e32 v1, 0x48, v45
	v_min_i32_e32 v1, s9, v1
	;; [unrolled: 4-line block ×8, first 2 shown]
	v_mad_u64_u32 v[74:75], s[16:17], v1, s7, v[0:1]
	v_lshrrev_b32_e32 v75, 3, v41
	v_mul_lo_u32 v72, v1, s4
	v_lshl_add_u32 v1, v45, 2, v75
	v_min_i32_e32 v2, s9, v1
	v_ashrrev_i32_e32 v3, 31, v2
	v_lshrrev_b32_e32 v3, 30, v3
	v_and_b32_e32 v76, 7, v41
	v_mul_lo_u32 v78, v2, s4
	v_add_u32_e32 v3, v2, v3
	v_lshlrev_b32_e32 v21, 5, v2
	v_add_u32_e32 v2, 32, v1
	v_and_b32_e32 v3, -4, v3
	v_lshlrev_b32_e32 v17, 2, v76
	s_movk_i32 s11, 0x6200
	v_min_i32_e32 v2, s9, v2
	v_add3_u32 v19, v3, v17, s11
	v_ashrrev_i32_e32 v3, 31, v2
	v_lshrrev_b32_e32 v3, 30, v3
	v_mul_lo_u32 v80, v2, s4
	v_add_u32_e32 v3, v2, v3
	v_lshlrev_b32_e32 v25, 5, v2
	v_add_u32_e32 v2, 64, v1
	v_and_b32_e32 v3, -4, v3
	v_min_i32_e32 v2, s9, v2
	v_add3_u32 v23, v3, v17, s11
	v_ashrrev_i32_e32 v3, 31, v2
	v_add_u32_e32 v1, 0x60, v1
	v_lshrrev_b32_e32 v3, 30, v3
	v_min_i32_e32 v1, s9, v1
	v_mul_lo_u32 v82, v2, s4
	v_add_u32_e32 v3, v2, v3
	v_lshlrev_b32_e32 v29, 5, v2
	v_ashrrev_i32_e32 v2, 31, v1
	v_mov_b32_e32 v11, 0
	v_lshrrev_b32_e32 v2, 30, v2
	v_lshrrev_b32_e32 v8, 2, v41
	v_and_b32_e32 v10, 12, v0
	v_mul_lo_u32 v84, v1, s4
	v_add_u32_e32 v2, v1, v2
	v_lshlrev_b32_e32 v31, 5, v1
	v_and_b32_e32 v0, 28, v0
	v_mov_b32_e32 v1, v11
	v_lshl_add_u64 v[86:87], s[2:3], 0, v[0:1]
	v_lshl_add_u32 v0, v45, 3, v8
	v_and_b32_e32 v1, 63, v0
	s_add_i32 s9, s10, -1
	v_or_b32_e32 v35, s15, v1
	v_and_b32_e32 v0, 3, v41
	v_min_i32_e32 v35, s9, v35
	v_mad_u64_u32 v[88:89], s[16:17], v35, s8, v[0:1]
	v_lshlrev_b32_e32 v0, 2, v0
	v_and_b32_e32 v3, -4, v3
	v_and_b32_e32 v2, -4, v2
	v_add_u32_e32 v61, s15, v45
	v_lshl_or_b32 v0, v1, 4, v0
	v_add3_u32 v27, v3, v17, s11
	v_add3_u32 v17, v2, v17, s11
	v_cvt_f64_i32_e32 v[2:3], s9
	v_add_u32_e32 v83, 0x7280, v0
	v_cvt_f64_u32_e32 v[0:1], v61
	v_and_b32_e32 v33, 31, v41
	v_min_f64 v[0:1], v[0:1], v[2:3]
	v_cvt_i32_f64_e32 v0, v[0:1]
	v_lshlrev_b32_e32 v33, 2, v33
	v_lshlrev_b32_e32 v35, 7, v45
	v_mul_lo_u32 v85, s8, v0
	v_or_b32_e32 v0, v35, v33
	v_add_u32_e32 v89, 0x4200, v0
	v_add_u32_e32 v0, 8, v61
	v_cvt_f64_u32_e32 v[0:1], v0
	v_min_f64 v[0:1], v[0:1], v[2:3]
	v_cvt_i32_f64_e32 v0, v[0:1]
	v_mul_lo_u32 v92, s8, v0
	v_lshl_or_b32 v0, v4, 7, v33
	v_add_u32_e32 v93, 0x4200, v0
	v_add_u32_e32 v0, 16, v61
	v_cvt_f64_u32_e32 v[0:1], v0
	v_min_f64 v[0:1], v[0:1], v[2:3]
	v_cvt_i32_f64_e32 v0, v[0:1]
	v_mul_lo_u32 v94, s8, v0
	v_lshl_or_b32 v0, v5, 7, v33
	v_add_u32_e32 v95, 0x4200, v0
	v_add_u32_e32 v0, 24, v61
	v_cvt_f64_u32_e32 v[0:1], v0
	v_min_f64 v[0:1], v[0:1], v[2:3]
	v_cvt_i32_f64_e32 v0, v[0:1]
	v_mul_lo_u32 v96, s8, v0
	v_lshl_or_b32 v0, v6, 7, v33
	v_add_u32_e32 v97, 0x4200, v0
	v_add_u32_e32 v0, 32, v61
	v_cvt_f64_u32_e32 v[0:1], v0
	v_min_f64 v[0:1], v[0:1], v[2:3]
	v_cvt_i32_f64_e32 v0, v[0:1]
	v_mul_lo_u32 v98, s8, v0
	v_lshl_or_b32 v0, v7, 7, v33
	v_add_u32_e32 v99, 0x4200, v0
	v_add_u32_e32 v0, 40, v61
	v_cvt_f64_u32_e32 v[0:1], v0
	v_min_f64 v[0:1], v[0:1], v[2:3]
	v_cvt_i32_f64_e32 v0, v[0:1]
	v_mul_lo_u32 v100, s8, v0
	v_lshl_or_b32 v0, v9, 7, v33
	v_add_u32_e32 v101, 0x4200, v0
	v_add_u32_e32 v0, 48, v61
	v_cvt_f64_u32_e32 v[0:1], v0
	v_min_f64 v[0:1], v[0:1], v[2:3]
	v_cvt_i32_f64_e32 v0, v[0:1]
	v_mul_lo_u32 v102, s8, v0
	v_lshl_or_b32 v0, v13, 7, v33
	v_add_u32_e32 v103, 0x4200, v0
	v_add_u32_e32 v0, 56, v61
	v_cvt_f64_u32_e32 v[0:1], v0
	v_min_f64 v[0:1], v[0:1], v[2:3]
	v_cvt_i32_f64_e32 v0, v[0:1]
	v_mul_lo_u32 v104, s8, v0
	v_lshl_or_b32 v0, v15, 7, v33
	v_add_u32_e32 v105, 0x4200, v0
	v_add_u32_e32 v0, 32, v41
	;; [unrolled: 1-line block ×4, first 2 shown]
	v_lshlrev_b32_e32 v3, 5, v41
	v_lshrrev_b32_e32 v107, 3, v0
	v_and_b32_e32 v2, 0x1fc, v2
	v_and_b32_e32 v1, 0x1fc, v1
	;; [unrolled: 1-line block ×4, first 2 shown]
	v_add_u32_e32 v2, v3, v2
	v_add_u32_e32 v1, v3, v1
	v_add_u32_e32 v0, v3, v0
	v_add_u32_e32 v3, v3, v4
	v_mov_b32_e32 v4, 0x7280
	s_mov_b32 s5, 0
	v_mul_u32_u24_e32 v106, 0x84, v41
	v_add_u32_e32 v108, 0x6e00, v2
	v_add_u32_e32 v109, 0x6a00, v1
	v_add_u32_e32 v110, 0x6600, v0
	v_add_u32_e32 v111, 0x6200, v3
	v_add_u32_e32 v112, 0x4200, v35
	v_lshl_add_u32 v113, v45, 4, v4
	v_add_u32_e32 v114, 0x6e10, v2
	v_add_u32_e32 v115, 0x6a10, v1
	;; [unrolled: 1-line block ×4, first 2 shown]
	v_mad_u32_u24 v118, v41, s7, 64
	v_add_u32_e32 v119, v19, v21
	v_add_u32_e32 v120, v23, v25
	;; [unrolled: 1-line block ×4, first 2 shown]
	v_mov_b32_e32 v81, v11
	v_mov_b32_e32 v71, v11
	;; [unrolled: 1-line block ×32, first 2 shown]
	s_branch .LBB120_6
.LBB120_5:                              ;   in Loop: Header=BB120_6 Depth=1
	s_add_i32 s5, s5, 8
	s_cmp_ge_i32 s5, s4
	s_cbranch_scc1 .LBB120_12
.LBB120_6:                              ; =>This Loop Header: Depth=1
                                        ;     Child Loop BB120_7 Depth 2
                                        ;     Child Loop BB120_10 Depth 2
	s_mul_i32 s8, s5, 20
	s_mul_hi_u32 s7, s5, 20
	s_add_u32 s8, s0, s8
	s_addc_u32 s9, s1, s7
	v_mad_u64_u32 v[0:1], s[16:17], v8, 20, s[8:9]
	v_lshl_add_u64 v[0:1], v[0:1], 0, v[10:11]
	v_lshl_add_u64 v[0:1], v[0:1], 0, 4
	v_mad_i64_i32 v[2:3], s[16:17], v12, 20, v[0:1]
	v_mad_i64_i32 v[4:5], s[16:17], v16, 20, v[0:1]
	;; [unrolled: 1-line block ×8, first 2 shown]
	global_load_dword v132, v[2:3], off
	global_load_dword v133, v[4:5], off
	;; [unrolled: 1-line block ×7, first 2 shown]
                                        ; kill: killed $vgpr128_vgpr129
                                        ; kill: killed $vgpr126_vgpr127
	s_nop 0
	global_load_dword v130, v[130:131], off
	v_mad_i64_i32 v[2:3], s[16:17], v44, 20, v[0:1]
	v_mad_i64_i32 v[4:5], s[16:17], v48, 20, v[0:1]
	;; [unrolled: 1-line block ×8, first 2 shown]
	global_load_dword v131, v[2:3], off
	global_load_dword v139, v[4:5], off
	;; [unrolled: 1-line block ×8, first 2 shown]
	v_mad_u64_u32 v[0:1], s[8:9], v76, 20, s[8:9]
	v_mad_i64_i32 v[2:3], s[8:9], v78, 20, v[0:1]
	v_mad_i64_i32 v[4:5], s[8:9], v80, 20, v[0:1]
	;; [unrolled: 1-line block ×4, first 2 shown]
	v_add_u32_e32 v128, s5, v75
	global_load_dword v146, v[2:3], off
	global_load_dword v147, v[4:5], off
	;; [unrolled: 1-line block ×4, first 2 shown]
	v_add_u32_e32 v0, v128, v85
	v_add_u32_e32 v2, v128, v92
	;; [unrolled: 1-line block ×5, first 2 shown]
	v_mad_i64_i32 v[0:1], s[8:9], v0, 36, v[86:87]
	v_mad_i64_i32 v[2:3], s[8:9], v2, 36, v[86:87]
	;; [unrolled: 1-line block ×5, first 2 shown]
	v_add_u32_e32 v124, v128, v100
	v_add_u32_e32 v126, v128, v102
	;; [unrolled: 1-line block ×3, first 2 shown]
	v_mad_i64_i32 v[124:125], s[8:9], v124, 36, v[86:87]
	v_mad_i64_i32 v[126:127], s[8:9], v126, 36, v[86:87]
	;; [unrolled: 1-line block ×3, first 2 shown]
	global_load_dword v150, v[0:1], off offset:4
	s_nop 0
	global_load_dword v2, v[2:3], off offset:4
	s_nop 0
	global_load_dword v3, v[4:5], off offset:4
	s_nop 0
	global_load_dword v4, v[6:7], off offset:4
	global_load_dword v5, v[90:91], off offset:4
	s_nop 0
	global_load_dword v6, v[124:125], off offset:4
	global_load_dword v7, v[126:127], off offset:4
	;; [unrolled: 1-line block ×3, first 2 shown]
	v_add_u32_e32 v123, s5, v88
	v_mad_u64_u32 v[0:1], s[8:9], v123, 36, s[2:3]
	global_load_dword v0, v[0:1], off
	v_mov_b32_e32 v124, v113
	v_mov_b32_e32 v125, v112
	s_mov_b32 s7, -4
	v_mov_b32_e32 v126, v106
	v_mov_b32_e32 v127, v111
	;; [unrolled: 1-line block ×4, first 2 shown]
	s_waitcnt vmcnt(28)
	ds_write_b32 v14, v132
	s_waitcnt vmcnt(27)
	ds_write_b32 v18, v133
	;; [unrolled: 2-line block ×29, first 2 shown]
	v_mov_b32_e32 v130, v108
	s_waitcnt lgkmcnt(0)
	s_barrier
.LBB120_7:                              ;   Parent Loop BB120_6 Depth=1
                                        ; =>  This Inner Loop Header: Depth=2
	ds_read_b128 v[0:3], v125
	ds_read_b128 v[4:7], v125 offset:16
	ds_read2_b32 v[90:91], v124 offset1:32
	ds_read_b32 v131, v127
	ds_read2_b32 v[134:135], v126 offset1:1
	ds_read2_b32 v[138:139], v126 offset0:2 offset1:3
	v_mov_b32_e32 v140, 0
	v_mov_b32_e32 v150, 0
	s_waitcnt lgkmcnt(2)
	v_pk_mul_f16 v141, v90, v131
	s_waitcnt lgkmcnt(1)
	v_and_b32_e32 v132, 0xf0f0f0f, v134
	v_lshrrev_b32_e32 v133, 4, v134
	v_and_b32_e32 v133, 0xf0f0f0f, v133
	v_dot4c_i32_i8_e32 v140, v132, v0
	v_dot4c_i32_i8_e32 v140, v133, v4
	v_and_b32_e32 v134, 0xf0f0f0f, v135
	v_lshrrev_b32_e32 v135, 4, v135
	v_and_b32_e32 v135, 0xf0f0f0f, v135
	v_dot4c_i32_i8_e32 v140, v134, v1
	v_dot4c_i32_i8_e32 v140, v135, v5
	s_waitcnt lgkmcnt(0)
	v_and_b32_e32 v136, 0xf0f0f0f, v138
	v_lshrrev_b32_e32 v137, 4, v138
	v_and_b32_e32 v137, 0xf0f0f0f, v137
	v_dot4c_i32_i8_e32 v140, v136, v2
	v_dot4c_i32_i8_e32 v140, v137, v6
	v_and_b32_e32 v138, 0xf0f0f0f, v139
	v_lshrrev_b32_e32 v139, 4, v139
	v_and_b32_e32 v139, 0xf0f0f0f, v139
	v_dot4c_i32_i8_e32 v140, v138, v3
	v_dot4c_i32_i8_e32 v140, v139, v7
	v_add_u32_e32 v154, 0x2108, v126
	v_mov_b32_e32 v156, 0
	v_mov_b32_e32 v163, 0
	v_cvt_f32_i32_e32 v140, v140
	s_add_i32 s7, s7, 4
	v_add_u32_e32 v127, 4, v127
	s_cmp_lt_u32 s7, 12
	v_fma_mix_f32 v140, v141, v140, v141 op_sel:[0,0,1] op_sel_hi:[1,0,1]
	v_add_u32_e32 v141, 0x1080, v126
	v_add_f32_e32 v81, v81, v140
	ds_read_b32 v140, v128
	ds_read2_b32 v[144:145], v141 offset1:1
	v_add_u32_e32 v128, 4, v128
	s_waitcnt lgkmcnt(0)
	v_and_b32_e32 v141, 0xf0f0f0f, v144
	v_lshrrev_b32_e32 v142, 4, v144
	v_and_b32_e32 v143, 0xf0f0f0f, v145
	v_lshrrev_b32_e32 v144, 4, v145
	v_add_u32_e32 v145, 0x1088, v126
	ds_read2_b32 v[146:147], v145 offset1:1
	v_and_b32_e32 v142, 0xf0f0f0f, v142
	v_dot4c_i32_i8_e32 v150, v141, v0
	v_dot4c_i32_i8_e32 v150, v142, v4
	v_and_b32_e32 v144, 0xf0f0f0f, v144
	v_dot4c_i32_i8_e32 v150, v143, v1
	v_dot4c_i32_i8_e32 v150, v144, v5
	s_waitcnt lgkmcnt(0)
	v_and_b32_e32 v145, 0xf0f0f0f, v146
	v_lshrrev_b32_e32 v146, 4, v146
	v_and_b32_e32 v146, 0xf0f0f0f, v146
	v_dot4c_i32_i8_e32 v150, v145, v2
	v_dot4c_i32_i8_e32 v150, v146, v6
	v_and_b32_e32 v148, 0xf0f0f0f, v147
	v_lshrrev_b32_e32 v147, 4, v147
	v_and_b32_e32 v149, 0xf0f0f0f, v147
	v_dot4c_i32_i8_e32 v150, v148, v3
	v_dot4c_i32_i8_e32 v150, v149, v7
	v_pk_mul_f16 v147, v90, v140
	s_nop 1
	v_cvt_f32_i32_e32 v150, v150
	v_fma_mix_f32 v147, v147, v150, v147 op_sel:[0,0,1] op_sel_hi:[1,0,1]
	s_nop 0
	v_add_f32_e32 v79, v79, v147
	v_add_u32_e32 v150, 0x2100, v126
	ds_read_b32 v147, v129
	ds_read2_b32 v[152:153], v150 offset1:1
	ds_read2_b32 v[158:159], v154 offset1:1
	v_add_u32_e32 v129, 4, v129
	s_waitcnt lgkmcnt(1)
	v_and_b32_e32 v150, 0xf0f0f0f, v152
	v_lshrrev_b32_e32 v151, 4, v152
	v_and_b32_e32 v151, 0xf0f0f0f, v151
	v_dot4c_i32_i8_e32 v156, v150, v0
	v_dot4c_i32_i8_e32 v156, v151, v4
	v_and_b32_e32 v152, 0xf0f0f0f, v153
	v_lshrrev_b32_e32 v153, 4, v153
	v_and_b32_e32 v153, 0xf0f0f0f, v153
	v_dot4c_i32_i8_e32 v156, v152, v1
	v_dot4c_i32_i8_e32 v156, v153, v5
	s_waitcnt lgkmcnt(0)
	v_and_b32_e32 v154, 0xf0f0f0f, v158
	v_lshrrev_b32_e32 v155, 4, v158
	v_and_b32_e32 v155, 0xf0f0f0f, v155
	v_dot4c_i32_i8_e32 v156, v154, v2
	v_dot4c_i32_i8_e32 v156, v155, v6
	v_and_b32_e32 v157, 0xf0f0f0f, v159
	v_lshrrev_b32_e32 v158, 4, v159
	v_and_b32_e32 v158, 0xf0f0f0f, v158
	v_dot4c_i32_i8_e32 v156, v157, v3
	v_dot4c_i32_i8_e32 v156, v158, v7
	v_pk_mul_f16 v159, v90, v147
	s_nop 1
	v_cvt_f32_i32_e32 v156, v156
	v_fma_mix_f32 v156, v159, v156, v159 op_sel:[0,0,1] op_sel_hi:[1,0,1]
	s_nop 0
	v_add_f32_e32 v77, v77, v156
	v_add_u32_e32 v159, 0x3180, v126
	ds_read_b32 v156, v130
	ds_read2_b32 v[160:161], v159 offset1:1
	v_add_u32_e32 v130, 4, v130
	s_waitcnt lgkmcnt(0)
	v_and_b32_e32 v159, 0xf0f0f0f, v160
	v_lshrrev_b32_e32 v160, 4, v160
	v_and_b32_e32 v160, 0xf0f0f0f, v160
	v_dot4c_i32_i8_e32 v163, v159, v0
	v_lshrrev_b32_e32 v0, 4, v161
	v_dot4c_i32_i8_e32 v163, v160, v4
	v_and_b32_e32 v4, 0xf0f0f0f, v161
	v_and_b32_e32 v161, 0xf0f0f0f, v0
	v_add_u32_e32 v0, 0x3188, v126
	v_dot4c_i32_i8_e32 v163, v4, v1
	ds_read2_b32 v[0:1], v0 offset1:1
	v_dot4c_i32_i8_e32 v163, v161, v5
	ds_read_b128 v[164:167], v125 offset:1024
	ds_read_b128 v[168:171], v125 offset:1040
	v_add_u32_e32 v126, 16, v126
	s_waitcnt lgkmcnt(2)
	v_and_b32_e32 v5, 0xf0f0f0f, v0
	v_lshrrev_b32_e32 v0, 4, v0
	v_and_b32_e32 v162, 0xf0f0f0f, v0
	v_dot4c_i32_i8_e32 v163, v5, v2
	v_dot4c_i32_i8_e32 v163, v162, v6
	v_and_b32_e32 v2, 0xf0f0f0f, v1
	v_lshrrev_b32_e32 v0, 4, v1
	v_and_b32_e32 v6, 0xf0f0f0f, v0
	v_dot4c_i32_i8_e32 v163, v2, v3
	v_dot4c_i32_i8_e32 v163, v6, v7
	v_pk_mul_f16 v0, v90, v156
	v_mov_b32_e32 v3, 0
	s_nop 0
	v_cvt_f32_i32_e32 v1, v163
	v_fma_mix_f32 v0, v0, v1, v0 op_sel:[0,0,1] op_sel_hi:[1,0,1]
	s_nop 0
	v_add_f32_e32 v73, v73, v0
	v_mov_b32_e32 v0, 0
	s_waitcnt lgkmcnt(1)
	v_dot4c_i32_i8_e32 v0, v132, v164
	s_waitcnt lgkmcnt(0)
	v_dot4c_i32_i8_e32 v0, v133, v168
	v_dot4c_i32_i8_e32 v0, v134, v165
	v_dot4c_i32_i8_e32 v0, v135, v169
	v_dot4c_i32_i8_e32 v0, v136, v166
	v_dot4c_i32_i8_e32 v0, v137, v170
	v_dot4c_i32_i8_e32 v0, v138, v167
	v_dot4c_i32_i8_e32 v0, v139, v171
	v_pk_mul_f16 v1, v131, v91
	s_nop 1
	v_cvt_f32_i32_e32 v0, v0
	v_fma_mix_f32 v0, v0, v1, v1 op_sel:[0,0,1] op_sel_hi:[0,1,1]
	v_add_f32_e32 v71, v71, v0
	v_mov_b32_e32 v0, 0
	v_dot4c_i32_i8_e32 v0, v141, v164
	v_dot4c_i32_i8_e32 v0, v142, v168
	v_dot4c_i32_i8_e32 v0, v143, v165
	v_dot4c_i32_i8_e32 v0, v144, v169
	v_dot4c_i32_i8_e32 v0, v145, v166
	v_dot4c_i32_i8_e32 v0, v146, v170
	v_dot4c_i32_i8_e32 v0, v148, v167
	v_dot4c_i32_i8_e32 v0, v149, v171
	v_pk_mul_f16 v1, v140, v91
	s_nop 1
	v_cvt_f32_i32_e32 v0, v0
	v_fma_mix_f32 v0, v0, v1, v1 op_sel:[0,0,1] op_sel_hi:[0,1,1]
	v_add_f32_e32 v69, v69, v0
	v_mov_b32_e32 v0, 0
	v_dot4c_i32_i8_e32 v0, v150, v164
	;; [unrolled: 14-line block ×3, first 2 shown]
	v_dot4c_i32_i8_e32 v0, v160, v168
	v_dot4c_i32_i8_e32 v0, v4, v165
	;; [unrolled: 1-line block ×7, first 2 shown]
	v_pk_mul_f16 v1, v156, v91
	s_nop 1
	v_cvt_f32_i32_e32 v0, v0
	v_fma_mix_f32 v0, v0, v1, v1 op_sel:[0,0,1] op_sel_hi:[0,1,1]
	v_add_f32_e32 v65, v65, v0
	ds_read_b128 v[164:167], v125 offset:2048
	ds_read_b128 v[168:171], v125 offset:2064
	ds_read2_b32 v[0:1], v124 offset0:64 offset1:96
	s_waitcnt lgkmcnt(2)
	v_dot4c_i32_i8_e32 v3, v132, v164
	s_waitcnt lgkmcnt(1)
	v_dot4c_i32_i8_e32 v3, v133, v168
	v_dot4c_i32_i8_e32 v3, v134, v165
	;; [unrolled: 1-line block ×7, first 2 shown]
	s_waitcnt lgkmcnt(0)
	v_pk_mul_f16 v7, v131, v0
	s_nop 0
	v_cvt_f32_i32_e32 v3, v3
	v_fma_mix_f32 v3, v3, v7, v7 op_sel:[0,0,1] op_sel_hi:[0,1,1]
	v_add_f32_e32 v63, v63, v3
	v_mov_b32_e32 v3, 0
	v_dot4c_i32_i8_e32 v3, v141, v164
	v_dot4c_i32_i8_e32 v3, v142, v168
	;; [unrolled: 1-line block ×8, first 2 shown]
	v_pk_mul_f16 v7, v140, v0
	s_nop 1
	v_cvt_f32_i32_e32 v3, v3
	v_fma_mix_f32 v3, v3, v7, v7 op_sel:[0,0,1] op_sel_hi:[0,1,1]
	v_add_f32_e32 v59, v59, v3
	v_mov_b32_e32 v3, 0
	v_dot4c_i32_i8_e32 v3, v150, v164
	v_dot4c_i32_i8_e32 v3, v151, v168
	;; [unrolled: 1-line block ×8, first 2 shown]
	v_pk_mul_f16 v7, v147, v0
	v_pk_mul_f16 v0, v156, v0
	s_nop 0
	v_cvt_f32_i32_e32 v3, v3
	v_fma_mix_f32 v3, v3, v7, v7 op_sel:[0,0,1] op_sel_hi:[0,1,1]
	v_add_f32_e32 v57, v57, v3
	v_mov_b32_e32 v3, 0
	v_dot4c_i32_i8_e32 v3, v159, v164
	v_dot4c_i32_i8_e32 v3, v160, v168
	;; [unrolled: 1-line block ×8, first 2 shown]
	ds_read_b128 v[164:167], v125 offset:3072
	ds_read_b128 v[168:171], v125 offset:3088
	s_nop 0
	v_cvt_f32_i32_e32 v3, v3
	v_fma_mix_f32 v0, v3, v0, v0 op_sel:[0,0,1] op_sel_hi:[0,1,1]
	v_add_f32_e32 v55, v55, v0
	v_mov_b32_e32 v0, 0
	s_waitcnt lgkmcnt(1)
	v_dot4c_i32_i8_e32 v0, v132, v164
	s_waitcnt lgkmcnt(0)
	v_dot4c_i32_i8_e32 v0, v133, v168
	v_dot4c_i32_i8_e32 v0, v134, v165
	;; [unrolled: 1-line block ×7, first 2 shown]
	v_pk_mul_f16 v3, v131, v1
	s_nop 1
	v_cvt_f32_i32_e32 v0, v0
	v_fma_mix_f32 v0, v0, v3, v3 op_sel:[0,0,1] op_sel_hi:[0,1,1]
	v_add_f32_e32 v53, v53, v0
	v_mov_b32_e32 v0, 0
	v_dot4c_i32_i8_e32 v0, v141, v164
	v_dot4c_i32_i8_e32 v0, v142, v168
	;; [unrolled: 1-line block ×8, first 2 shown]
	v_pk_mul_f16 v3, v140, v1
	s_nop 1
	v_cvt_f32_i32_e32 v0, v0
	v_fma_mix_f32 v0, v0, v3, v3 op_sel:[0,0,1] op_sel_hi:[0,1,1]
	v_add_f32_e32 v51, v51, v0
	v_mov_b32_e32 v0, 0
	v_dot4c_i32_i8_e32 v0, v150, v164
	v_dot4c_i32_i8_e32 v0, v151, v168
	;; [unrolled: 1-line block ×8, first 2 shown]
	v_pk_mul_f16 v3, v147, v1
	v_pk_mul_f16 v1, v156, v1
	s_nop 0
	v_cvt_f32_i32_e32 v0, v0
	v_fma_mix_f32 v0, v0, v3, v3 op_sel:[0,0,1] op_sel_hi:[0,1,1]
	v_add_f32_e32 v49, v49, v0
	v_mov_b32_e32 v0, 0
	v_dot4c_i32_i8_e32 v0, v159, v164
	v_dot4c_i32_i8_e32 v0, v160, v168
	;; [unrolled: 1-line block ×8, first 2 shown]
	v_mov_b32_e32 v3, 0
	s_nop 1
	v_cvt_f32_i32_e32 v0, v0
	v_fma_mix_f32 v0, v0, v1, v1 op_sel:[0,0,1] op_sel_hi:[0,1,1]
	v_add_f32_e32 v47, v47, v0
	ds_read_b128 v[164:167], v125 offset:4096
	ds_read_b128 v[168:171], v125 offset:4112
	ds_read2_b32 v[0:1], v124 offset0:128 offset1:160
	s_waitcnt lgkmcnt(2)
	v_dot4c_i32_i8_e32 v3, v132, v164
	s_waitcnt lgkmcnt(1)
	v_dot4c_i32_i8_e32 v3, v133, v168
	v_dot4c_i32_i8_e32 v3, v134, v165
	v_dot4c_i32_i8_e32 v3, v135, v169
	v_dot4c_i32_i8_e32 v3, v136, v166
	v_dot4c_i32_i8_e32 v3, v137, v170
	v_dot4c_i32_i8_e32 v3, v138, v167
	v_dot4c_i32_i8_e32 v3, v139, v171
	s_waitcnt lgkmcnt(0)
	v_pk_mul_f16 v7, v131, v0
	s_nop 0
	v_cvt_f32_i32_e32 v3, v3
	v_fma_mix_f32 v3, v3, v7, v7 op_sel:[0,0,1] op_sel_hi:[0,1,1]
	v_add_f32_e32 v43, v43, v3
	v_mov_b32_e32 v3, 0
	v_dot4c_i32_i8_e32 v3, v141, v164
	v_dot4c_i32_i8_e32 v3, v142, v168
	;; [unrolled: 1-line block ×8, first 2 shown]
	v_pk_mul_f16 v7, v140, v0
	s_nop 1
	v_cvt_f32_i32_e32 v3, v3
	v_fma_mix_f32 v3, v3, v7, v7 op_sel:[0,0,1] op_sel_hi:[0,1,1]
	v_add_f32_e32 v39, v39, v3
	v_mov_b32_e32 v3, 0
	v_dot4c_i32_i8_e32 v3, v150, v164
	v_dot4c_i32_i8_e32 v3, v151, v168
	;; [unrolled: 1-line block ×8, first 2 shown]
	v_pk_mul_f16 v7, v147, v0
	v_pk_mul_f16 v0, v156, v0
	s_nop 0
	v_cvt_f32_i32_e32 v3, v3
	v_fma_mix_f32 v3, v3, v7, v7 op_sel:[0,0,1] op_sel_hi:[0,1,1]
	v_add_f32_e32 v37, v37, v3
	v_mov_b32_e32 v3, 0
	v_dot4c_i32_i8_e32 v3, v159, v164
	v_dot4c_i32_i8_e32 v3, v160, v168
	;; [unrolled: 1-line block ×8, first 2 shown]
	ds_read_b128 v[164:167], v125 offset:5120
	ds_read_b128 v[168:171], v125 offset:5136
	s_nop 0
	v_cvt_f32_i32_e32 v3, v3
	v_fma_mix_f32 v0, v3, v0, v0 op_sel:[0,0,1] op_sel_hi:[0,1,1]
	v_add_f32_e32 v35, v35, v0
	v_mov_b32_e32 v0, 0
	s_waitcnt lgkmcnt(1)
	v_dot4c_i32_i8_e32 v0, v132, v164
	s_waitcnt lgkmcnt(0)
	v_dot4c_i32_i8_e32 v0, v133, v168
	v_dot4c_i32_i8_e32 v0, v134, v165
	;; [unrolled: 1-line block ×7, first 2 shown]
	v_pk_mul_f16 v3, v131, v1
	s_nop 1
	v_cvt_f32_i32_e32 v0, v0
	v_fma_mix_f32 v0, v0, v3, v3 op_sel:[0,0,1] op_sel_hi:[0,1,1]
	v_add_f32_e32 v33, v33, v0
	v_mov_b32_e32 v0, 0
	v_dot4c_i32_i8_e32 v0, v141, v164
	v_dot4c_i32_i8_e32 v0, v142, v168
	v_dot4c_i32_i8_e32 v0, v143, v165
	v_dot4c_i32_i8_e32 v0, v144, v169
	v_dot4c_i32_i8_e32 v0, v145, v166
	v_dot4c_i32_i8_e32 v0, v146, v170
	v_dot4c_i32_i8_e32 v0, v148, v167
	v_dot4c_i32_i8_e32 v0, v149, v171
	v_pk_mul_f16 v3, v140, v1
	s_nop 1
	v_cvt_f32_i32_e32 v0, v0
	v_fma_mix_f32 v0, v0, v3, v3 op_sel:[0,0,1] op_sel_hi:[0,1,1]
	v_add_f32_e32 v31, v31, v0
	v_mov_b32_e32 v0, 0
	v_dot4c_i32_i8_e32 v0, v150, v164
	v_dot4c_i32_i8_e32 v0, v151, v168
	;; [unrolled: 1-line block ×8, first 2 shown]
	v_pk_mul_f16 v3, v147, v1
	v_pk_mul_f16 v1, v156, v1
	s_nop 0
	v_cvt_f32_i32_e32 v0, v0
	v_fma_mix_f32 v0, v0, v3, v3 op_sel:[0,0,1] op_sel_hi:[0,1,1]
	v_add_f32_e32 v29, v29, v0
	v_mov_b32_e32 v0, 0
	v_dot4c_i32_i8_e32 v0, v159, v164
	v_dot4c_i32_i8_e32 v0, v160, v168
	;; [unrolled: 1-line block ×8, first 2 shown]
	v_mov_b32_e32 v3, 0
	s_nop 1
	v_cvt_f32_i32_e32 v0, v0
	v_fma_mix_f32 v0, v0, v1, v1 op_sel:[0,0,1] op_sel_hi:[0,1,1]
	v_add_f32_e32 v27, v27, v0
	ds_read_b128 v[164:167], v125 offset:6144
	ds_read_b128 v[168:171], v125 offset:6160
	ds_read2_b32 v[0:1], v124 offset0:192 offset1:224
	v_add_u32_e32 v124, 4, v124
	s_waitcnt lgkmcnt(2)
	v_dot4c_i32_i8_e32 v3, v132, v164
	s_waitcnt lgkmcnt(1)
	v_dot4c_i32_i8_e32 v3, v133, v168
	v_dot4c_i32_i8_e32 v3, v134, v165
	;; [unrolled: 1-line block ×7, first 2 shown]
	s_waitcnt lgkmcnt(0)
	v_pk_mul_f16 v7, v131, v0
	s_nop 0
	v_cvt_f32_i32_e32 v3, v3
	v_fma_mix_f32 v3, v3, v7, v7 op_sel:[0,0,1] op_sel_hi:[0,1,1]
	v_add_f32_e32 v25, v25, v3
	v_mov_b32_e32 v3, 0
	v_dot4c_i32_i8_e32 v3, v141, v164
	v_dot4c_i32_i8_e32 v3, v142, v168
	;; [unrolled: 1-line block ×8, first 2 shown]
	v_pk_mul_f16 v7, v140, v0
	s_nop 1
	v_cvt_f32_i32_e32 v3, v3
	v_fma_mix_f32 v3, v3, v7, v7 op_sel:[0,0,1] op_sel_hi:[0,1,1]
	v_add_f32_e32 v23, v23, v3
	v_mov_b32_e32 v3, 0
	v_dot4c_i32_i8_e32 v3, v150, v164
	v_dot4c_i32_i8_e32 v3, v151, v168
	;; [unrolled: 1-line block ×8, first 2 shown]
	v_pk_mul_f16 v7, v147, v0
	v_pk_mul_f16 v0, v156, v0
	s_nop 0
	v_cvt_f32_i32_e32 v3, v3
	v_fma_mix_f32 v3, v3, v7, v7 op_sel:[0,0,1] op_sel_hi:[0,1,1]
	v_add_f32_e32 v21, v21, v3
	v_mov_b32_e32 v3, 0
	v_dot4c_i32_i8_e32 v3, v159, v164
	v_dot4c_i32_i8_e32 v3, v160, v168
	;; [unrolled: 1-line block ×8, first 2 shown]
	ds_read_b128 v[164:167], v125 offset:7168
	ds_read_b128 v[168:171], v125 offset:7184
	v_add_u32_e32 v125, 32, v125
	v_cvt_f32_i32_e32 v3, v3
	v_fma_mix_f32 v0, v3, v0, v0 op_sel:[0,0,1] op_sel_hi:[0,1,1]
	v_add_f32_e32 v19, v19, v0
	v_mov_b32_e32 v0, 0
	s_waitcnt lgkmcnt(1)
	v_dot4c_i32_i8_e32 v0, v132, v164
	s_waitcnt lgkmcnt(0)
	v_dot4c_i32_i8_e32 v0, v133, v168
	v_dot4c_i32_i8_e32 v0, v134, v165
	;; [unrolled: 1-line block ×7, first 2 shown]
	v_pk_mul_f16 v3, v131, v1
	s_nop 1
	v_cvt_f32_i32_e32 v0, v0
	v_fma_mix_f32 v0, v0, v3, v3 op_sel:[0,0,1] op_sel_hi:[0,1,1]
	v_add_f32_e32 v17, v17, v0
	v_mov_b32_e32 v0, 0
	v_dot4c_i32_i8_e32 v0, v141, v164
	v_dot4c_i32_i8_e32 v0, v142, v168
	;; [unrolled: 1-line block ×8, first 2 shown]
	v_pk_mul_f16 v3, v140, v1
	s_nop 1
	v_cvt_f32_i32_e32 v0, v0
	v_fma_mix_f32 v0, v0, v3, v3 op_sel:[0,0,1] op_sel_hi:[0,1,1]
	v_add_f32_e32 v15, v15, v0
	v_mov_b32_e32 v0, 0
	v_dot4c_i32_i8_e32 v0, v150, v164
	v_dot4c_i32_i8_e32 v0, v151, v168
	;; [unrolled: 1-line block ×8, first 2 shown]
	v_pk_mul_f16 v3, v147, v1
	v_pk_mul_f16 v1, v156, v1
	s_nop 0
	v_cvt_f32_i32_e32 v0, v0
	v_fma_mix_f32 v0, v0, v3, v3 op_sel:[0,0,1] op_sel_hi:[0,1,1]
	v_add_f32_e32 v13, v13, v0
	v_mov_b32_e32 v0, 0
	v_dot4c_i32_i8_e32 v0, v159, v164
	v_dot4c_i32_i8_e32 v0, v160, v168
	v_dot4c_i32_i8_e32 v0, v4, v165
	v_dot4c_i32_i8_e32 v0, v161, v169
	v_dot4c_i32_i8_e32 v0, v5, v166
	v_dot4c_i32_i8_e32 v0, v162, v170
	v_dot4c_i32_i8_e32 v0, v2, v167
	v_dot4c_i32_i8_e32 v0, v6, v171
	s_nop 2
	v_cvt_f32_i32_e32 v0, v0
	v_fma_mix_f32 v0, v0, v1, v1 op_sel:[0,0,1] op_sel_hi:[0,1,1]
	v_add_f32_e32 v9, v9, v0
	s_cbranch_scc1 .LBB120_7
; %bb.8:                                ;   in Loop: Header=BB120_6 Depth=1
	s_or_b32 s7, s5, 4
	s_cmp_ge_i32 s7, s4
	s_barrier
	s_cbranch_scc1 .LBB120_5
; %bb.9:                                ;   in Loop: Header=BB120_6 Depth=1
	v_add_u32_e32 v128, s5, v107
	v_add_u32_e32 v0, v128, v85
	;; [unrolled: 1-line block ×6, first 2 shown]
	v_mad_i64_i32 v[0:1], s[8:9], v0, 36, v[86:87]
	v_mad_i64_i32 v[2:3], s[8:9], v2, 36, v[86:87]
	;; [unrolled: 1-line block ×5, first 2 shown]
	v_add_u32_e32 v124, v128, v100
	v_add_u32_e32 v126, v128, v102
	;; [unrolled: 1-line block ×3, first 2 shown]
	v_mad_i64_i32 v[124:125], s[8:9], v124, 36, v[86:87]
	v_mad_i64_i32 v[126:127], s[8:9], v126, 36, v[86:87]
	;; [unrolled: 1-line block ×3, first 2 shown]
	global_load_dword v130, v[0:1], off offset:4
	s_nop 0
	global_load_dword v2, v[2:3], off offset:4
	s_nop 0
	;; [unrolled: 2-line block ×3, first 2 shown]
	global_load_dword v4, v[6:7], off offset:4
	global_load_dword v5, v[90:91], off offset:4
	s_nop 0
	global_load_dword v6, v[124:125], off offset:4
                                        ; kill: killed $vgpr124_vgpr125
                                        ; kill: killed $vgpr90_vgpr91
	global_load_dword v7, v[126:127], off offset:4
	global_load_dword v90, v[128:129], off offset:4
	v_add_u32_e32 v0, 4, v123
	v_mad_u64_u32 v[0:1], s[8:9], v0, 36, s[2:3]
	global_load_dword v0, v[0:1], off
	s_mov_b32 s7, 12
	v_mov_b32_e32 v123, v113
	v_mov_b32_e32 v124, v112
	;; [unrolled: 1-line block ×7, first 2 shown]
	s_waitcnt vmcnt(8)
	ds_write_b32 v89, v130
	s_waitcnt vmcnt(7)
	ds_write_b32 v93, v2
	;; [unrolled: 2-line block ×9, first 2 shown]
	s_waitcnt lgkmcnt(0)
	s_barrier
.LBB120_10:                             ;   Parent Loop BB120_6 Depth=1
                                        ; =>  This Inner Loop Header: Depth=2
	ds_read_b128 v[0:3], v124
	ds_read_b128 v[4:7], v124 offset:16
	ds_read2_b32 v[90:91], v123 offset1:32
	ds_read_b32 v130, v126
	ds_read2_b32 v[134:135], v125 offset1:1
	ds_read2_b32 v[138:139], v125 offset0:2 offset1:3
	v_mov_b32_e32 v140, 0
	v_add_u32_e32 v144, 0x1088, v125
	v_mov_b32_e32 v146, 0
	s_waitcnt lgkmcnt(1)
	v_and_b32_e32 v131, 0xf0f0f0f, v134
	v_lshrrev_b32_e32 v132, 4, v134
	v_and_b32_e32 v132, 0xf0f0f0f, v132
	v_dot4c_i32_i8_e32 v140, v131, v0
	v_dot4c_i32_i8_e32 v140, v132, v4
	v_and_b32_e32 v133, 0xf0f0f0f, v135
	v_lshrrev_b32_e32 v134, 4, v135
	v_and_b32_e32 v134, 0xf0f0f0f, v134
	v_dot4c_i32_i8_e32 v140, v133, v1
	v_dot4c_i32_i8_e32 v140, v134, v5
	s_waitcnt lgkmcnt(0)
	v_and_b32_e32 v135, 0xf0f0f0f, v138
	v_lshrrev_b32_e32 v136, 4, v138
	v_and_b32_e32 v136, 0xf0f0f0f, v136
	v_dot4c_i32_i8_e32 v140, v135, v2
	v_dot4c_i32_i8_e32 v140, v136, v6
	v_and_b32_e32 v137, 0xf0f0f0f, v139
	v_lshrrev_b32_e32 v138, 4, v139
	v_and_b32_e32 v138, 0xf0f0f0f, v138
	v_dot4c_i32_i8_e32 v140, v137, v3
	v_dot4c_i32_i8_e32 v140, v138, v7
	v_pk_mul_f16 v139, v90, v130
	v_mov_b32_e32 v158, 0
	v_mov_b32_e32 v162, 0
	v_cvt_f32_i32_e32 v140, v140
	s_add_i32 s7, s7, 4
	v_add_u32_e32 v126, 4, v126
	s_cmp_lt_u32 s7, 28
	v_fma_mix_f32 v139, v139, v140, v139 op_sel:[0,0,1] op_sel_hi:[1,0,1]
	v_add_u32_e32 v140, 0x1080, v125
	v_add_f32_e32 v81, v81, v139
	ds_read_b32 v139, v127
	ds_read2_b32 v[142:143], v140 offset1:1
	ds_read2_b32 v[148:149], v144 offset1:1
	v_add_u32_e32 v127, 4, v127
	s_waitcnt lgkmcnt(1)
	v_and_b32_e32 v140, 0xf0f0f0f, v142
	v_lshrrev_b32_e32 v141, 4, v142
	v_and_b32_e32 v141, 0xf0f0f0f, v141
	v_dot4c_i32_i8_e32 v146, v140, v0
	v_dot4c_i32_i8_e32 v146, v141, v4
	v_and_b32_e32 v142, 0xf0f0f0f, v143
	v_lshrrev_b32_e32 v143, 4, v143
	v_and_b32_e32 v143, 0xf0f0f0f, v143
	v_dot4c_i32_i8_e32 v146, v142, v1
	v_dot4c_i32_i8_e32 v146, v143, v5
	s_waitcnt lgkmcnt(0)
	v_and_b32_e32 v144, 0xf0f0f0f, v148
	v_lshrrev_b32_e32 v145, 4, v148
	v_and_b32_e32 v145, 0xf0f0f0f, v145
	v_dot4c_i32_i8_e32 v146, v144, v2
	v_dot4c_i32_i8_e32 v146, v145, v6
	v_and_b32_e32 v147, 0xf0f0f0f, v149
	v_lshrrev_b32_e32 v148, 4, v149
	v_and_b32_e32 v148, 0xf0f0f0f, v148
	v_dot4c_i32_i8_e32 v146, v147, v3
	v_dot4c_i32_i8_e32 v146, v148, v7
	v_pk_mul_f16 v149, v90, v139
	s_nop 1
	v_cvt_f32_i32_e32 v146, v146
	v_fma_mix_f32 v146, v149, v146, v149 op_sel:[0,0,1] op_sel_hi:[1,0,1]
	s_nop 0
	v_add_f32_e32 v79, v79, v146
	v_add_u32_e32 v149, 0x2100, v125
	ds_read_b32 v146, v128
	ds_read2_b32 v[152:153], v149 offset1:1
	v_add_u32_e32 v128, 4, v128
	s_waitcnt lgkmcnt(0)
	v_and_b32_e32 v149, 0xf0f0f0f, v152
	v_lshrrev_b32_e32 v150, 4, v152
	v_and_b32_e32 v151, 0xf0f0f0f, v153
	v_lshrrev_b32_e32 v152, 4, v153
	v_add_u32_e32 v153, 0x2108, v125
	ds_read2_b32 v[154:155], v153 offset1:1
	v_and_b32_e32 v150, 0xf0f0f0f, v150
	v_dot4c_i32_i8_e32 v158, v149, v0
	v_dot4c_i32_i8_e32 v158, v150, v4
	v_and_b32_e32 v152, 0xf0f0f0f, v152
	v_dot4c_i32_i8_e32 v158, v151, v1
	v_dot4c_i32_i8_e32 v158, v152, v5
	s_waitcnt lgkmcnt(0)
	v_and_b32_e32 v153, 0xf0f0f0f, v154
	v_lshrrev_b32_e32 v154, 4, v154
	v_and_b32_e32 v154, 0xf0f0f0f, v154
	v_dot4c_i32_i8_e32 v158, v153, v2
	v_dot4c_i32_i8_e32 v158, v154, v6
	v_and_b32_e32 v156, 0xf0f0f0f, v155
	v_lshrrev_b32_e32 v155, 4, v155
	v_and_b32_e32 v157, 0xf0f0f0f, v155
	v_dot4c_i32_i8_e32 v158, v156, v3
	v_dot4c_i32_i8_e32 v158, v157, v7
	v_pk_mul_f16 v155, v90, v146
	s_nop 1
	v_cvt_f32_i32_e32 v158, v158
	v_fma_mix_f32 v155, v155, v158, v155 op_sel:[0,0,1] op_sel_hi:[1,0,1]
	s_nop 0
	v_add_f32_e32 v77, v77, v155
	v_add_u32_e32 v158, 0x3180, v125
	ds_read_b32 v155, v129
	ds_read2_b32 v[160:161], v158 offset1:1
	v_add_u32_e32 v129, 4, v129
	s_waitcnt lgkmcnt(0)
	v_and_b32_e32 v158, 0xf0f0f0f, v160
	v_lshrrev_b32_e32 v159, 4, v160
	v_and_b32_e32 v159, 0xf0f0f0f, v159
	v_dot4c_i32_i8_e32 v162, v158, v0
	v_lshrrev_b32_e32 v0, 4, v161
	v_dot4c_i32_i8_e32 v162, v159, v4
	v_and_b32_e32 v4, 0xf0f0f0f, v161
	v_and_b32_e32 v160, 0xf0f0f0f, v0
	v_add_u32_e32 v0, 0x3188, v125
	v_dot4c_i32_i8_e32 v162, v4, v1
	ds_read2_b32 v[0:1], v0 offset1:1
	v_dot4c_i32_i8_e32 v162, v160, v5
	v_add_u32_e32 v125, 16, v125
	s_waitcnt lgkmcnt(0)
	v_and_b32_e32 v5, 0xf0f0f0f, v0
	v_lshrrev_b32_e32 v0, 4, v0
	v_and_b32_e32 v161, 0xf0f0f0f, v0
	v_dot4c_i32_i8_e32 v162, v5, v2
	v_dot4c_i32_i8_e32 v162, v161, v6
	v_and_b32_e32 v2, 0xf0f0f0f, v1
	v_lshrrev_b32_e32 v0, 4, v1
	v_and_b32_e32 v6, 0xf0f0f0f, v0
	v_dot4c_i32_i8_e32 v162, v2, v3
	v_dot4c_i32_i8_e32 v162, v6, v7
	v_pk_mul_f16 v0, v90, v155
	v_mov_b32_e32 v3, 0
	s_nop 0
	v_cvt_f32_i32_e32 v1, v162
	ds_read_b128 v[162:165], v124 offset:1024
	ds_read_b128 v[166:169], v124 offset:1040
	v_fma_mix_f32 v0, v0, v1, v0 op_sel:[0,0,1] op_sel_hi:[1,0,1]
	s_nop 0
	v_add_f32_e32 v73, v73, v0
	v_mov_b32_e32 v0, 0
	s_waitcnt lgkmcnt(1)
	v_dot4c_i32_i8_e32 v0, v131, v162
	s_waitcnt lgkmcnt(0)
	v_dot4c_i32_i8_e32 v0, v132, v166
	v_dot4c_i32_i8_e32 v0, v133, v163
	v_dot4c_i32_i8_e32 v0, v134, v167
	v_dot4c_i32_i8_e32 v0, v135, v164
	v_dot4c_i32_i8_e32 v0, v136, v168
	v_dot4c_i32_i8_e32 v0, v137, v165
	v_dot4c_i32_i8_e32 v0, v138, v169
	v_pk_mul_f16 v1, v130, v91
	s_nop 1
	v_cvt_f32_i32_e32 v0, v0
	v_fma_mix_f32 v0, v0, v1, v1 op_sel:[0,0,1] op_sel_hi:[0,1,1]
	v_add_f32_e32 v71, v71, v0
	v_mov_b32_e32 v0, 0
	v_dot4c_i32_i8_e32 v0, v140, v162
	v_dot4c_i32_i8_e32 v0, v141, v166
	v_dot4c_i32_i8_e32 v0, v142, v163
	v_dot4c_i32_i8_e32 v0, v143, v167
	v_dot4c_i32_i8_e32 v0, v144, v164
	v_dot4c_i32_i8_e32 v0, v145, v168
	v_dot4c_i32_i8_e32 v0, v147, v165
	v_dot4c_i32_i8_e32 v0, v148, v169
	v_pk_mul_f16 v1, v139, v91
	s_nop 1
	v_cvt_f32_i32_e32 v0, v0
	v_fma_mix_f32 v0, v0, v1, v1 op_sel:[0,0,1] op_sel_hi:[0,1,1]
	v_add_f32_e32 v69, v69, v0
	v_mov_b32_e32 v0, 0
	v_dot4c_i32_i8_e32 v0, v149, v162
	;; [unrolled: 14-line block ×3, first 2 shown]
	v_dot4c_i32_i8_e32 v0, v159, v166
	v_dot4c_i32_i8_e32 v0, v4, v163
	;; [unrolled: 1-line block ×7, first 2 shown]
	v_pk_mul_f16 v1, v155, v91
	s_nop 1
	v_cvt_f32_i32_e32 v0, v0
	v_fma_mix_f32 v0, v0, v1, v1 op_sel:[0,0,1] op_sel_hi:[0,1,1]
	v_add_f32_e32 v65, v65, v0
	ds_read_b128 v[162:165], v124 offset:2048
	ds_read_b128 v[166:169], v124 offset:2064
	ds_read2_b32 v[0:1], v123 offset0:64 offset1:96
	s_waitcnt lgkmcnt(2)
	v_dot4c_i32_i8_e32 v3, v131, v162
	s_waitcnt lgkmcnt(1)
	v_dot4c_i32_i8_e32 v3, v132, v166
	v_dot4c_i32_i8_e32 v3, v133, v163
	v_dot4c_i32_i8_e32 v3, v134, v167
	v_dot4c_i32_i8_e32 v3, v135, v164
	v_dot4c_i32_i8_e32 v3, v136, v168
	v_dot4c_i32_i8_e32 v3, v137, v165
	v_dot4c_i32_i8_e32 v3, v138, v169
	s_waitcnt lgkmcnt(0)
	v_pk_mul_f16 v7, v130, v0
	s_nop 0
	v_cvt_f32_i32_e32 v3, v3
	v_fma_mix_f32 v3, v3, v7, v7 op_sel:[0,0,1] op_sel_hi:[0,1,1]
	v_add_f32_e32 v63, v63, v3
	v_mov_b32_e32 v3, 0
	v_dot4c_i32_i8_e32 v3, v140, v162
	v_dot4c_i32_i8_e32 v3, v141, v166
	;; [unrolled: 1-line block ×8, first 2 shown]
	v_pk_mul_f16 v7, v139, v0
	s_nop 1
	v_cvt_f32_i32_e32 v3, v3
	v_fma_mix_f32 v3, v3, v7, v7 op_sel:[0,0,1] op_sel_hi:[0,1,1]
	v_add_f32_e32 v59, v59, v3
	v_mov_b32_e32 v3, 0
	v_dot4c_i32_i8_e32 v3, v149, v162
	v_dot4c_i32_i8_e32 v3, v150, v166
	;; [unrolled: 1-line block ×8, first 2 shown]
	v_pk_mul_f16 v7, v146, v0
	v_pk_mul_f16 v0, v155, v0
	s_nop 0
	v_cvt_f32_i32_e32 v3, v3
	v_fma_mix_f32 v3, v3, v7, v7 op_sel:[0,0,1] op_sel_hi:[0,1,1]
	v_add_f32_e32 v57, v57, v3
	v_mov_b32_e32 v3, 0
	v_dot4c_i32_i8_e32 v3, v158, v162
	v_dot4c_i32_i8_e32 v3, v159, v166
	;; [unrolled: 1-line block ×8, first 2 shown]
	ds_read_b128 v[162:165], v124 offset:3072
	ds_read_b128 v[166:169], v124 offset:3088
	s_nop 0
	v_cvt_f32_i32_e32 v3, v3
	v_fma_mix_f32 v0, v3, v0, v0 op_sel:[0,0,1] op_sel_hi:[0,1,1]
	v_add_f32_e32 v55, v55, v0
	v_mov_b32_e32 v0, 0
	s_waitcnt lgkmcnt(1)
	v_dot4c_i32_i8_e32 v0, v131, v162
	s_waitcnt lgkmcnt(0)
	v_dot4c_i32_i8_e32 v0, v132, v166
	v_dot4c_i32_i8_e32 v0, v133, v163
	;; [unrolled: 1-line block ×7, first 2 shown]
	v_pk_mul_f16 v3, v130, v1
	s_nop 1
	v_cvt_f32_i32_e32 v0, v0
	v_fma_mix_f32 v0, v0, v3, v3 op_sel:[0,0,1] op_sel_hi:[0,1,1]
	v_add_f32_e32 v53, v53, v0
	v_mov_b32_e32 v0, 0
	v_dot4c_i32_i8_e32 v0, v140, v162
	v_dot4c_i32_i8_e32 v0, v141, v166
	v_dot4c_i32_i8_e32 v0, v142, v163
	v_dot4c_i32_i8_e32 v0, v143, v167
	v_dot4c_i32_i8_e32 v0, v144, v164
	v_dot4c_i32_i8_e32 v0, v145, v168
	v_dot4c_i32_i8_e32 v0, v147, v165
	v_dot4c_i32_i8_e32 v0, v148, v169
	v_pk_mul_f16 v3, v139, v1
	s_nop 1
	v_cvt_f32_i32_e32 v0, v0
	v_fma_mix_f32 v0, v0, v3, v3 op_sel:[0,0,1] op_sel_hi:[0,1,1]
	v_add_f32_e32 v51, v51, v0
	v_mov_b32_e32 v0, 0
	v_dot4c_i32_i8_e32 v0, v149, v162
	v_dot4c_i32_i8_e32 v0, v150, v166
	;; [unrolled: 1-line block ×8, first 2 shown]
	v_pk_mul_f16 v3, v146, v1
	v_pk_mul_f16 v1, v155, v1
	s_nop 0
	v_cvt_f32_i32_e32 v0, v0
	v_fma_mix_f32 v0, v0, v3, v3 op_sel:[0,0,1] op_sel_hi:[0,1,1]
	v_add_f32_e32 v49, v49, v0
	v_mov_b32_e32 v0, 0
	v_dot4c_i32_i8_e32 v0, v158, v162
	v_dot4c_i32_i8_e32 v0, v159, v166
	;; [unrolled: 1-line block ×8, first 2 shown]
	v_mov_b32_e32 v3, 0
	s_nop 1
	v_cvt_f32_i32_e32 v0, v0
	v_fma_mix_f32 v0, v0, v1, v1 op_sel:[0,0,1] op_sel_hi:[0,1,1]
	v_add_f32_e32 v47, v47, v0
	ds_read_b128 v[162:165], v124 offset:4096
	ds_read_b128 v[166:169], v124 offset:4112
	ds_read2_b32 v[0:1], v123 offset0:128 offset1:160
	s_waitcnt lgkmcnt(2)
	v_dot4c_i32_i8_e32 v3, v131, v162
	s_waitcnt lgkmcnt(1)
	v_dot4c_i32_i8_e32 v3, v132, v166
	v_dot4c_i32_i8_e32 v3, v133, v163
	;; [unrolled: 1-line block ×7, first 2 shown]
	s_waitcnt lgkmcnt(0)
	v_pk_mul_f16 v7, v130, v0
	s_nop 0
	v_cvt_f32_i32_e32 v3, v3
	v_fma_mix_f32 v3, v3, v7, v7 op_sel:[0,0,1] op_sel_hi:[0,1,1]
	v_add_f32_e32 v43, v43, v3
	v_mov_b32_e32 v3, 0
	v_dot4c_i32_i8_e32 v3, v140, v162
	v_dot4c_i32_i8_e32 v3, v141, v166
	;; [unrolled: 1-line block ×8, first 2 shown]
	v_pk_mul_f16 v7, v139, v0
	s_nop 1
	v_cvt_f32_i32_e32 v3, v3
	v_fma_mix_f32 v3, v3, v7, v7 op_sel:[0,0,1] op_sel_hi:[0,1,1]
	v_add_f32_e32 v39, v39, v3
	v_mov_b32_e32 v3, 0
	v_dot4c_i32_i8_e32 v3, v149, v162
	v_dot4c_i32_i8_e32 v3, v150, v166
	;; [unrolled: 1-line block ×8, first 2 shown]
	v_pk_mul_f16 v7, v146, v0
	v_pk_mul_f16 v0, v155, v0
	s_nop 0
	v_cvt_f32_i32_e32 v3, v3
	v_fma_mix_f32 v3, v3, v7, v7 op_sel:[0,0,1] op_sel_hi:[0,1,1]
	v_add_f32_e32 v37, v37, v3
	v_mov_b32_e32 v3, 0
	v_dot4c_i32_i8_e32 v3, v158, v162
	v_dot4c_i32_i8_e32 v3, v159, v166
	v_dot4c_i32_i8_e32 v3, v4, v163
	v_dot4c_i32_i8_e32 v3, v160, v167
	v_dot4c_i32_i8_e32 v3, v5, v164
	v_dot4c_i32_i8_e32 v3, v161, v168
	v_dot4c_i32_i8_e32 v3, v2, v165
	v_dot4c_i32_i8_e32 v3, v6, v169
	ds_read_b128 v[162:165], v124 offset:5120
	ds_read_b128 v[166:169], v124 offset:5136
	s_nop 0
	v_cvt_f32_i32_e32 v3, v3
	v_fma_mix_f32 v0, v3, v0, v0 op_sel:[0,0,1] op_sel_hi:[0,1,1]
	v_add_f32_e32 v35, v35, v0
	v_mov_b32_e32 v0, 0
	s_waitcnt lgkmcnt(1)
	v_dot4c_i32_i8_e32 v0, v131, v162
	s_waitcnt lgkmcnt(0)
	v_dot4c_i32_i8_e32 v0, v132, v166
	v_dot4c_i32_i8_e32 v0, v133, v163
	;; [unrolled: 1-line block ×7, first 2 shown]
	v_pk_mul_f16 v3, v130, v1
	s_nop 1
	v_cvt_f32_i32_e32 v0, v0
	v_fma_mix_f32 v0, v0, v3, v3 op_sel:[0,0,1] op_sel_hi:[0,1,1]
	v_add_f32_e32 v33, v33, v0
	v_mov_b32_e32 v0, 0
	v_dot4c_i32_i8_e32 v0, v140, v162
	v_dot4c_i32_i8_e32 v0, v141, v166
	;; [unrolled: 1-line block ×8, first 2 shown]
	v_pk_mul_f16 v3, v139, v1
	s_nop 1
	v_cvt_f32_i32_e32 v0, v0
	v_fma_mix_f32 v0, v0, v3, v3 op_sel:[0,0,1] op_sel_hi:[0,1,1]
	v_add_f32_e32 v31, v31, v0
	v_mov_b32_e32 v0, 0
	v_dot4c_i32_i8_e32 v0, v149, v162
	v_dot4c_i32_i8_e32 v0, v150, v166
	v_dot4c_i32_i8_e32 v0, v151, v163
	v_dot4c_i32_i8_e32 v0, v152, v167
	v_dot4c_i32_i8_e32 v0, v153, v164
	v_dot4c_i32_i8_e32 v0, v154, v168
	v_dot4c_i32_i8_e32 v0, v156, v165
	v_dot4c_i32_i8_e32 v0, v157, v169
	v_pk_mul_f16 v3, v146, v1
	v_pk_mul_f16 v1, v155, v1
	s_nop 0
	v_cvt_f32_i32_e32 v0, v0
	v_fma_mix_f32 v0, v0, v3, v3 op_sel:[0,0,1] op_sel_hi:[0,1,1]
	v_add_f32_e32 v29, v29, v0
	v_mov_b32_e32 v0, 0
	v_dot4c_i32_i8_e32 v0, v158, v162
	v_dot4c_i32_i8_e32 v0, v159, v166
	;; [unrolled: 1-line block ×8, first 2 shown]
	v_mov_b32_e32 v3, 0
	s_nop 1
	v_cvt_f32_i32_e32 v0, v0
	v_fma_mix_f32 v0, v0, v1, v1 op_sel:[0,0,1] op_sel_hi:[0,1,1]
	v_add_f32_e32 v27, v27, v0
	ds_read_b128 v[162:165], v124 offset:6144
	ds_read_b128 v[166:169], v124 offset:6160
	ds_read2_b32 v[0:1], v123 offset0:192 offset1:224
	v_add_u32_e32 v123, 4, v123
	s_waitcnt lgkmcnt(2)
	v_dot4c_i32_i8_e32 v3, v131, v162
	s_waitcnt lgkmcnt(1)
	v_dot4c_i32_i8_e32 v3, v132, v166
	v_dot4c_i32_i8_e32 v3, v133, v163
	;; [unrolled: 1-line block ×7, first 2 shown]
	s_waitcnt lgkmcnt(0)
	v_pk_mul_f16 v7, v130, v0
	s_nop 0
	v_cvt_f32_i32_e32 v3, v3
	v_fma_mix_f32 v3, v3, v7, v7 op_sel:[0,0,1] op_sel_hi:[0,1,1]
	v_add_f32_e32 v25, v25, v3
	v_mov_b32_e32 v3, 0
	v_dot4c_i32_i8_e32 v3, v140, v162
	v_dot4c_i32_i8_e32 v3, v141, v166
	;; [unrolled: 1-line block ×8, first 2 shown]
	v_pk_mul_f16 v7, v139, v0
	s_nop 1
	v_cvt_f32_i32_e32 v3, v3
	v_fma_mix_f32 v3, v3, v7, v7 op_sel:[0,0,1] op_sel_hi:[0,1,1]
	v_add_f32_e32 v23, v23, v3
	v_mov_b32_e32 v3, 0
	v_dot4c_i32_i8_e32 v3, v149, v162
	v_dot4c_i32_i8_e32 v3, v150, v166
	;; [unrolled: 1-line block ×8, first 2 shown]
	v_pk_mul_f16 v7, v146, v0
	v_pk_mul_f16 v0, v155, v0
	s_nop 0
	v_cvt_f32_i32_e32 v3, v3
	v_fma_mix_f32 v3, v3, v7, v7 op_sel:[0,0,1] op_sel_hi:[0,1,1]
	v_add_f32_e32 v21, v21, v3
	v_mov_b32_e32 v3, 0
	v_dot4c_i32_i8_e32 v3, v158, v162
	v_dot4c_i32_i8_e32 v3, v159, v166
	;; [unrolled: 1-line block ×8, first 2 shown]
	ds_read_b128 v[162:165], v124 offset:7168
	ds_read_b128 v[166:169], v124 offset:7184
	v_add_u32_e32 v124, 32, v124
	v_cvt_f32_i32_e32 v3, v3
	v_fma_mix_f32 v0, v3, v0, v0 op_sel:[0,0,1] op_sel_hi:[0,1,1]
	v_add_f32_e32 v19, v19, v0
	v_mov_b32_e32 v0, 0
	s_waitcnt lgkmcnt(1)
	v_dot4c_i32_i8_e32 v0, v131, v162
	s_waitcnt lgkmcnt(0)
	v_dot4c_i32_i8_e32 v0, v132, v166
	v_dot4c_i32_i8_e32 v0, v133, v163
	;; [unrolled: 1-line block ×7, first 2 shown]
	v_pk_mul_f16 v3, v130, v1
	s_nop 1
	v_cvt_f32_i32_e32 v0, v0
	v_fma_mix_f32 v0, v0, v3, v3 op_sel:[0,0,1] op_sel_hi:[0,1,1]
	v_add_f32_e32 v17, v17, v0
	v_mov_b32_e32 v0, 0
	v_dot4c_i32_i8_e32 v0, v140, v162
	v_dot4c_i32_i8_e32 v0, v141, v166
	;; [unrolled: 1-line block ×8, first 2 shown]
	v_pk_mul_f16 v3, v139, v1
	s_nop 1
	v_cvt_f32_i32_e32 v0, v0
	v_fma_mix_f32 v0, v0, v3, v3 op_sel:[0,0,1] op_sel_hi:[0,1,1]
	v_add_f32_e32 v15, v15, v0
	v_mov_b32_e32 v0, 0
	v_dot4c_i32_i8_e32 v0, v149, v162
	v_dot4c_i32_i8_e32 v0, v150, v166
	;; [unrolled: 1-line block ×8, first 2 shown]
	v_pk_mul_f16 v3, v146, v1
	v_pk_mul_f16 v1, v155, v1
	s_nop 0
	v_cvt_f32_i32_e32 v0, v0
	v_fma_mix_f32 v0, v0, v3, v3 op_sel:[0,0,1] op_sel_hi:[0,1,1]
	v_add_f32_e32 v13, v13, v0
	v_mov_b32_e32 v0, 0
	v_dot4c_i32_i8_e32 v0, v158, v162
	v_dot4c_i32_i8_e32 v0, v159, v166
	;; [unrolled: 1-line block ×8, first 2 shown]
	s_nop 2
	v_cvt_f32_i32_e32 v0, v0
	v_fma_mix_f32 v0, v0, v1, v1 op_sel:[0,0,1] op_sel_hi:[0,1,1]
	v_add_f32_e32 v9, v9, v0
	s_cbranch_scc1 .LBB120_10
; %bb.11:                               ;   in Loop: Header=BB120_6 Depth=1
	s_barrier
	s_branch .LBB120_5
.LBB120_12:
	v_mov_b32_e32 v1, v45
.LBB120_13:
	v_cmp_gt_u32_e32 vcc, s10, v61
	s_and_saveexec_b64 s[0:1], vcc
	s_cbranch_execz .LBB120_64
; %bb.14:
	v_add_u32_e32 v0, s6, v41
	v_mul_lo_u32 v5, v61, s14
	v_cmp_gt_u32_e32 vcc, s14, v0
	s_and_saveexec_b64 s[0:1], vcc
	s_cbranch_execz .LBB120_16
; %bb.15:
	v_add_u32_e32 v2, v0, v5
	v_mov_b32_e32 v3, 0
	s_waitcnt lgkmcnt(0)
	v_lshl_add_u64 v[2:3], v[2:3], 2, s[12:13]
	global_store_dword v[2:3], v81, off
.LBB120_16:
	s_or_b64 exec, exec, s[0:1]
	v_add_u32_e32 v2, 32, v0
	v_cmp_gt_u32_e64 s[0:1], s14, v2
	s_and_saveexec_b64 s[2:3], s[0:1]
	s_cbranch_execz .LBB120_18
; %bb.17:
	v_add_u32_e32 v6, v2, v5
	v_mov_b32_e32 v7, 0
	s_waitcnt lgkmcnt(0)
	v_lshl_add_u64 v[6:7], v[6:7], 2, s[12:13]
	global_store_dword v[6:7], v79, off
.LBB120_18:
	s_or_b64 exec, exec, s[2:3]
	v_add_u32_e32 v3, 64, v0
	v_cmp_gt_u32_e64 s[2:3], s14, v3
	s_and_saveexec_b64 s[4:5], s[2:3]
	;; [unrolled: 12-line block ×3, first 2 shown]
	s_cbranch_execz .LBB120_22
; %bb.21:
	v_add_u32_e32 v6, v4, v5
	v_mov_b32_e32 v7, 0
	s_waitcnt lgkmcnt(0)
	v_lshl_add_u64 v[6:7], v[6:7], 2, s[12:13]
	global_store_dword v[6:7], v73, off
.LBB120_22:
	s_or_b64 exec, exec, s[6:7]
	v_add3_u32 v5, v1, s15, 8
	v_cmp_gt_u32_e64 s[6:7], s10, v5
	s_and_b64 exec, exec, s[6:7]
	s_cbranch_execz .LBB120_64
; %bb.23:
	v_mul_lo_u32 v5, v5, s14
	s_and_saveexec_b64 s[6:7], vcc
	s_cbranch_execnz .LBB120_65
; %bb.24:
	s_or_b64 exec, exec, s[6:7]
	s_and_saveexec_b64 s[6:7], s[0:1]
	s_cbranch_execnz .LBB120_66
.LBB120_25:
	s_or_b64 exec, exec, s[6:7]
	s_and_saveexec_b64 s[6:7], s[2:3]
	s_cbranch_execnz .LBB120_67
.LBB120_26:
	s_or_b64 exec, exec, s[6:7]
	s_and_saveexec_b64 s[6:7], s[4:5]
	s_cbranch_execz .LBB120_28
.LBB120_27:
	v_add_u32_e32 v6, v5, v4
	v_mov_b32_e32 v7, 0
	s_waitcnt lgkmcnt(0)
	v_lshl_add_u64 v[6:7], v[6:7], 2, s[12:13]
	global_store_dword v[6:7], v65, off
.LBB120_28:
	s_or_b64 exec, exec, s[6:7]
	v_add3_u32 v5, v1, s15, 16
	v_cmp_gt_u32_e64 s[6:7], s10, v5
	s_and_b64 exec, exec, s[6:7]
	s_cbranch_execz .LBB120_64
; %bb.29:
	v_mul_lo_u32 v5, v5, s14
	s_and_saveexec_b64 s[6:7], vcc
	s_cbranch_execnz .LBB120_68
; %bb.30:
	s_or_b64 exec, exec, s[6:7]
	s_and_saveexec_b64 s[6:7], s[0:1]
	s_cbranch_execnz .LBB120_69
.LBB120_31:
	s_or_b64 exec, exec, s[6:7]
	s_and_saveexec_b64 s[6:7], s[2:3]
	s_cbranch_execnz .LBB120_70
.LBB120_32:
	s_or_b64 exec, exec, s[6:7]
	s_and_saveexec_b64 s[6:7], s[4:5]
	s_cbranch_execz .LBB120_34
.LBB120_33:
	v_add_u32_e32 v6, v5, v4
	v_mov_b32_e32 v7, 0
	s_waitcnt lgkmcnt(0)
	v_lshl_add_u64 v[6:7], v[6:7], 2, s[12:13]
	global_store_dword v[6:7], v55, off
.LBB120_34:
	s_or_b64 exec, exec, s[6:7]
	v_add3_u32 v5, v1, s15, 24
	v_cmp_gt_u32_e64 s[6:7], s10, v5
	s_and_b64 exec, exec, s[6:7]
	s_cbranch_execz .LBB120_64
; %bb.35:
	v_mul_lo_u32 v5, v5, s14
	s_and_saveexec_b64 s[6:7], vcc
	s_cbranch_execnz .LBB120_71
; %bb.36:
	s_or_b64 exec, exec, s[6:7]
	s_and_saveexec_b64 s[6:7], s[0:1]
	s_cbranch_execnz .LBB120_72
.LBB120_37:
	s_or_b64 exec, exec, s[6:7]
	s_and_saveexec_b64 s[6:7], s[2:3]
	s_cbranch_execnz .LBB120_73
.LBB120_38:
	s_or_b64 exec, exec, s[6:7]
	s_and_saveexec_b64 s[6:7], s[4:5]
	s_cbranch_execz .LBB120_40
.LBB120_39:
	v_add_u32_e32 v6, v5, v4
	v_mov_b32_e32 v7, 0
	s_waitcnt lgkmcnt(0)
	v_lshl_add_u64 v[6:7], v[6:7], 2, s[12:13]
	global_store_dword v[6:7], v47, off
.LBB120_40:
	s_or_b64 exec, exec, s[6:7]
	v_add3_u32 v5, v1, s15, 32
	v_cmp_gt_u32_e64 s[6:7], s10, v5
	s_and_b64 exec, exec, s[6:7]
	s_cbranch_execz .LBB120_64
; %bb.41:
	v_mul_lo_u32 v5, v5, s14
	s_and_saveexec_b64 s[6:7], vcc
	s_cbranch_execnz .LBB120_74
; %bb.42:
	s_or_b64 exec, exec, s[6:7]
	s_and_saveexec_b64 s[6:7], s[0:1]
	s_cbranch_execnz .LBB120_75
.LBB120_43:
	s_or_b64 exec, exec, s[6:7]
	s_and_saveexec_b64 s[6:7], s[2:3]
	s_cbranch_execnz .LBB120_76
.LBB120_44:
	s_or_b64 exec, exec, s[6:7]
	s_and_saveexec_b64 s[6:7], s[4:5]
	s_cbranch_execz .LBB120_46
.LBB120_45:
	v_add_u32_e32 v6, v5, v4
	v_mov_b32_e32 v7, 0
	s_waitcnt lgkmcnt(0)
	v_lshl_add_u64 v[6:7], v[6:7], 2, s[12:13]
	global_store_dword v[6:7], v35, off
.LBB120_46:
	s_or_b64 exec, exec, s[6:7]
	v_add3_u32 v5, v1, s15, 40
	v_cmp_gt_u32_e64 s[6:7], s10, v5
	s_and_b64 exec, exec, s[6:7]
	s_cbranch_execz .LBB120_64
; %bb.47:
	v_mul_lo_u32 v5, v5, s14
	s_and_saveexec_b64 s[6:7], vcc
	s_cbranch_execnz .LBB120_77
; %bb.48:
	s_or_b64 exec, exec, s[6:7]
	s_and_saveexec_b64 s[6:7], s[0:1]
	s_cbranch_execnz .LBB120_78
.LBB120_49:
	s_or_b64 exec, exec, s[6:7]
	s_and_saveexec_b64 s[6:7], s[2:3]
	s_cbranch_execnz .LBB120_79
.LBB120_50:
	s_or_b64 exec, exec, s[6:7]
	s_and_saveexec_b64 s[6:7], s[4:5]
	s_cbranch_execz .LBB120_52
.LBB120_51:
	v_add_u32_e32 v6, v5, v4
	v_mov_b32_e32 v7, 0
	s_waitcnt lgkmcnt(0)
	v_lshl_add_u64 v[6:7], v[6:7], 2, s[12:13]
	global_store_dword v[6:7], v27, off
.LBB120_52:
	s_or_b64 exec, exec, s[6:7]
	v_add3_u32 v5, v1, s15, 48
	v_cmp_gt_u32_e64 s[6:7], s10, v5
	s_and_b64 exec, exec, s[6:7]
	s_cbranch_execz .LBB120_64
; %bb.53:
	v_mul_lo_u32 v5, v5, s14
	s_and_saveexec_b64 s[6:7], vcc
	s_cbranch_execnz .LBB120_80
; %bb.54:
	s_or_b64 exec, exec, s[6:7]
	s_and_saveexec_b64 s[6:7], s[0:1]
	s_cbranch_execnz .LBB120_81
.LBB120_55:
	s_or_b64 exec, exec, s[6:7]
	s_and_saveexec_b64 s[6:7], s[2:3]
	s_cbranch_execnz .LBB120_82
.LBB120_56:
	s_or_b64 exec, exec, s[6:7]
	s_and_saveexec_b64 s[6:7], s[4:5]
	s_cbranch_execz .LBB120_58
.LBB120_57:
	v_add_u32_e32 v6, v5, v4
	v_mov_b32_e32 v7, 0
	s_waitcnt lgkmcnt(0)
	v_lshl_add_u64 v[6:7], v[6:7], 2, s[12:13]
	global_store_dword v[6:7], v19, off
.LBB120_58:
	s_or_b64 exec, exec, s[6:7]
	v_add3_u32 v1, v1, s15, 56
	v_cmp_gt_u32_e64 s[6:7], s10, v1
	s_and_b64 exec, exec, s[6:7]
	s_cbranch_execz .LBB120_64
; %bb.59:
	v_mul_lo_u32 v1, v1, s14
	s_and_saveexec_b64 s[6:7], vcc
	s_cbranch_execnz .LBB120_83
; %bb.60:
	s_or_b64 exec, exec, s[6:7]
	s_and_saveexec_b64 s[6:7], s[0:1]
	s_cbranch_execnz .LBB120_84
.LBB120_61:
	s_or_b64 exec, exec, s[6:7]
	s_and_saveexec_b64 s[0:1], s[2:3]
	s_cbranch_execnz .LBB120_85
.LBB120_62:
	s_or_b64 exec, exec, s[0:1]
	s_and_b64 exec, exec, s[4:5]
	s_cbranch_execz .LBB120_64
.LBB120_63:
	v_add_u32_e32 v0, v1, v4
	v_mov_b32_e32 v1, 0
	s_waitcnt lgkmcnt(0)
	v_lshl_add_u64 v[0:1], v[0:1], 2, s[12:13]
	global_store_dword v[0:1], v9, off
.LBB120_64:
	s_endpgm
.LBB120_65:
	v_add_u32_e32 v6, v5, v0
	v_mov_b32_e32 v7, 0
	s_waitcnt lgkmcnt(0)
	v_lshl_add_u64 v[6:7], v[6:7], 2, s[12:13]
	global_store_dword v[6:7], v71, off
	s_or_b64 exec, exec, s[6:7]
	s_and_saveexec_b64 s[6:7], s[0:1]
	s_cbranch_execz .LBB120_25
.LBB120_66:
	v_add_u32_e32 v6, v5, v2
	v_mov_b32_e32 v7, 0
	s_waitcnt lgkmcnt(0)
	v_lshl_add_u64 v[6:7], v[6:7], 2, s[12:13]
	global_store_dword v[6:7], v69, off
	s_or_b64 exec, exec, s[6:7]
	s_and_saveexec_b64 s[6:7], s[2:3]
	s_cbranch_execz .LBB120_26
.LBB120_67:
	v_add_u32_e32 v6, v5, v3
	v_mov_b32_e32 v7, 0
	s_waitcnt lgkmcnt(0)
	v_lshl_add_u64 v[6:7], v[6:7], 2, s[12:13]
	global_store_dword v[6:7], v67, off
	s_or_b64 exec, exec, s[6:7]
	s_and_saveexec_b64 s[6:7], s[4:5]
	s_cbranch_execnz .LBB120_27
	s_branch .LBB120_28
.LBB120_68:
	v_add_u32_e32 v6, v5, v0
	v_mov_b32_e32 v7, 0
	s_waitcnt lgkmcnt(0)
	v_lshl_add_u64 v[6:7], v[6:7], 2, s[12:13]
	global_store_dword v[6:7], v63, off
	s_or_b64 exec, exec, s[6:7]
	s_and_saveexec_b64 s[6:7], s[0:1]
	s_cbranch_execz .LBB120_31
.LBB120_69:
	v_add_u32_e32 v6, v5, v2
	v_mov_b32_e32 v7, 0
	s_waitcnt lgkmcnt(0)
	v_lshl_add_u64 v[6:7], v[6:7], 2, s[12:13]
	global_store_dword v[6:7], v59, off
	s_or_b64 exec, exec, s[6:7]
	s_and_saveexec_b64 s[6:7], s[2:3]
	s_cbranch_execz .LBB120_32
.LBB120_70:
	v_add_u32_e32 v6, v5, v3
	v_mov_b32_e32 v7, 0
	s_waitcnt lgkmcnt(0)
	v_lshl_add_u64 v[6:7], v[6:7], 2, s[12:13]
	global_store_dword v[6:7], v57, off
	s_or_b64 exec, exec, s[6:7]
	s_and_saveexec_b64 s[6:7], s[4:5]
	s_cbranch_execnz .LBB120_33
	s_branch .LBB120_34
.LBB120_71:
	v_add_u32_e32 v6, v5, v0
	v_mov_b32_e32 v7, 0
	s_waitcnt lgkmcnt(0)
	v_lshl_add_u64 v[6:7], v[6:7], 2, s[12:13]
	global_store_dword v[6:7], v53, off
	s_or_b64 exec, exec, s[6:7]
	s_and_saveexec_b64 s[6:7], s[0:1]
	s_cbranch_execz .LBB120_37
.LBB120_72:
	v_add_u32_e32 v6, v5, v2
	v_mov_b32_e32 v7, 0
	s_waitcnt lgkmcnt(0)
	v_lshl_add_u64 v[6:7], v[6:7], 2, s[12:13]
	global_store_dword v[6:7], v51, off
	s_or_b64 exec, exec, s[6:7]
	s_and_saveexec_b64 s[6:7], s[2:3]
	s_cbranch_execz .LBB120_38
.LBB120_73:
	v_add_u32_e32 v6, v5, v3
	v_mov_b32_e32 v7, 0
	s_waitcnt lgkmcnt(0)
	v_lshl_add_u64 v[6:7], v[6:7], 2, s[12:13]
	global_store_dword v[6:7], v49, off
	s_or_b64 exec, exec, s[6:7]
	s_and_saveexec_b64 s[6:7], s[4:5]
	s_cbranch_execnz .LBB120_39
	s_branch .LBB120_40
.LBB120_74:
	v_add_u32_e32 v6, v5, v0
	v_mov_b32_e32 v7, 0
	s_waitcnt lgkmcnt(0)
	v_lshl_add_u64 v[6:7], v[6:7], 2, s[12:13]
	global_store_dword v[6:7], v43, off
	s_or_b64 exec, exec, s[6:7]
	s_and_saveexec_b64 s[6:7], s[0:1]
	s_cbranch_execz .LBB120_43
.LBB120_75:
	v_add_u32_e32 v6, v5, v2
	v_mov_b32_e32 v7, 0
	s_waitcnt lgkmcnt(0)
	v_lshl_add_u64 v[6:7], v[6:7], 2, s[12:13]
	global_store_dword v[6:7], v39, off
	s_or_b64 exec, exec, s[6:7]
	s_and_saveexec_b64 s[6:7], s[2:3]
	s_cbranch_execz .LBB120_44
.LBB120_76:
	v_add_u32_e32 v6, v5, v3
	v_mov_b32_e32 v7, 0
	s_waitcnt lgkmcnt(0)
	v_lshl_add_u64 v[6:7], v[6:7], 2, s[12:13]
	global_store_dword v[6:7], v37, off
	s_or_b64 exec, exec, s[6:7]
	s_and_saveexec_b64 s[6:7], s[4:5]
	s_cbranch_execnz .LBB120_45
	s_branch .LBB120_46
.LBB120_77:
	v_add_u32_e32 v6, v5, v0
	v_mov_b32_e32 v7, 0
	s_waitcnt lgkmcnt(0)
	v_lshl_add_u64 v[6:7], v[6:7], 2, s[12:13]
	global_store_dword v[6:7], v33, off
	s_or_b64 exec, exec, s[6:7]
	s_and_saveexec_b64 s[6:7], s[0:1]
	s_cbranch_execz .LBB120_49
.LBB120_78:
	v_add_u32_e32 v6, v5, v2
	v_mov_b32_e32 v7, 0
	s_waitcnt lgkmcnt(0)
	v_lshl_add_u64 v[6:7], v[6:7], 2, s[12:13]
	global_store_dword v[6:7], v31, off
	s_or_b64 exec, exec, s[6:7]
	s_and_saveexec_b64 s[6:7], s[2:3]
	s_cbranch_execz .LBB120_50
.LBB120_79:
	v_add_u32_e32 v6, v5, v3
	v_mov_b32_e32 v7, 0
	s_waitcnt lgkmcnt(0)
	v_lshl_add_u64 v[6:7], v[6:7], 2, s[12:13]
	global_store_dword v[6:7], v29, off
	s_or_b64 exec, exec, s[6:7]
	s_and_saveexec_b64 s[6:7], s[4:5]
	s_cbranch_execnz .LBB120_51
	s_branch .LBB120_52
.LBB120_80:
	v_add_u32_e32 v6, v5, v0
	v_mov_b32_e32 v7, 0
	s_waitcnt lgkmcnt(0)
	v_lshl_add_u64 v[6:7], v[6:7], 2, s[12:13]
	global_store_dword v[6:7], v25, off
	s_or_b64 exec, exec, s[6:7]
	s_and_saveexec_b64 s[6:7], s[0:1]
	s_cbranch_execz .LBB120_55
.LBB120_81:
	v_add_u32_e32 v6, v5, v2
	v_mov_b32_e32 v7, 0
	s_waitcnt lgkmcnt(0)
	v_lshl_add_u64 v[6:7], v[6:7], 2, s[12:13]
	global_store_dword v[6:7], v23, off
	s_or_b64 exec, exec, s[6:7]
	s_and_saveexec_b64 s[6:7], s[2:3]
	s_cbranch_execz .LBB120_56
.LBB120_82:
	v_add_u32_e32 v6, v5, v3
	v_mov_b32_e32 v7, 0
	s_waitcnt lgkmcnt(0)
	v_lshl_add_u64 v[6:7], v[6:7], 2, s[12:13]
	global_store_dword v[6:7], v21, off
	s_or_b64 exec, exec, s[6:7]
	s_and_saveexec_b64 s[6:7], s[4:5]
	s_cbranch_execnz .LBB120_57
	s_branch .LBB120_58
.LBB120_83:
	v_add_u32_e32 v6, v1, v0
	v_mov_b32_e32 v7, 0
	s_waitcnt lgkmcnt(0)
	v_lshl_add_u64 v[6:7], v[6:7], 2, s[12:13]
	global_store_dword v[6:7], v17, off
	s_or_b64 exec, exec, s[6:7]
	s_and_saveexec_b64 s[6:7], s[0:1]
	s_cbranch_execz .LBB120_61
.LBB120_84:
	v_add_u32_e32 v6, v1, v2
	v_mov_b32_e32 v7, 0
	s_waitcnt lgkmcnt(0)
	v_lshl_add_u64 v[6:7], v[6:7], 2, s[12:13]
	global_store_dword v[6:7], v15, off
	s_or_b64 exec, exec, s[6:7]
	s_and_saveexec_b64 s[0:1], s[2:3]
	s_cbranch_execz .LBB120_62
.LBB120_85:
	v_add_u32_e32 v2, v1, v3
	v_mov_b32_e32 v3, 0
	s_waitcnt lgkmcnt(0)
	v_lshl_add_u64 v[2:3], v[2:3], 2, s[12:13]
	global_store_dword v[2:3], v13, off
	s_or_b64 exec, exec, s[0:1]
	s_and_b64 exec, exec, s[4:5]
	s_cbranch_execnz .LBB120_63
	s_branch .LBB120_64
	.section	.rodata,"a",@progbits
	.p2align	6, 0x0
	.amdhsa_kernel _ZL12mul_mat_q4_1IfLb1EEvPKvS1_PT_iiiii
		.amdhsa_group_segment_fixed_size 30336
		.amdhsa_private_segment_fixed_size 0
		.amdhsa_kernarg_size 44
		.amdhsa_user_sgpr_count 2
		.amdhsa_user_sgpr_dispatch_ptr 0
		.amdhsa_user_sgpr_queue_ptr 0
		.amdhsa_user_sgpr_kernarg_segment_ptr 1
		.amdhsa_user_sgpr_dispatch_id 0
		.amdhsa_user_sgpr_kernarg_preload_length 0
		.amdhsa_user_sgpr_kernarg_preload_offset 0
		.amdhsa_user_sgpr_private_segment_size 0
		.amdhsa_uses_dynamic_stack 0
		.amdhsa_enable_private_segment 0
		.amdhsa_system_sgpr_workgroup_id_x 1
		.amdhsa_system_sgpr_workgroup_id_y 1
		.amdhsa_system_sgpr_workgroup_id_z 0
		.amdhsa_system_sgpr_workgroup_info 0
		.amdhsa_system_vgpr_workitem_id 1
		.amdhsa_next_free_vgpr 172
		.amdhsa_next_free_sgpr 18
		.amdhsa_accum_offset 172
		.amdhsa_reserve_vcc 1
		.amdhsa_float_round_mode_32 0
		.amdhsa_float_round_mode_16_64 0
		.amdhsa_float_denorm_mode_32 3
		.amdhsa_float_denorm_mode_16_64 3
		.amdhsa_dx10_clamp 1
		.amdhsa_ieee_mode 1
		.amdhsa_fp16_overflow 0
		.amdhsa_tg_split 0
		.amdhsa_exception_fp_ieee_invalid_op 0
		.amdhsa_exception_fp_denorm_src 0
		.amdhsa_exception_fp_ieee_div_zero 0
		.amdhsa_exception_fp_ieee_overflow 0
		.amdhsa_exception_fp_ieee_underflow 0
		.amdhsa_exception_fp_ieee_inexact 0
		.amdhsa_exception_int_div_zero 0
	.end_amdhsa_kernel
	.section	.text._ZL12mul_mat_q4_1IfLb1EEvPKvS1_PT_iiiii,"axG",@progbits,_ZL12mul_mat_q4_1IfLb1EEvPKvS1_PT_iiiii,comdat
.Lfunc_end120:
	.size	_ZL12mul_mat_q4_1IfLb1EEvPKvS1_PT_iiiii, .Lfunc_end120-_ZL12mul_mat_q4_1IfLb1EEvPKvS1_PT_iiiii
                                        ; -- End function
	.section	.AMDGPU.csdata,"",@progbits
; Kernel info:
; codeLenInByte = 10532
; NumSgprs: 24
; NumVgprs: 172
; NumAgprs: 0
; TotalNumVgprs: 172
; ScratchSize: 0
; MemoryBound: 0
; FloatMode: 240
; IeeeMode: 1
; LDSByteSize: 30336 bytes/workgroup (compile time only)
; SGPRBlocks: 2
; VGPRBlocks: 21
; NumSGPRsForWavesPerEU: 24
; NumVGPRsForWavesPerEU: 172
; AccumOffset: 172
; Occupancy: 2
; WaveLimiterHint : 0
; COMPUTE_PGM_RSRC2:SCRATCH_EN: 0
; COMPUTE_PGM_RSRC2:USER_SGPR: 2
; COMPUTE_PGM_RSRC2:TRAP_HANDLER: 0
; COMPUTE_PGM_RSRC2:TGID_X_EN: 1
; COMPUTE_PGM_RSRC2:TGID_Y_EN: 1
; COMPUTE_PGM_RSRC2:TGID_Z_EN: 0
; COMPUTE_PGM_RSRC2:TIDIG_COMP_CNT: 1
; COMPUTE_PGM_RSRC3_GFX90A:ACCUM_OFFSET: 42
; COMPUTE_PGM_RSRC3_GFX90A:TG_SPLIT: 0
	.section	.text._ZL12mul_mat_q5_0IfLb0EEvPKvS1_PT_iiiii,"axG",@progbits,_ZL12mul_mat_q5_0IfLb0EEvPKvS1_PT_iiiii,comdat
	.globl	_ZL12mul_mat_q5_0IfLb0EEvPKvS1_PT_iiiii ; -- Begin function _ZL12mul_mat_q5_0IfLb0EEvPKvS1_PT_iiiii
	.p2align	8
	.type	_ZL12mul_mat_q5_0IfLb0EEvPKvS1_PT_iiiii,@function
_ZL12mul_mat_q5_0IfLb0EEvPKvS1_PT_iiiii: ; @_ZL12mul_mat_q5_0IfLb0EEvPKvS1_PT_iiiii
; %bb.0:
	s_load_dword s15, s[0:1], 0x18
	s_load_dwordx4 s[8:11], s[0:1], 0x20
	s_waitcnt lgkmcnt(0)
	s_lshl_b32 s11, s3, 6
	v_bfe_u32 v29, v0, 10, 10
	s_cmp_gt_i32 s15, 31
	s_cbranch_scc1 .LBB121_2
; %bb.1:
	v_bfe_u32 v26, v0, 10, 10
	s_mov_b32 s4, 0
	v_and_b32_e32 v1, 0x3ff, v0
	v_add_u32_e32 v33, s11, v26
	s_mov_b32 s5, s4
	s_mov_b64 s[6:7], 0
	s_branch .LBB121_3
.LBB121_2:
	s_mov_b64 s[6:7], -1
                                        ; implicit-def: $sgpr4_sgpr5
                                        ; implicit-def: $vgpr26
                                        ; implicit-def: $vgpr1
                                        ; implicit-def: $vgpr33
.LBB121_3:
	s_load_dwordx2 s[12:13], s[0:1], 0x10
	s_lshl_b32 s14, s2, 7
	s_andn2_b64 vcc, exec, s[6:7]
	v_mov_b64_e32 v[2:3], s[4:5]
	v_mov_b64_e32 v[10:11], s[4:5]
	;; [unrolled: 1-line block ×16, first 2 shown]
	s_cbranch_vccnz .LBB121_13
; %bb.4:
	s_ashr_i32 s4, s15, 31
	s_load_dwordx4 s[0:3], s[0:1], 0x0
	s_lshr_b32 s4, s4, 27
	s_ashr_i32 s5, s9, 31
	s_add_i32 s4, s15, s4
	s_lshr_b32 s5, s5, 27
	s_ashr_i32 s6, s4, 5
	s_add_i32 s5, s9, s5
	s_ashr_i32 s15, s5, 5
	s_mul_i32 s5, s6, s14
	s_mul_hi_i32 s9, s5, 22
	s_mul_i32 s5, s5, 22
	s_waitcnt lgkmcnt(0)
	s_add_u32 s7, s0, s5
	s_addc_u32 s9, s1, s9
	v_mul_lo_u32 v28, s6, v29
	s_lshl_b32 s5, s6, 3
	v_add_u32_e32 v32, s5, v28
	v_add_u32_e32 v34, s5, v32
	;; [unrolled: 1-line block ×11, first 2 shown]
	v_and_b32_e32 v1, 0x3ff, v0
	v_add_u32_e32 v60, s5, v58
	v_lshlrev_b32_e32 v3, 3, v1
	s_movk_i32 s1, 0x104
	v_add_u32_e32 v62, s5, v60
	v_lshrrev_b32_e32 v73, 3, v1
	v_mad_u32_u24 v35, v29, s1, v3
	v_add_u32_e32 v64, s5, v62
	v_and_b32_e32 v68, 7, v1
	v_lshl_add_u32 v3, v29, 2, v73
	v_add_u32_e32 v66, s5, v64
	v_and_b32_e32 v4, 0x7fc, v3
	v_lshlrev_b32_e32 v5, 2, v68
	s_mov_b32 s5, 0xa200
	v_add3_u32 v8, v4, v5, s5
	v_add_u32_e32 v4, 32, v3
	v_mul_lo_u32 v70, s6, v3
	v_lshlrev_b32_e32 v9, 5, v3
	v_and_b32_e32 v6, 0xffc, v4
	v_lshlrev_b32_e32 v11, 5, v4
	v_add_u32_e32 v4, 64, v3
	v_add_u32_e32 v3, 0x60, v3
	v_lshrrev_b32_e32 v0, 2, v1
	s_andn2_b32 s4, s4, 31
	v_add3_u32 v10, v6, v5, s5
	v_and_b32_e32 v6, 0xffc, v4
	v_lshlrev_b32_e32 v13, 5, v4
	v_and_b32_e32 v4, 0xffc, v3
	v_lshlrev_b32_e32 v15, 5, v3
	v_lshlrev_b32_e32 v3, 2, v1
	v_mov_b32_e32 v27, 0
	v_add_u32_e32 v72, s4, v70
	v_add3_u32 v12, v6, v5, s5
	v_and_b32_e32 v6, 28, v3
	v_lshl_add_u32 v3, v29, 3, v0
	v_add_u32_e32 v74, s4, v72
	v_mov_b32_e32 v7, v27
	v_and_b32_e32 v3, 63, v3
	v_and_b32_e32 v2, 3, v1
	v_add_u32_e32 v76, s4, v74
	s_add_i32 s4, s8, -1
	v_lshl_add_u64 v[78:79], s[2:3], 0, v[6:7]
	v_or_b32_e32 v6, s11, v3
	v_lshlrev_b32_e32 v26, 2, v2
	v_min_i32_e32 v6, s4, v6
	v_add3_u32 v14, v4, v5, s5
	v_add_u32_e32 v33, s11, v29
	v_cvt_f64_i32_e32 v[4:5], s4
	v_mad_u64_u32 v[80:81], s[4:5], v6, s15, v[2:3]
	v_lshl_or_b32 v2, v3, 4, v26
	v_add_u32_e32 v75, 0xb280, v2
	v_cvt_f64_u32_e32 v[2:3], v33
	v_min_f64 v[2:3], v[2:3], v[4:5]
	v_cvt_i32_f64_e32 v2, v[2:3]
	v_mul_lo_u32 v77, s15, v2
	v_add_u32_e32 v2, 8, v33
	v_cvt_f64_u32_e32 v[2:3], v2
	v_min_f64 v[2:3], v[2:3], v[4:5]
	v_cvt_i32_f64_e32 v2, v[2:3]
	v_mul_lo_u32 v85, s15, v2
	;; [unrolled: 5-line block ×8, first 2 shown]
	v_add_u32_e32 v2, 32, v1
	v_lshlrev_b32_e32 v5, 5, v1
	v_lshrrev_b32_e32 v136, 3, v2
	v_and_b32_e32 v2, 0x1fc, v2
	v_and_b32_e32 v16, 31, v1
	v_lshlrev_b32_e32 v6, 7, v29
	v_add_u32_e32 v2, v5, v2
	s_mov_b32 s0, 0
	v_lshl_or_b32 v7, v16, 2, v6
	v_add_u32_e32 v3, 64, v1
	v_add_u32_e32 v4, 0x60, v1
	;; [unrolled: 1-line block ×4, first 2 shown]
	v_mov_b32_e32 v2, 0x80
	v_add_u32_e32 v81, 0x8200, v7
	v_add_u32_e32 v87, 0x8600, v7
	;; [unrolled: 1-line block ×8, first 2 shown]
	v_and_b32_e32 v4, 0x1fc, v4
	v_and_b32_e32 v3, 0x1fc, v3
	;; [unrolled: 1-line block ×3, first 2 shown]
	v_mad_u32_u24 v147, v1, s1, v2
	s_mov_b32 s1, s0
	v_add_u32_e32 v4, v5, v4
	v_add_u32_e32 v3, v5, v3
	;; [unrolled: 1-line block ×4, first 2 shown]
	v_mov_b32_e32 v6, 0xb280
	v_mov_b64_e32 v[56:57], s[0:1]
	v_add_u32_e32 v37, 0x820, v35
	v_add_u32_e32 v39, 0x1040, v35
	;; [unrolled: 1-line block ×15, first 2 shown]
	v_mul_u32_u24_e32 v135, 0x104, v1
	v_add_u32_e32 v137, 0xae00, v4
	v_add_u32_e32 v138, 0xaa00, v3
	;; [unrolled: 1-line block ×3, first 2 shown]
	v_lshl_add_u32 v142, v29, 4, v6
	v_add_u32_e32 v143, 0xae10, v4
	v_add_u32_e32 v144, 0xaa10, v3
	;; [unrolled: 1-line block ×3, first 2 shown]
	s_movk_i32 s1, 0x1f00
	s_movk_i32 s15, 0xf000
	;; [unrolled: 1-line block ×3, first 2 shown]
	v_add_u32_e32 v148, v8, v9
	v_add_u32_e32 v149, v10, v11
	;; [unrolled: 1-line block ×4, first 2 shown]
	v_mov_b32_e32 v152, 8
	v_mov_b64_e32 v[24:25], v[56:57]
	v_mov_b64_e32 v[16:17], v[56:57]
	;; [unrolled: 1-line block ×15, first 2 shown]
	s_branch .LBB121_6
.LBB121_5:                              ;   in Loop: Header=BB121_6 Depth=1
	s_add_i32 s0, s0, 8
	s_cmp_ge_i32 s0, s6
	s_cbranch_scc1 .LBB121_12
.LBB121_6:                              ; =>This Loop Header: Depth=1
                                        ;     Child Loop BB121_7 Depth 2
                                        ;     Child Loop BB121_10 Depth 2
	s_mul_i32 s4, s0, 22
	s_mul_hi_u32 s5, s0, 22
	s_add_u32 s4, s7, s4
	s_addc_u32 s5, s9, s5
	v_mad_u64_u32 v[82:83], s[18:19], v0, 22, s[4:5]
	v_mad_u64_u32 v[88:89], s[18:19], v28, 22, v[82:83]
	v_lshl_add_u64 v[92:93], v[88:89], 0, v[26:27]
	v_mad_u64_u32 v[98:99], s[18:19], v36, 22, v[82:83]
	v_mad_u64_u32 v[94:95], s[18:19], v32, 22, v[82:83]
	;; [unrolled: 1-line block ×3, first 2 shown]
	global_load_dword v84, v[98:99], off offset:2
	global_load_dword v86, v[96:97], off offset:2
	;; [unrolled: 1-line block ×4, first 2 shown]
	s_nop 0
	global_load_dword v92, v[92:93], off offset:6
	v_lshl_add_u64 v[88:89], v[94:95], 0, v[26:27]
	global_load_dword v93, v[88:89], off offset:6
	v_lshl_add_u64 v[88:89], v[96:97], 0, v[26:27]
	;; [unrolled: 2-line block ×3, first 2 shown]
	global_load_dword v107, v[88:89], off offset:6
	v_mov_b32_e32 v153, v142
	v_mov_b32_e32 v154, v141
	;; [unrolled: 1-line block ×7, first 2 shown]
	s_waitcnt vmcnt(7)
	v_ashrrev_i32_e32 v84, v26, v84
	s_waitcnt vmcnt(6)
	v_ashrrev_i32_e32 v86, v26, v86
	;; [unrolled: 2-line block ×4, first 2 shown]
	v_lshlrev_b32_e32 v95, 4, v88
	v_lshlrev_b32_e32 v96, 11, v88
	;; [unrolled: 1-line block ×4, first 2 shown]
	v_lshrrev_b32_e32 v99, 12, v88
	v_lshrrev_b32_e32 v100, 5, v88
	v_lshlrev_b32_e32 v101, 2, v88
	s_waitcnt vmcnt(3)
	v_and_b32_e32 v89, 0xf0f0f0f, v92
	v_lshrrev_b32_e32 v92, 4, v92
	v_lshlrev_b32_e32 v88, 9, v88
	v_lshlrev_b32_e32 v102, 4, v90
	;; [unrolled: 1-line block ×5, first 2 shown]
	v_and_b32_e32 v95, 16, v95
	v_and_b32_e32 v96, 0x1000, v96
	;; [unrolled: 1-line block ×7, first 2 shown]
	s_waitcnt vmcnt(2)
	v_and_b32_e32 v94, 0xf0f0f0f, v93
	v_and_b32_e32 v92, 0xf0f0f0f, v92
	;; [unrolled: 1-line block ×7, first 2 shown]
	v_or3_b32 v95, v95, v89, v96
	v_or3_b32 v89, v89, v97, v98
	;; [unrolled: 1-line block ×5, first 2 shown]
	v_and_b32_e32 v98, 0x1f00, v95
	v_lshlrev_b16_e32 v95, 8, v95
	v_and_b32_sdwa v99, v89, s1 dst_sel:DWORD dst_unused:UNUSED_PAD src0_sel:WORD_1 src1_sel:DWORD
	v_lshlrev_b16_sdwa v89, v152, v89 dst_sel:DWORD dst_unused:UNUSED_PAD src0_sel:DWORD src1_sel:WORD_1
	v_or3_b32 v88, v96, v88, v92
	v_and_b32_e32 v92, 0x1f00, v97
	v_lshlrev_b16_e32 v96, 8, v97
	v_and_b32_sdwa v97, v94, s1 dst_sel:DWORD dst_unused:UNUSED_PAD src0_sel:WORD_1 src1_sel:DWORD
	v_lshlrev_b16_sdwa v94, v152, v94 dst_sel:DWORD dst_unused:UNUSED_PAD src0_sel:DWORD src1_sel:WORD_1
	v_add_u16_e32 v95, 0xf000, v95
	v_add_u16_e32 v89, 0xf000, v89
	v_lshlrev_b16_e32 v101, 8, v88
	v_and_b32_sdwa v102, v88, s16 dst_sel:DWORD dst_unused:UNUSED_PAD src0_sel:WORD_1 src1_sel:DWORD
	v_and_b32_e32 v100, 0x1f00, v88
	v_lshlrev_b16_sdwa v88, v152, v88 dst_sel:DWORD dst_unused:UNUSED_PAD src0_sel:DWORD src1_sel:WORD_1
	v_add_u16_e32 v96, 0xf000, v96
	v_add_u16_e32 v94, 0xf000, v94
	v_or_b32_sdwa v95, v98, v95 dst_sel:DWORD dst_unused:UNUSED_PAD src0_sel:DWORD src1_sel:BYTE_1
	v_or_b32_sdwa v89, v99, v89 dst_sel:DWORD dst_unused:UNUSED_PAD src0_sel:DWORD src1_sel:BYTE_1
	v_add_i16 v98, v101, s15 clamp
	v_add_i16 v99, v102, s15 clamp
	;; [unrolled: 1-line block ×3, first 2 shown]
	v_or_b32_sdwa v92, v92, v96 dst_sel:DWORD dst_unused:UNUSED_PAD src0_sel:DWORD src1_sel:BYTE_1
	v_or_b32_sdwa v94, v97, v94 dst_sel:DWORD dst_unused:UNUSED_PAD src0_sel:DWORD src1_sel:BYTE_1
	v_add_u16_e32 v95, 0xf000, v95
	v_add_u16_sdwa v89, v89, s15 dst_sel:WORD_1 dst_unused:UNUSED_PAD src0_sel:DWORD src1_sel:DWORD
	v_or_b32_sdwa v96, v100, v98 dst_sel:DWORD dst_unused:UNUSED_PAD src0_sel:DWORD src1_sel:BYTE_1
	v_and_b32_e32 v97, 0xffffff00, v99
	v_or_b32_e32 v89, v95, v89
	v_add_u16_e32 v95, 0xf000, v96
	v_or_b32_sdwa v88, v88, v97 dst_sel:WORD_1 dst_unused:UNUSED_PAD src0_sel:BYTE_1 src1_sel:DWORD
	v_add_u16_e32 v92, 0xf000, v92
	v_add_u16_sdwa v94, v94, s15 dst_sel:WORD_1 dst_unused:UNUSED_PAD src0_sel:DWORD src1_sel:DWORD
	v_or_b32_e32 v88, v95, v88
	v_or_b32_e32 v92, v92, v94
	ds_write2_b32 v35, v89, v88 offset1:1
	v_lshrrev_b32_e32 v88, 4, v93
	v_lshrrev_b32_e32 v89, 12, v90
	;; [unrolled: 1-line block ×3, first 2 shown]
	v_lshlrev_b32_e32 v94, 2, v90
	v_and_b32_e32 v89, 16, v89
	v_and_b32_e32 v93, 0x1000, v93
	;; [unrolled: 1-line block ×3, first 2 shown]
	v_lshlrev_b32_e32 v90, 9, v90
	v_and_b32_e32 v88, 0xf0f0f0f, v88
	v_and_b32_e32 v90, 0x10000000, v90
	v_or3_b32 v89, v93, v89, v94
	v_or3_b32 v88, v89, v90, v88
	v_lshlrev_b16_e32 v90, 8, v88
	v_and_b32_e32 v89, 0x1f00, v88
	v_add_i16 v90, v90, s15 clamp
	v_or_b32_sdwa v89, v89, v90 dst_sel:DWORD dst_unused:UNUSED_PAD src0_sel:DWORD src1_sel:BYTE_1
	v_and_b32_sdwa v90, v88, s16 dst_sel:DWORD dst_unused:UNUSED_PAD src0_sel:WORD_1 src1_sel:DWORD
	v_add_i16 v90, v90, s15 clamp
	v_lshlrev_b16_sdwa v88, v152, v88 dst_sel:DWORD dst_unused:UNUSED_PAD src0_sel:DWORD src1_sel:WORD_1
	v_and_b32_e32 v90, 0xffffff00, v90
	v_add_i16 v88, v88, s15 clamp
	v_add_u16_e32 v89, 0xf000, v89
	v_or_b32_sdwa v88, v88, v90 dst_sel:WORD_1 dst_unused:UNUSED_PAD src0_sel:BYTE_1 src1_sel:DWORD
	v_lshlrev_b32_e32 v90, 11, v86
	v_or_b32_e32 v88, v89, v88
	v_lshlrev_b32_e32 v89, 4, v86
	ds_write2_b32 v37, v92, v88 offset1:1
	s_waitcnt vmcnt(1)
	v_and_b32_e32 v88, 0xf0f0f0f, v106
	v_and_b32_e32 v89, 16, v89
	;; [unrolled: 1-line block ×3, first 2 shown]
	v_or3_b32 v89, v89, v88, v90
	v_lshlrev_b32_e32 v90, 18, v86
	v_lshlrev_b32_e32 v92, 25, v86
	v_and_b32_e32 v90, 0x100000, v90
	v_and_b32_e32 v92, 0x10000000, v92
	v_or3_b32 v90, v88, v90, v92
	v_and_b32_e32 v88, 0x1f00, v89
	v_lshlrev_b16_e32 v89, 8, v89
	v_add_u16_e32 v89, 0xf000, v89
	v_or_b32_sdwa v88, v88, v89 dst_sel:DWORD dst_unused:UNUSED_PAD src0_sel:DWORD src1_sel:BYTE_1
	v_add_u16_e32 v108, 0xf000, v88
	v_mad_u64_u32 v[88:89], s[18:19], v38, 22, v[82:83]
	v_mad_u64_u32 v[94:95], s[18:19], v42, 22, v[82:83]
	;; [unrolled: 1-line block ×3, first 2 shown]
	v_lshl_add_u64 v[92:93], v[88:89], 0, v[26:27]
	v_lshl_add_u64 v[96:97], v[94:95], 0, v[26:27]
	v_mad_u64_u32 v[98:99], s[18:19], v44, 22, v[82:83]
	v_lshl_add_u64 v[104:105], v[102:103], 0, v[26:27]
	v_lshl_add_u64 v[100:101], v[98:99], 0, v[26:27]
	global_load_dword v109, v[104:105], off offset:6
	global_load_dword v110, v[102:103], off offset:2
	;; [unrolled: 1-line block ×3, first 2 shown]
	s_nop 0
	global_load_dword v98, v[98:99], off offset:2
	s_nop 0
	global_load_dword v96, v[96:97], off offset:6
	;; [unrolled: 2-line block ×5, first 2 shown]
	v_and_b32_sdwa v89, v90, s1 dst_sel:DWORD dst_unused:UNUSED_PAD src0_sel:WORD_1 src1_sel:DWORD
	v_lshlrev_b16_sdwa v90, v152, v90 dst_sel:DWORD dst_unused:UNUSED_PAD src0_sel:DWORD src1_sel:WORD_1
	v_add_u16_e32 v90, 0xf000, v90
	v_lshrrev_b32_e32 v93, 12, v86
	v_lshrrev_b32_e32 v95, 5, v86
	v_lshlrev_b32_e32 v97, 2, v86
	v_or_b32_sdwa v89, v89, v90 dst_sel:DWORD dst_unused:UNUSED_PAD src0_sel:DWORD src1_sel:BYTE_1
	v_lshrrev_b32_e32 v90, 4, v106
	v_and_b32_e32 v93, 16, v93
	v_and_b32_e32 v95, 0x1000, v95
	;; [unrolled: 1-line block ×3, first 2 shown]
	v_lshlrev_b32_e32 v86, 9, v86
	v_and_b32_e32 v90, 0xf0f0f0f, v90
	v_and_b32_e32 v86, 0x10000000, v86
	v_or3_b32 v93, v95, v93, v97
	v_or3_b32 v86, v93, v86, v90
	v_lshlrev_b16_e32 v93, 8, v86
	v_and_b32_e32 v90, 0x1f00, v86
	v_add_i16 v93, v93, s15 clamp
	v_or_b32_sdwa v90, v90, v93 dst_sel:DWORD dst_unused:UNUSED_PAD src0_sel:DWORD src1_sel:BYTE_1
	v_and_b32_sdwa v93, v86, s16 dst_sel:DWORD dst_unused:UNUSED_PAD src0_sel:WORD_1 src1_sel:DWORD
	v_add_i16 v93, v93, s15 clamp
	v_lshlrev_b16_sdwa v86, v152, v86 dst_sel:DWORD dst_unused:UNUSED_PAD src0_sel:DWORD src1_sel:WORD_1
	v_and_b32_e32 v93, 0xffffff00, v93
	v_add_i16 v86, v86, s15 clamp
	v_add_u16_sdwa v89, v89, s15 dst_sel:WORD_1 dst_unused:UNUSED_PAD src0_sel:DWORD src1_sel:DWORD
	v_add_u16_e32 v90, 0xf000, v90
	v_or_b32_sdwa v86, v86, v93 dst_sel:WORD_1 dst_unused:UNUSED_PAD src0_sel:BYTE_1 src1_sel:DWORD
	v_or_b32_e32 v89, v108, v89
	v_or_b32_e32 v86, v90, v86
	ds_write2_b32 v39, v89, v86 offset1:1
	v_lshlrev_b32_e32 v89, 4, v84
	v_lshlrev_b32_e32 v90, 11, v84
	s_waitcnt vmcnt(8)
	v_and_b32_e32 v86, 0xf0f0f0f, v107
	v_and_b32_e32 v89, 16, v89
	;; [unrolled: 1-line block ×3, first 2 shown]
	v_or3_b32 v89, v89, v86, v90
	v_lshlrev_b32_e32 v90, 18, v84
	v_lshlrev_b32_e32 v93, 25, v84
	v_and_b32_e32 v90, 0x100000, v90
	v_and_b32_e32 v93, 0x10000000, v93
	v_or3_b32 v86, v86, v90, v93
	v_and_b32_e32 v90, 0x1f00, v89
	v_lshlrev_b16_e32 v89, 8, v89
	v_add_u16_e32 v89, 0xf000, v89
	v_or_b32_sdwa v89, v90, v89 dst_sel:DWORD dst_unused:UNUSED_PAD src0_sel:DWORD src1_sel:BYTE_1
	v_and_b32_sdwa v90, v86, s1 dst_sel:DWORD dst_unused:UNUSED_PAD src0_sel:WORD_1 src1_sel:DWORD
	v_lshlrev_b16_sdwa v86, v152, v86 dst_sel:DWORD dst_unused:UNUSED_PAD src0_sel:DWORD src1_sel:WORD_1
	v_add_u16_e32 v86, 0xf000, v86
	v_or_b32_sdwa v86, v90, v86 dst_sel:DWORD dst_unused:UNUSED_PAD src0_sel:DWORD src1_sel:BYTE_1
	v_add_u16_e32 v89, 0xf000, v89
	v_add_u16_sdwa v86, v86, s15 dst_sel:WORD_1 dst_unused:UNUSED_PAD src0_sel:DWORD src1_sel:DWORD
	v_lshrrev_b32_e32 v90, 12, v84
	v_lshrrev_b32_e32 v93, 5, v84
	v_lshlrev_b32_e32 v95, 2, v84
	v_or_b32_e32 v86, v89, v86
	v_lshrrev_b32_e32 v89, 4, v107
	v_and_b32_e32 v90, 16, v90
	v_and_b32_e32 v93, 0x1000, v93
	;; [unrolled: 1-line block ×3, first 2 shown]
	v_lshlrev_b32_e32 v84, 9, v84
	v_and_b32_e32 v89, 0xf0f0f0f, v89
	v_and_b32_e32 v84, 0x10000000, v84
	v_or3_b32 v90, v93, v90, v95
	v_or3_b32 v84, v90, v84, v89
	v_lshlrev_b16_e32 v90, 8, v84
	v_and_b32_e32 v89, 0x1f00, v84
	v_add_i16 v90, v90, s15 clamp
	v_or_b32_sdwa v89, v89, v90 dst_sel:DWORD dst_unused:UNUSED_PAD src0_sel:DWORD src1_sel:BYTE_1
	v_and_b32_sdwa v90, v84, s16 dst_sel:DWORD dst_unused:UNUSED_PAD src0_sel:WORD_1 src1_sel:DWORD
	v_add_i16 v90, v90, s15 clamp
	v_lshlrev_b16_sdwa v84, v152, v84 dst_sel:DWORD dst_unused:UNUSED_PAD src0_sel:DWORD src1_sel:WORD_1
	v_and_b32_e32 v90, 0xffffff00, v90
	v_add_i16 v84, v84, s15 clamp
	v_add_u16_e32 v89, 0xf000, v89
	v_or_b32_sdwa v84, v84, v90 dst_sel:WORD_1 dst_unused:UNUSED_PAD src0_sel:BYTE_1 src1_sel:DWORD
	v_mad_u64_u32 v[102:103], s[18:19], v58, 22, v[82:83]
	v_or_b32_e32 v84, v89, v84
	ds_write2_b32 v43, v86, v84 offset1:1
	s_waitcnt vmcnt(0)
	v_ashrrev_i32_e32 v84, v26, v88
	v_lshlrev_b32_e32 v88, 4, v84
	v_lshlrev_b32_e32 v89, 11, v84
	v_and_b32_e32 v86, 0xf0f0f0f, v92
	v_and_b32_e32 v88, 16, v88
	;; [unrolled: 1-line block ×3, first 2 shown]
	v_or3_b32 v88, v88, v86, v89
	v_lshlrev_b32_e32 v89, 18, v84
	v_lshlrev_b32_e32 v90, 25, v84
	v_and_b32_e32 v89, 0x100000, v89
	v_and_b32_e32 v90, 0x10000000, v90
	v_or3_b32 v86, v86, v89, v90
	v_and_b32_e32 v89, 0x1f00, v88
	v_lshlrev_b16_e32 v88, 8, v88
	v_add_u16_e32 v88, 0xf000, v88
	v_or_b32_sdwa v88, v89, v88 dst_sel:DWORD dst_unused:UNUSED_PAD src0_sel:DWORD src1_sel:BYTE_1
	v_and_b32_sdwa v89, v86, s1 dst_sel:DWORD dst_unused:UNUSED_PAD src0_sel:WORD_1 src1_sel:DWORD
	v_lshlrev_b16_sdwa v86, v152, v86 dst_sel:DWORD dst_unused:UNUSED_PAD src0_sel:DWORD src1_sel:WORD_1
	v_add_u16_e32 v86, 0xf000, v86
	v_or_b32_sdwa v86, v89, v86 dst_sel:DWORD dst_unused:UNUSED_PAD src0_sel:DWORD src1_sel:BYTE_1
	v_add_u16_e32 v88, 0xf000, v88
	v_add_u16_sdwa v86, v86, s15 dst_sel:WORD_1 dst_unused:UNUSED_PAD src0_sel:DWORD src1_sel:DWORD
	v_lshrrev_b32_e32 v89, 12, v84
	v_or_b32_e32 v86, v88, v86
	v_lshrrev_b32_e32 v88, 4, v92
	v_lshrrev_b32_e32 v90, 5, v84
	v_lshlrev_b32_e32 v92, 2, v84
	v_and_b32_e32 v89, 16, v89
	v_and_b32_e32 v90, 0x1000, v90
	;; [unrolled: 1-line block ×3, first 2 shown]
	v_lshlrev_b32_e32 v84, 9, v84
	v_and_b32_e32 v88, 0xf0f0f0f, v88
	v_and_b32_e32 v84, 0x10000000, v84
	v_or3_b32 v89, v90, v89, v92
	v_or3_b32 v84, v89, v84, v88
	v_lshlrev_b16_e32 v89, 8, v84
	v_and_b32_e32 v88, 0x1f00, v84
	v_add_i16 v89, v89, s15 clamp
	v_or_b32_sdwa v88, v88, v89 dst_sel:DWORD dst_unused:UNUSED_PAD src0_sel:DWORD src1_sel:BYTE_1
	v_and_b32_sdwa v89, v84, s16 dst_sel:DWORD dst_unused:UNUSED_PAD src0_sel:WORD_1 src1_sel:DWORD
	v_add_i16 v89, v89, s15 clamp
	v_lshlrev_b16_sdwa v84, v152, v84 dst_sel:DWORD dst_unused:UNUSED_PAD src0_sel:DWORD src1_sel:WORD_1
	v_and_b32_e32 v89, 0xffffff00, v89
	v_add_i16 v84, v84, s15 clamp
	v_add_u16_e32 v88, 0xf000, v88
	v_or_b32_sdwa v84, v84, v89 dst_sel:WORD_1 dst_unused:UNUSED_PAD src0_sel:BYTE_1 src1_sel:DWORD
	v_lshl_add_u64 v[104:105], v[102:103], 0, v[26:27]
	v_or_b32_e32 v84, v88, v84
	ds_write2_b32 v45, v86, v84 offset1:1
	v_ashrrev_i32_e32 v84, v26, v94
	v_lshlrev_b32_e32 v88, 4, v84
	v_lshlrev_b32_e32 v89, 11, v84
	v_and_b32_e32 v86, 0xf0f0f0f, v96
	v_and_b32_e32 v88, 16, v88
	;; [unrolled: 1-line block ×3, first 2 shown]
	v_or3_b32 v88, v88, v86, v89
	v_lshlrev_b32_e32 v89, 18, v84
	v_lshlrev_b32_e32 v90, 25, v84
	v_and_b32_e32 v89, 0x100000, v89
	v_and_b32_e32 v90, 0x10000000, v90
	v_or3_b32 v86, v86, v89, v90
	v_and_b32_e32 v89, 0x1f00, v88
	v_lshlrev_b16_e32 v88, 8, v88
	v_add_u16_e32 v88, 0xf000, v88
	v_or_b32_sdwa v88, v89, v88 dst_sel:DWORD dst_unused:UNUSED_PAD src0_sel:DWORD src1_sel:BYTE_1
	v_and_b32_sdwa v89, v86, s1 dst_sel:DWORD dst_unused:UNUSED_PAD src0_sel:WORD_1 src1_sel:DWORD
	v_lshlrev_b16_sdwa v86, v152, v86 dst_sel:DWORD dst_unused:UNUSED_PAD src0_sel:DWORD src1_sel:WORD_1
	v_add_u16_e32 v86, 0xf000, v86
	v_or_b32_sdwa v86, v89, v86 dst_sel:DWORD dst_unused:UNUSED_PAD src0_sel:DWORD src1_sel:BYTE_1
	v_add_u16_e32 v88, 0xf000, v88
	v_add_u16_sdwa v86, v86, s15 dst_sel:WORD_1 dst_unused:UNUSED_PAD src0_sel:DWORD src1_sel:DWORD
	v_lshrrev_b32_e32 v89, 12, v84
	v_lshrrev_b32_e32 v90, 5, v84
	v_lshlrev_b32_e32 v92, 2, v84
	v_or_b32_e32 v86, v88, v86
	v_lshrrev_b32_e32 v88, 4, v96
	v_and_b32_e32 v89, 16, v89
	v_and_b32_e32 v90, 0x1000, v90
	;; [unrolled: 1-line block ×3, first 2 shown]
	v_lshlrev_b32_e32 v84, 9, v84
	v_and_b32_e32 v88, 0xf0f0f0f, v88
	v_and_b32_e32 v84, 0x10000000, v84
	v_or3_b32 v89, v90, v89, v92
	v_or3_b32 v84, v89, v84, v88
	v_lshlrev_b16_e32 v89, 8, v84
	v_and_b32_e32 v88, 0x1f00, v84
	v_add_i16 v89, v89, s15 clamp
	v_or_b32_sdwa v88, v88, v89 dst_sel:DWORD dst_unused:UNUSED_PAD src0_sel:DWORD src1_sel:BYTE_1
	v_and_b32_sdwa v89, v84, s16 dst_sel:DWORD dst_unused:UNUSED_PAD src0_sel:WORD_1 src1_sel:DWORD
	v_add_i16 v89, v89, s15 clamp
	v_lshlrev_b16_sdwa v84, v152, v84 dst_sel:DWORD dst_unused:UNUSED_PAD src0_sel:DWORD src1_sel:WORD_1
	v_and_b32_e32 v89, 0xffffff00, v89
	v_add_i16 v84, v84, s15 clamp
	v_add_u16_e32 v88, 0xf000, v88
	v_or_b32_sdwa v84, v84, v89 dst_sel:WORD_1 dst_unused:UNUSED_PAD src0_sel:BYTE_1 src1_sel:DWORD
	v_mad_u64_u32 v[94:95], s[18:19], v52, 22, v[82:83]
	v_or_b32_e32 v84, v88, v84
	ds_write2_b32 v47, v86, v84 offset1:1
	v_ashrrev_i32_e32 v84, v26, v98
	v_lshlrev_b32_e32 v88, 4, v84
	v_lshlrev_b32_e32 v89, 11, v84
	v_and_b32_e32 v86, 0xf0f0f0f, v111
	v_and_b32_e32 v88, 16, v88
	;; [unrolled: 1-line block ×3, first 2 shown]
	v_or3_b32 v88, v88, v86, v89
	v_lshlrev_b32_e32 v89, 18, v84
	v_lshlrev_b32_e32 v90, 25, v84
	v_and_b32_e32 v89, 0x100000, v89
	v_and_b32_e32 v90, 0x10000000, v90
	v_or3_b32 v86, v86, v89, v90
	v_and_b32_e32 v89, 0x1f00, v88
	v_lshlrev_b16_e32 v88, 8, v88
	v_add_u16_e32 v88, 0xf000, v88
	v_or_b32_sdwa v88, v89, v88 dst_sel:DWORD dst_unused:UNUSED_PAD src0_sel:DWORD src1_sel:BYTE_1
	v_add_u16_e32 v90, 0xf000, v88
	v_mad_u64_u32 v[88:89], s[18:19], v48, 22, v[82:83]
	v_lshl_add_u64 v[92:93], v[88:89], 0, v[26:27]
	v_lshl_add_u64 v[96:97], v[94:95], 0, v[26:27]
	v_mad_u64_u32 v[98:99], s[18:19], v54, 22, v[82:83]
	v_lshl_add_u64 v[100:101], v[98:99], 0, v[26:27]
	global_load_dword v104, v[104:105], off offset:6
	s_nop 0
	global_load_dword v105, v[102:103], off offset:2
	global_load_dword v106, v[100:101], off offset:6
	s_nop 0
	global_load_dword v98, v[98:99], off offset:2
	s_nop 0
	;; [unrolled: 2-line block ×5, first 2 shown]
	global_load_dword v88, v[88:89], off offset:2
	v_and_b32_sdwa v89, v86, s1 dst_sel:DWORD dst_unused:UNUSED_PAD src0_sel:WORD_1 src1_sel:DWORD
	v_lshlrev_b16_sdwa v86, v152, v86 dst_sel:DWORD dst_unused:UNUSED_PAD src0_sel:DWORD src1_sel:WORD_1
	v_add_u16_e32 v86, 0xf000, v86
	v_or_b32_sdwa v86, v89, v86 dst_sel:DWORD dst_unused:UNUSED_PAD src0_sel:DWORD src1_sel:BYTE_1
	v_add_u16_sdwa v86, v86, s15 dst_sel:WORD_1 dst_unused:UNUSED_PAD src0_sel:DWORD src1_sel:DWORD
	v_lshrrev_b32_e32 v93, 5, v84
	v_or_b32_e32 v86, v90, v86
	v_lshrrev_b32_e32 v90, 12, v84
	v_lshlrev_b32_e32 v95, 2, v84
	v_lshrrev_b32_e32 v89, 4, v111
	v_and_b32_e32 v90, 16, v90
	v_and_b32_e32 v93, 0x1000, v93
	;; [unrolled: 1-line block ×3, first 2 shown]
	v_lshlrev_b32_e32 v84, 9, v84
	v_and_b32_e32 v89, 0xf0f0f0f, v89
	v_and_b32_e32 v84, 0x10000000, v84
	v_or3_b32 v90, v93, v90, v95
	v_or3_b32 v84, v90, v84, v89
	v_lshlrev_b16_e32 v90, 8, v84
	v_and_b32_e32 v89, 0x1f00, v84
	v_add_i16 v90, v90, s15 clamp
	v_or_b32_sdwa v89, v89, v90 dst_sel:DWORD dst_unused:UNUSED_PAD src0_sel:DWORD src1_sel:BYTE_1
	v_and_b32_sdwa v90, v84, s16 dst_sel:DWORD dst_unused:UNUSED_PAD src0_sel:WORD_1 src1_sel:DWORD
	v_add_i16 v90, v90, s15 clamp
	v_lshlrev_b16_sdwa v84, v152, v84 dst_sel:DWORD dst_unused:UNUSED_PAD src0_sel:DWORD src1_sel:WORD_1
	v_and_b32_e32 v90, 0xffffff00, v90
	v_add_i16 v84, v84, s15 clamp
	v_add_u16_e32 v89, 0xf000, v89
	v_or_b32_sdwa v84, v84, v90 dst_sel:WORD_1 dst_unused:UNUSED_PAD src0_sel:BYTE_1 src1_sel:DWORD
	s_nop 0
	v_or_b32_e32 v84, v89, v84
	ds_write2_b32 v49, v86, v84 offset1:1
	v_ashrrev_i32_e32 v84, v26, v110
	v_lshlrev_b32_e32 v89, 4, v84
	v_lshlrev_b32_e32 v90, 11, v84
	v_and_b32_e32 v86, 0xf0f0f0f, v109
	v_and_b32_e32 v89, 16, v89
	;; [unrolled: 1-line block ×3, first 2 shown]
	v_or3_b32 v89, v89, v86, v90
	v_lshlrev_b32_e32 v90, 18, v84
	v_lshlrev_b32_e32 v93, 25, v84
	v_and_b32_e32 v90, 0x100000, v90
	v_and_b32_e32 v93, 0x10000000, v93
	v_or3_b32 v86, v86, v90, v93
	v_and_b32_e32 v90, 0x1f00, v89
	v_lshlrev_b16_e32 v89, 8, v89
	v_add_u16_e32 v89, 0xf000, v89
	v_or_b32_sdwa v89, v90, v89 dst_sel:DWORD dst_unused:UNUSED_PAD src0_sel:DWORD src1_sel:BYTE_1
	v_and_b32_sdwa v90, v86, s1 dst_sel:DWORD dst_unused:UNUSED_PAD src0_sel:WORD_1 src1_sel:DWORD
	v_lshlrev_b16_sdwa v86, v152, v86 dst_sel:DWORD dst_unused:UNUSED_PAD src0_sel:DWORD src1_sel:WORD_1
	v_add_u16_e32 v86, 0xf000, v86
	v_or_b32_sdwa v86, v90, v86 dst_sel:DWORD dst_unused:UNUSED_PAD src0_sel:DWORD src1_sel:BYTE_1
	v_add_u16_e32 v89, 0xf000, v89
	v_add_u16_sdwa v86, v86, s15 dst_sel:WORD_1 dst_unused:UNUSED_PAD src0_sel:DWORD src1_sel:DWORD
	v_lshrrev_b32_e32 v90, 12, v84
	v_lshrrev_b32_e32 v93, 5, v84
	v_lshlrev_b32_e32 v95, 2, v84
	v_or_b32_e32 v86, v89, v86
	v_lshrrev_b32_e32 v89, 4, v109
	v_and_b32_e32 v90, 16, v90
	v_and_b32_e32 v93, 0x1000, v93
	;; [unrolled: 1-line block ×3, first 2 shown]
	v_lshlrev_b32_e32 v84, 9, v84
	v_and_b32_e32 v89, 0xf0f0f0f, v89
	v_and_b32_e32 v84, 0x10000000, v84
	v_or3_b32 v90, v93, v90, v95
	v_or3_b32 v84, v90, v84, v89
	v_lshlrev_b16_e32 v90, 8, v84
	v_and_b32_e32 v89, 0x1f00, v84
	v_add_i16 v90, v90, s15 clamp
	v_or_b32_sdwa v89, v89, v90 dst_sel:DWORD dst_unused:UNUSED_PAD src0_sel:DWORD src1_sel:BYTE_1
	v_and_b32_sdwa v90, v84, s16 dst_sel:DWORD dst_unused:UNUSED_PAD src0_sel:WORD_1 src1_sel:DWORD
	v_add_i16 v90, v90, s15 clamp
	v_lshlrev_b16_sdwa v84, v152, v84 dst_sel:DWORD dst_unused:UNUSED_PAD src0_sel:DWORD src1_sel:WORD_1
	v_and_b32_e32 v90, 0xffffff00, v90
	v_add_i16 v84, v84, s15 clamp
	v_add_u16_e32 v89, 0xf000, v89
	v_or_b32_sdwa v84, v84, v90 dst_sel:WORD_1 dst_unused:UNUSED_PAD src0_sel:BYTE_1 src1_sel:DWORD
	s_nop 0
	v_or_b32_e32 v84, v89, v84
	ds_write2_b32 v53, v86, v84 offset1:1
	s_waitcnt vmcnt(0)
	v_ashrrev_i32_e32 v84, v26, v88
	v_lshlrev_b32_e32 v88, 4, v84
	v_lshlrev_b32_e32 v89, 11, v84
	v_and_b32_e32 v86, 0xf0f0f0f, v92
	v_and_b32_e32 v88, 16, v88
	;; [unrolled: 1-line block ×3, first 2 shown]
	v_or3_b32 v88, v88, v86, v89
	v_lshlrev_b32_e32 v89, 18, v84
	v_lshlrev_b32_e32 v90, 25, v84
	v_and_b32_e32 v89, 0x100000, v89
	v_and_b32_e32 v90, 0x10000000, v90
	v_or3_b32 v86, v86, v89, v90
	v_and_b32_e32 v89, 0x1f00, v88
	v_lshlrev_b16_e32 v88, 8, v88
	v_add_u16_e32 v88, 0xf000, v88
	v_or_b32_sdwa v88, v89, v88 dst_sel:DWORD dst_unused:UNUSED_PAD src0_sel:DWORD src1_sel:BYTE_1
	v_and_b32_sdwa v89, v86, s1 dst_sel:DWORD dst_unused:UNUSED_PAD src0_sel:WORD_1 src1_sel:DWORD
	v_lshlrev_b16_sdwa v86, v152, v86 dst_sel:DWORD dst_unused:UNUSED_PAD src0_sel:DWORD src1_sel:WORD_1
	v_add_u16_e32 v86, 0xf000, v86
	v_or_b32_sdwa v86, v89, v86 dst_sel:DWORD dst_unused:UNUSED_PAD src0_sel:DWORD src1_sel:BYTE_1
	v_add_u16_e32 v88, 0xf000, v88
	v_add_u16_sdwa v86, v86, s15 dst_sel:WORD_1 dst_unused:UNUSED_PAD src0_sel:DWORD src1_sel:DWORD
	v_lshrrev_b32_e32 v89, 12, v84
	v_or_b32_e32 v86, v88, v86
	v_lshrrev_b32_e32 v88, 4, v92
	v_lshrrev_b32_e32 v90, 5, v84
	v_lshlrev_b32_e32 v92, 2, v84
	v_and_b32_e32 v89, 16, v89
	v_and_b32_e32 v90, 0x1000, v90
	;; [unrolled: 1-line block ×3, first 2 shown]
	v_lshlrev_b32_e32 v84, 9, v84
	v_and_b32_e32 v88, 0xf0f0f0f, v88
	v_and_b32_e32 v84, 0x10000000, v84
	v_or3_b32 v89, v90, v89, v92
	v_or3_b32 v84, v89, v84, v88
	v_lshlrev_b16_e32 v89, 8, v84
	v_and_b32_e32 v88, 0x1f00, v84
	v_add_i16 v89, v89, s15 clamp
	v_or_b32_sdwa v88, v88, v89 dst_sel:DWORD dst_unused:UNUSED_PAD src0_sel:DWORD src1_sel:BYTE_1
	v_and_b32_sdwa v89, v84, s16 dst_sel:DWORD dst_unused:UNUSED_PAD src0_sel:WORD_1 src1_sel:DWORD
	v_add_i16 v89, v89, s15 clamp
	v_lshlrev_b16_sdwa v84, v152, v84 dst_sel:DWORD dst_unused:UNUSED_PAD src0_sel:DWORD src1_sel:WORD_1
	v_and_b32_e32 v89, 0xffffff00, v89
	v_add_i16 v84, v84, s15 clamp
	v_add_u16_e32 v88, 0xf000, v88
	v_or_b32_sdwa v84, v84, v89 dst_sel:WORD_1 dst_unused:UNUSED_PAD src0_sel:BYTE_1 src1_sel:DWORD
	s_nop 0
	v_or_b32_e32 v84, v88, v84
	ds_write2_b32 v55, v86, v84 offset1:1
	v_ashrrev_i32_e32 v84, v26, v94
	v_lshlrev_b32_e32 v88, 4, v84
	v_lshlrev_b32_e32 v89, 11, v84
	v_and_b32_e32 v86, 0xf0f0f0f, v96
	v_and_b32_e32 v88, 16, v88
	;; [unrolled: 1-line block ×3, first 2 shown]
	v_or3_b32 v88, v88, v86, v89
	v_lshlrev_b32_e32 v89, 18, v84
	v_lshlrev_b32_e32 v90, 25, v84
	v_and_b32_e32 v89, 0x100000, v89
	v_and_b32_e32 v90, 0x10000000, v90
	v_or3_b32 v86, v86, v89, v90
	v_and_b32_e32 v89, 0x1f00, v88
	v_lshlrev_b16_e32 v88, 8, v88
	v_add_u16_e32 v88, 0xf000, v88
	v_or_b32_sdwa v88, v89, v88 dst_sel:DWORD dst_unused:UNUSED_PAD src0_sel:DWORD src1_sel:BYTE_1
	v_and_b32_sdwa v89, v86, s1 dst_sel:DWORD dst_unused:UNUSED_PAD src0_sel:WORD_1 src1_sel:DWORD
	v_lshlrev_b16_sdwa v86, v152, v86 dst_sel:DWORD dst_unused:UNUSED_PAD src0_sel:DWORD src1_sel:WORD_1
	v_add_u16_e32 v86, 0xf000, v86
	v_or_b32_sdwa v86, v89, v86 dst_sel:DWORD dst_unused:UNUSED_PAD src0_sel:DWORD src1_sel:BYTE_1
	v_add_u16_e32 v88, 0xf000, v88
	v_add_u16_sdwa v86, v86, s15 dst_sel:WORD_1 dst_unused:UNUSED_PAD src0_sel:DWORD src1_sel:DWORD
	v_lshrrev_b32_e32 v89, 12, v84
	v_lshrrev_b32_e32 v90, 5, v84
	v_lshlrev_b32_e32 v92, 2, v84
	v_or_b32_e32 v86, v88, v86
	v_lshrrev_b32_e32 v88, 4, v96
	v_and_b32_e32 v89, 16, v89
	v_and_b32_e32 v90, 0x1000, v90
	;; [unrolled: 1-line block ×3, first 2 shown]
	v_lshlrev_b32_e32 v84, 9, v84
	v_and_b32_e32 v88, 0xf0f0f0f, v88
	v_and_b32_e32 v84, 0x10000000, v84
	v_or3_b32 v89, v90, v89, v92
	v_or3_b32 v84, v89, v84, v88
	v_lshlrev_b16_e32 v89, 8, v84
	v_and_b32_e32 v88, 0x1f00, v84
	v_add_i16 v89, v89, s15 clamp
	v_or_b32_sdwa v88, v88, v89 dst_sel:DWORD dst_unused:UNUSED_PAD src0_sel:DWORD src1_sel:BYTE_1
	v_and_b32_sdwa v89, v84, s16 dst_sel:DWORD dst_unused:UNUSED_PAD src0_sel:WORD_1 src1_sel:DWORD
	v_add_i16 v89, v89, s15 clamp
	v_lshlrev_b16_sdwa v84, v152, v84 dst_sel:DWORD dst_unused:UNUSED_PAD src0_sel:DWORD src1_sel:WORD_1
	v_and_b32_e32 v89, 0xffffff00, v89
	v_add_i16 v84, v84, s15 clamp
	v_add_u16_e32 v88, 0xf000, v88
	v_or_b32_sdwa v84, v84, v89 dst_sel:WORD_1 dst_unused:UNUSED_PAD src0_sel:BYTE_1 src1_sel:DWORD
	v_mad_u64_u32 v[94:95], s[18:19], v62, 22, v[82:83]
	v_or_b32_e32 v84, v88, v84
	ds_write2_b32 v59, v86, v84 offset1:1
	v_ashrrev_i32_e32 v84, v26, v98
	v_lshlrev_b32_e32 v88, 4, v84
	v_lshlrev_b32_e32 v89, 11, v84
	v_and_b32_e32 v86, 0xf0f0f0f, v106
	v_and_b32_e32 v88, 16, v88
	v_and_b32_e32 v89, 0x1000, v89
	v_or3_b32 v88, v88, v86, v89
	v_lshlrev_b32_e32 v89, 18, v84
	v_lshlrev_b32_e32 v90, 25, v84
	v_and_b32_e32 v89, 0x100000, v89
	v_and_b32_e32 v90, 0x10000000, v90
	v_or3_b32 v86, v86, v89, v90
	v_and_b32_e32 v89, 0x1f00, v88
	v_lshlrev_b16_e32 v88, 8, v88
	v_add_u16_e32 v88, 0xf000, v88
	v_or_b32_sdwa v88, v89, v88 dst_sel:DWORD dst_unused:UNUSED_PAD src0_sel:DWORD src1_sel:BYTE_1
	v_add_u16_e32 v90, 0xf000, v88
	v_mad_u64_u32 v[88:89], s[18:19], v60, 22, v[82:83]
	v_mad_u64_u32 v[98:99], s[18:19], v64, 22, v[82:83]
	;; [unrolled: 1-line block ×3, first 2 shown]
	v_lshl_add_u64 v[92:93], v[88:89], 0, v[26:27]
	v_lshl_add_u64 v[96:97], v[94:95], 0, v[26:27]
	;; [unrolled: 1-line block ×4, first 2 shown]
	global_load_dword v108, v[102:103], off offset:6
	global_load_dword v109, v[82:83], off offset:2
	s_nop 0
	global_load_dword v82, v[100:101], off offset:6
	global_load_dword v83, v[98:99], off offset:2
	s_nop 0
	global_load_dword v96, v[96:97], off offset:6
	s_nop 0
	;; [unrolled: 2-line block ×4, first 2 shown]
	global_load_dword v88, v[88:89], off offset:2
	v_and_b32_sdwa v89, v86, s1 dst_sel:DWORD dst_unused:UNUSED_PAD src0_sel:WORD_1 src1_sel:DWORD
	v_lshlrev_b16_sdwa v86, v152, v86 dst_sel:DWORD dst_unused:UNUSED_PAD src0_sel:DWORD src1_sel:WORD_1
	v_add_u16_e32 v86, 0xf000, v86
	v_or_b32_sdwa v86, v89, v86 dst_sel:DWORD dst_unused:UNUSED_PAD src0_sel:DWORD src1_sel:BYTE_1
	v_add_u16_sdwa v86, v86, s15 dst_sel:WORD_1 dst_unused:UNUSED_PAD src0_sel:DWORD src1_sel:DWORD
	v_lshrrev_b32_e32 v93, 5, v84
	v_or_b32_e32 v86, v90, v86
	v_lshrrev_b32_e32 v90, 12, v84
	v_lshlrev_b32_e32 v95, 2, v84
	v_lshrrev_b32_e32 v89, 4, v106
	v_and_b32_e32 v90, 16, v90
	v_and_b32_e32 v93, 0x1000, v93
	;; [unrolled: 1-line block ×3, first 2 shown]
	v_lshlrev_b32_e32 v84, 9, v84
	v_and_b32_e32 v89, 0xf0f0f0f, v89
	v_and_b32_e32 v84, 0x10000000, v84
	v_or3_b32 v90, v93, v90, v95
	v_or3_b32 v84, v90, v84, v89
	v_lshlrev_b16_e32 v90, 8, v84
	v_and_b32_e32 v89, 0x1f00, v84
	v_add_i16 v90, v90, s15 clamp
	v_or_b32_sdwa v89, v89, v90 dst_sel:DWORD dst_unused:UNUSED_PAD src0_sel:DWORD src1_sel:BYTE_1
	v_and_b32_sdwa v90, v84, s16 dst_sel:DWORD dst_unused:UNUSED_PAD src0_sel:WORD_1 src1_sel:DWORD
	v_add_i16 v90, v90, s15 clamp
	v_lshlrev_b16_sdwa v84, v152, v84 dst_sel:DWORD dst_unused:UNUSED_PAD src0_sel:DWORD src1_sel:WORD_1
	v_and_b32_e32 v90, 0xffffff00, v90
	v_add_i16 v84, v84, s15 clamp
	v_add_u16_e32 v89, 0xf000, v89
	v_or_b32_sdwa v84, v84, v90 dst_sel:WORD_1 dst_unused:UNUSED_PAD src0_sel:BYTE_1 src1_sel:DWORD
	s_waitcnt vmcnt(4)
	v_ashrrev_i32_e32 v83, v26, v83
	v_or_b32_e32 v84, v89, v84
	ds_write2_b32 v61, v86, v84 offset1:1
	v_ashrrev_i32_e32 v84, v26, v105
	v_lshlrev_b32_e32 v89, 4, v84
	v_lshlrev_b32_e32 v90, 11, v84
	v_and_b32_e32 v86, 0xf0f0f0f, v104
	v_and_b32_e32 v89, 16, v89
	v_and_b32_e32 v90, 0x1000, v90
	v_or3_b32 v89, v89, v86, v90
	v_lshlrev_b32_e32 v90, 18, v84
	v_lshlrev_b32_e32 v93, 25, v84
	v_and_b32_e32 v90, 0x100000, v90
	v_and_b32_e32 v93, 0x10000000, v93
	v_or3_b32 v86, v86, v90, v93
	v_and_b32_e32 v90, 0x1f00, v89
	v_lshlrev_b16_e32 v89, 8, v89
	v_add_u16_e32 v89, 0xf000, v89
	v_or_b32_sdwa v89, v90, v89 dst_sel:DWORD dst_unused:UNUSED_PAD src0_sel:DWORD src1_sel:BYTE_1
	v_and_b32_sdwa v90, v86, s1 dst_sel:DWORD dst_unused:UNUSED_PAD src0_sel:WORD_1 src1_sel:DWORD
	v_lshlrev_b16_sdwa v86, v152, v86 dst_sel:DWORD dst_unused:UNUSED_PAD src0_sel:DWORD src1_sel:WORD_1
	v_add_u16_e32 v86, 0xf000, v86
	v_or_b32_sdwa v86, v90, v86 dst_sel:DWORD dst_unused:UNUSED_PAD src0_sel:DWORD src1_sel:BYTE_1
	v_add_u16_e32 v89, 0xf000, v89
	v_add_u16_sdwa v86, v86, s15 dst_sel:WORD_1 dst_unused:UNUSED_PAD src0_sel:DWORD src1_sel:DWORD
	v_lshrrev_b32_e32 v90, 12, v84
	v_lshrrev_b32_e32 v93, 5, v84
	v_lshlrev_b32_e32 v95, 2, v84
	v_or_b32_e32 v86, v89, v86
	v_lshrrev_b32_e32 v89, 4, v104
	v_and_b32_e32 v90, 16, v90
	v_and_b32_e32 v93, 0x1000, v93
	;; [unrolled: 1-line block ×3, first 2 shown]
	v_lshlrev_b32_e32 v84, 9, v84
	v_and_b32_e32 v89, 0xf0f0f0f, v89
	v_and_b32_e32 v84, 0x10000000, v84
	v_or3_b32 v90, v93, v90, v95
	v_or3_b32 v84, v90, v84, v89
	v_lshlrev_b16_e32 v90, 8, v84
	v_and_b32_e32 v89, 0x1f00, v84
	v_add_i16 v90, v90, s15 clamp
	v_or_b32_sdwa v89, v89, v90 dst_sel:DWORD dst_unused:UNUSED_PAD src0_sel:DWORD src1_sel:BYTE_1
	v_and_b32_sdwa v90, v84, s16 dst_sel:DWORD dst_unused:UNUSED_PAD src0_sel:WORD_1 src1_sel:DWORD
	v_add_i16 v90, v90, s15 clamp
	v_lshlrev_b16_sdwa v84, v152, v84 dst_sel:DWORD dst_unused:UNUSED_PAD src0_sel:DWORD src1_sel:WORD_1
	v_and_b32_e32 v90, 0xffffff00, v90
	v_add_i16 v84, v84, s15 clamp
	v_add_u16_e32 v89, 0xf000, v89
	v_or_b32_sdwa v84, v84, v90 dst_sel:WORD_1 dst_unused:UNUSED_PAD src0_sel:BYTE_1 src1_sel:DWORD
	v_add_u32_e32 v104, s0, v73
	v_or_b32_e32 v84, v89, v84
	ds_write2_b32 v63, v86, v84 offset1:1
	s_waitcnt vmcnt(0)
	v_ashrrev_i32_e32 v84, v26, v88
	v_lshlrev_b32_e32 v88, 4, v84
	v_lshlrev_b32_e32 v89, 11, v84
	v_and_b32_e32 v86, 0xf0f0f0f, v92
	v_and_b32_e32 v88, 16, v88
	;; [unrolled: 1-line block ×3, first 2 shown]
	v_or3_b32 v88, v88, v86, v89
	v_lshlrev_b32_e32 v89, 18, v84
	v_lshlrev_b32_e32 v90, 25, v84
	v_and_b32_e32 v89, 0x100000, v89
	v_and_b32_e32 v90, 0x10000000, v90
	v_or3_b32 v86, v86, v89, v90
	v_and_b32_e32 v89, 0x1f00, v88
	v_lshlrev_b16_e32 v88, 8, v88
	v_add_u16_e32 v88, 0xf000, v88
	v_or_b32_sdwa v88, v89, v88 dst_sel:DWORD dst_unused:UNUSED_PAD src0_sel:DWORD src1_sel:BYTE_1
	v_and_b32_sdwa v89, v86, s1 dst_sel:DWORD dst_unused:UNUSED_PAD src0_sel:WORD_1 src1_sel:DWORD
	v_lshlrev_b16_sdwa v86, v152, v86 dst_sel:DWORD dst_unused:UNUSED_PAD src0_sel:DWORD src1_sel:WORD_1
	v_add_u16_e32 v86, 0xf000, v86
	v_or_b32_sdwa v86, v89, v86 dst_sel:DWORD dst_unused:UNUSED_PAD src0_sel:DWORD src1_sel:BYTE_1
	v_add_u16_e32 v88, 0xf000, v88
	v_add_u16_sdwa v86, v86, s15 dst_sel:WORD_1 dst_unused:UNUSED_PAD src0_sel:DWORD src1_sel:DWORD
	v_lshrrev_b32_e32 v89, 12, v84
	v_or_b32_e32 v86, v88, v86
	v_lshrrev_b32_e32 v88, 4, v92
	v_lshrrev_b32_e32 v90, 5, v84
	v_lshlrev_b32_e32 v92, 2, v84
	v_and_b32_e32 v89, 16, v89
	v_and_b32_e32 v90, 0x1000, v90
	;; [unrolled: 1-line block ×3, first 2 shown]
	v_lshlrev_b32_e32 v84, 9, v84
	v_and_b32_e32 v88, 0xf0f0f0f, v88
	v_and_b32_e32 v84, 0x10000000, v84
	v_or3_b32 v89, v90, v89, v92
	v_or3_b32 v84, v89, v84, v88
	v_lshlrev_b16_e32 v89, 8, v84
	v_and_b32_e32 v88, 0x1f00, v84
	v_add_i16 v89, v89, s15 clamp
	v_or_b32_sdwa v88, v88, v89 dst_sel:DWORD dst_unused:UNUSED_PAD src0_sel:DWORD src1_sel:BYTE_1
	v_and_b32_sdwa v89, v84, s16 dst_sel:DWORD dst_unused:UNUSED_PAD src0_sel:WORD_1 src1_sel:DWORD
	v_add_i16 v89, v89, s15 clamp
	v_lshlrev_b16_sdwa v84, v152, v84 dst_sel:DWORD dst_unused:UNUSED_PAD src0_sel:DWORD src1_sel:WORD_1
	v_and_b32_e32 v89, 0xffffff00, v89
	v_add_i16 v84, v84, s15 clamp
	v_add_u16_e32 v88, 0xf000, v88
	v_or_b32_sdwa v84, v84, v89 dst_sel:WORD_1 dst_unused:UNUSED_PAD src0_sel:BYTE_1 src1_sel:DWORD
	v_add_u32_e32 v98, v104, v127
	v_or_b32_e32 v84, v88, v84
	ds_write2_b32 v65, v86, v84 offset1:1
	v_ashrrev_i32_e32 v84, v26, v94
	v_lshlrev_b32_e32 v88, 4, v84
	v_lshlrev_b32_e32 v89, 11, v84
	v_and_b32_e32 v86, 0xf0f0f0f, v96
	v_and_b32_e32 v88, 16, v88
	;; [unrolled: 1-line block ×3, first 2 shown]
	v_or3_b32 v88, v88, v86, v89
	v_lshlrev_b32_e32 v89, 18, v84
	v_lshlrev_b32_e32 v90, 25, v84
	v_and_b32_e32 v89, 0x100000, v89
	v_and_b32_e32 v90, 0x10000000, v90
	v_or3_b32 v86, v86, v89, v90
	v_and_b32_e32 v89, 0x1f00, v88
	v_lshlrev_b16_e32 v88, 8, v88
	v_add_u16_e32 v88, 0xf000, v88
	v_or_b32_sdwa v88, v89, v88 dst_sel:DWORD dst_unused:UNUSED_PAD src0_sel:DWORD src1_sel:BYTE_1
	v_and_b32_sdwa v89, v86, s1 dst_sel:DWORD dst_unused:UNUSED_PAD src0_sel:WORD_1 src1_sel:DWORD
	v_lshlrev_b16_sdwa v86, v152, v86 dst_sel:DWORD dst_unused:UNUSED_PAD src0_sel:DWORD src1_sel:WORD_1
	v_add_u16_e32 v86, 0xf000, v86
	v_or_b32_sdwa v86, v89, v86 dst_sel:DWORD dst_unused:UNUSED_PAD src0_sel:DWORD src1_sel:BYTE_1
	v_add_u16_e32 v88, 0xf000, v88
	v_add_u16_sdwa v86, v86, s15 dst_sel:WORD_1 dst_unused:UNUSED_PAD src0_sel:DWORD src1_sel:DWORD
	v_lshrrev_b32_e32 v89, 12, v84
	v_lshrrev_b32_e32 v90, 5, v84
	v_lshlrev_b32_e32 v92, 2, v84
	v_or_b32_e32 v86, v88, v86
	v_lshrrev_b32_e32 v88, 4, v96
	v_and_b32_e32 v89, 16, v89
	v_and_b32_e32 v90, 0x1000, v90
	;; [unrolled: 1-line block ×3, first 2 shown]
	v_lshlrev_b32_e32 v84, 9, v84
	v_and_b32_e32 v88, 0xf0f0f0f, v88
	v_and_b32_e32 v84, 0x10000000, v84
	v_or3_b32 v89, v90, v89, v92
	v_or3_b32 v84, v89, v84, v88
	v_lshlrev_b16_e32 v89, 8, v84
	v_and_b32_e32 v88, 0x1f00, v84
	v_add_i16 v89, v89, s15 clamp
	v_or_b32_sdwa v88, v88, v89 dst_sel:DWORD dst_unused:UNUSED_PAD src0_sel:DWORD src1_sel:BYTE_1
	v_and_b32_sdwa v89, v84, s16 dst_sel:DWORD dst_unused:UNUSED_PAD src0_sel:WORD_1 src1_sel:DWORD
	v_add_i16 v89, v89, s15 clamp
	v_lshlrev_b16_sdwa v84, v152, v84 dst_sel:DWORD dst_unused:UNUSED_PAD src0_sel:DWORD src1_sel:WORD_1
	v_and_b32_e32 v89, 0xffffff00, v89
	v_add_i16 v84, v84, s15 clamp
	v_add_u16_e32 v88, 0xf000, v88
	v_or_b32_sdwa v84, v84, v89 dst_sel:WORD_1 dst_unused:UNUSED_PAD src0_sel:BYTE_1 src1_sel:DWORD
	v_lshlrev_b32_e32 v89, 25, v83
	v_or_b32_e32 v84, v88, v84
	ds_write2_b32 v67, v86, v84 offset1:1
	v_lshlrev_b32_e32 v86, 4, v83
	v_lshlrev_b32_e32 v88, 11, v83
	v_and_b32_e32 v84, 0xf0f0f0f, v82
	v_and_b32_e32 v86, 16, v86
	;; [unrolled: 1-line block ×3, first 2 shown]
	v_or3_b32 v86, v86, v84, v88
	v_lshlrev_b32_e32 v88, 18, v83
	v_and_b32_e32 v88, 0x100000, v88
	v_and_b32_e32 v89, 0x10000000, v89
	v_or3_b32 v84, v84, v88, v89
	v_and_b32_e32 v88, 0x1f00, v86
	v_lshlrev_b16_e32 v86, 8, v86
	v_add_u16_e32 v86, 0xf000, v86
	v_or_b32_sdwa v86, v88, v86 dst_sel:DWORD dst_unused:UNUSED_PAD src0_sel:DWORD src1_sel:BYTE_1
	v_and_b32_sdwa v88, v84, s1 dst_sel:DWORD dst_unused:UNUSED_PAD src0_sel:WORD_1 src1_sel:DWORD
	v_lshlrev_b16_sdwa v84, v152, v84 dst_sel:DWORD dst_unused:UNUSED_PAD src0_sel:DWORD src1_sel:WORD_1
	v_add_u16_e32 v84, 0xf000, v84
	v_or_b32_sdwa v84, v88, v84 dst_sel:DWORD dst_unused:UNUSED_PAD src0_sel:DWORD src1_sel:BYTE_1
	v_add_u16_e32 v86, 0xf000, v86
	v_add_u16_sdwa v84, v84, s15 dst_sel:WORD_1 dst_unused:UNUSED_PAD src0_sel:DWORD src1_sel:DWORD
	v_lshrrev_b32_e32 v82, 4, v82
	v_or_b32_e32 v84, v86, v84
	v_and_b32_e32 v86, 0xf0f0f0f, v82
	v_lshrrev_b32_e32 v82, 12, v83
	v_and_b32_e32 v90, 16, v82
	v_lshrrev_b32_e32 v82, 5, v83
	v_and_b32_e32 v110, 0x1000, v82
	v_lshlrev_b32_e32 v82, 2, v83
	v_and_b32_e32 v111, 0x100000, v82
	v_lshlrev_b32_e32 v82, 9, v83
	v_and_b32_e32 v112, 0x10000000, v82
	v_mad_u64_u32 v[82:83], s[4:5], v68, 22, s[4:5]
	v_mad_u64_u32 v[88:89], s[4:5], v70, 22, v[82:83]
	;; [unrolled: 1-line block ×5, first 2 shown]
	global_load_ushort v113, v[88:89], off
	global_load_ushort v114, v[92:93], off
	;; [unrolled: 1-line block ×3, first 2 shown]
	s_nop 0
	global_load_ushort v82, v[82:83], off
	v_add_u32_e32 v88, v104, v77
	v_add_u32_e32 v92, v104, v85
	;; [unrolled: 1-line block ×5, first 2 shown]
	v_mad_i64_i32 v[88:89], s[4:5], v88, 36, v[78:79]
	v_mad_i64_i32 v[92:93], s[4:5], v92, 36, v[78:79]
	;; [unrolled: 1-line block ×5, first 2 shown]
	v_add_u32_e32 v100, v104, v129
	v_add_u32_e32 v102, v104, v131
	;; [unrolled: 1-line block ×3, first 2 shown]
	v_mad_i64_i32 v[100:101], s[4:5], v100, 36, v[78:79]
	v_mad_i64_i32 v[102:103], s[4:5], v102, 36, v[78:79]
	;; [unrolled: 1-line block ×3, first 2 shown]
	v_mad_u64_u32 v[106:107], s[4:5], v83, 36, s[2:3]
	global_load_dword v88, v[88:89], off offset:4
	s_nop 0
	global_load_dword v89, v[92:93], off offset:4
	s_nop 0
	global_load_dword v92, v[94:95], off offset:4
	global_load_dword v93, v[96:97], off offset:4
	s_nop 0
	global_load_dword v94, v[98:99], off offset:4
	global_load_dword v95, v[106:107], off
	global_load_dword v96, v[100:101], off offset:4
	global_load_dword v97, v[102:103], off offset:4
	s_nop 0
	global_load_dword v98, v[104:105], off offset:4
	v_or3_b32 v90, v110, v90, v111
	v_or3_b32 v86, v90, v112, v86
	v_lshlrev_b16_e32 v99, 8, v86
	v_and_b32_e32 v90, 0x1f00, v86
	v_add_i16 v99, v99, s15 clamp
	v_or_b32_sdwa v90, v90, v99 dst_sel:DWORD dst_unused:UNUSED_PAD src0_sel:DWORD src1_sel:BYTE_1
	v_and_b32_sdwa v99, v86, s16 dst_sel:DWORD dst_unused:UNUSED_PAD src0_sel:WORD_1 src1_sel:DWORD
	v_add_i16 v99, v99, s15 clamp
	v_lshlrev_b16_sdwa v86, v152, v86 dst_sel:DWORD dst_unused:UNUSED_PAD src0_sel:DWORD src1_sel:WORD_1
	v_and_b32_e32 v99, 0xffffff00, v99
	v_add_i16 v86, v86, s15 clamp
	v_add_u16_e32 v90, 0xf000, v90
	v_or_b32_sdwa v86, v86, v99 dst_sel:WORD_1 dst_unused:UNUSED_PAD src0_sel:BYTE_1 src1_sel:DWORD
	s_mov_b32 s4, -4
	v_or_b32_e32 v86, v90, v86
	ds_write2_b32 v69, v84, v86 offset1:1
	v_ashrrev_i32_e32 v84, v26, v109
	v_lshlrev_b32_e32 v90, 4, v84
	v_lshlrev_b32_e32 v99, 11, v84
	v_and_b32_e32 v86, 0xf0f0f0f, v108
	v_and_b32_e32 v90, 16, v90
	;; [unrolled: 1-line block ×3, first 2 shown]
	v_or3_b32 v90, v90, v86, v99
	v_lshlrev_b32_e32 v99, 18, v84
	v_lshlrev_b32_e32 v100, 25, v84
	v_and_b32_e32 v99, 0x100000, v99
	v_and_b32_e32 v100, 0x10000000, v100
	v_or3_b32 v86, v86, v99, v100
	v_and_b32_e32 v99, 0x1f00, v90
	v_lshlrev_b16_e32 v90, 8, v90
	v_add_u16_e32 v90, 0xf000, v90
	v_or_b32_sdwa v90, v99, v90 dst_sel:DWORD dst_unused:UNUSED_PAD src0_sel:DWORD src1_sel:BYTE_1
	v_and_b32_sdwa v99, v86, s1 dst_sel:DWORD dst_unused:UNUSED_PAD src0_sel:WORD_1 src1_sel:DWORD
	v_lshlrev_b16_sdwa v86, v152, v86 dst_sel:DWORD dst_unused:UNUSED_PAD src0_sel:DWORD src1_sel:WORD_1
	v_add_u16_e32 v86, 0xf000, v86
	v_or_b32_sdwa v86, v99, v86 dst_sel:DWORD dst_unused:UNUSED_PAD src0_sel:DWORD src1_sel:BYTE_1
	v_add_u16_e32 v90, 0xf000, v90
	v_add_u16_sdwa v86, v86, s15 dst_sel:WORD_1 dst_unused:UNUSED_PAD src0_sel:DWORD src1_sel:DWORD
	v_lshrrev_b32_e32 v99, 12, v84
	v_lshrrev_b32_e32 v100, 5, v84
	v_lshlrev_b32_e32 v101, 2, v84
	v_or_b32_e32 v86, v90, v86
	v_lshrrev_b32_e32 v90, 4, v108
	v_and_b32_e32 v99, 16, v99
	v_and_b32_e32 v100, 0x1000, v100
	v_and_b32_e32 v101, 0x100000, v101
	v_lshlrev_b32_e32 v84, 9, v84
	v_and_b32_e32 v90, 0xf0f0f0f, v90
	v_and_b32_e32 v84, 0x10000000, v84
	v_or3_b32 v99, v100, v99, v101
	v_or3_b32 v84, v99, v84, v90
	v_lshlrev_b16_e32 v99, 8, v84
	v_and_b32_e32 v90, 0x1f00, v84
	v_add_i16 v99, v99, s15 clamp
	v_or_b32_sdwa v90, v90, v99 dst_sel:DWORD dst_unused:UNUSED_PAD src0_sel:DWORD src1_sel:BYTE_1
	v_and_b32_sdwa v99, v84, s16 dst_sel:DWORD dst_unused:UNUSED_PAD src0_sel:WORD_1 src1_sel:DWORD
	v_add_i16 v99, v99, s15 clamp
	v_lshlrev_b16_sdwa v84, v152, v84 dst_sel:DWORD dst_unused:UNUSED_PAD src0_sel:DWORD src1_sel:WORD_1
	v_and_b32_e32 v99, 0xffffff00, v99
	v_add_i16 v84, v84, s15 clamp
	v_add_u16_e32 v90, 0xf000, v90
	v_or_b32_sdwa v84, v84, v99 dst_sel:WORD_1 dst_unused:UNUSED_PAD src0_sel:BYTE_1 src1_sel:DWORD
	s_waitcnt vmcnt(9)
	v_cvt_f32_f16_e32 v82, v82
	v_or_b32_e32 v84, v90, v84
	ds_write2_b32 v71, v86, v84 offset1:1
	v_cvt_f32_f16_e32 v84, v113
	v_cvt_f32_f16_e32 v86, v114
	;; [unrolled: 1-line block ×3, first 2 shown]
	ds_write_b32 v148, v84
	ds_write_b32 v149, v86
	;; [unrolled: 1-line block ×4, first 2 shown]
	s_waitcnt vmcnt(8)
	ds_write_b32 v81, v88
	s_waitcnt vmcnt(7)
	ds_write_b32 v87, v89
	;; [unrolled: 2-line block ×5, first 2 shown]
	s_waitcnt vmcnt(3)
	v_cvt_f32_f16_e32 v82, v95
	s_waitcnt vmcnt(2)
	ds_write_b32 v130, v96
	s_waitcnt vmcnt(1)
	ds_write_b32 v132, v97
	;; [unrolled: 2-line block ×3, first 2 shown]
	ds_write_b32 v75, v82
	s_waitcnt lgkmcnt(0)
	s_barrier
.LBB121_7:                              ;   Parent Loop BB121_6 Depth=1
                                        ; =>  This Inner Loop Header: Depth=2
	v_add_u32_e32 v84, 0x2080, v155
	ds_read_b128 v[160:163], v154
	ds_read_b128 v[164:167], v154 offset:16
	ds_read2_b32 v[122:123], v153 offset1:32
	ds_read_b32 v86, v156
	ds_read2_b32 v[94:95], v155 offset1:1
	ds_read2_b32 v[102:103], v155 offset0:2 offset1:3
	ds_read2_b32 v[108:109], v155 offset0:4 offset1:5
	;; [unrolled: 1-line block ×3, first 2 shown]
	ds_read_b32 v82, v157
	ds_read2_b32 v[88:89], v84 offset1:1
	v_add_u32_e32 v84, 0x2088, v155
	ds_read2_b32 v[96:97], v84 offset1:1
	v_add_u32_e32 v84, 0x2090, v155
	;; [unrolled: 2-line block ×3, first 2 shown]
	v_add_u32_e32 v90, 0x4100, v155
	ds_read2_b32 v[114:115], v84 offset1:1
	ds_read_b32 v84, v158
	ds_read2_b32 v[92:93], v90 offset1:1
	v_add_u32_e32 v90, 0x4108, v155
	ds_read2_b32 v[100:101], v90 offset1:1
	v_add_u32_e32 v90, 0x4110, v155
	;; [unrolled: 2-line block ×3, first 2 shown]
	v_add_u32_e32 v98, 0x6180, v155
	ds_read2_b32 v[118:119], v90 offset1:1
	ds_read_b32 v90, v159
	ds_read2_b32 v[98:99], v98 offset1:1
	v_add_u32_e32 v106, 0x6188, v155
	ds_read2_b32 v[106:107], v106 offset1:1
	v_add_u32_e32 v116, 0x6190, v155
	ds_read2_b32 v[116:117], v116 offset1:1
	v_mov_b32_e32 v170, 0
	v_mov_b32_e32 v172, 0
	;; [unrolled: 1-line block ×4, first 2 shown]
	s_waitcnt lgkmcnt(14)
	v_dot4c_i32_i8_e32 v170, v94, v160
	s_waitcnt lgkmcnt(12)
	v_dot4c_i32_i8_e32 v172, v88, v160
	;; [unrolled: 2-line block ×4, first 2 shown]
	v_add_u32_e32 v120, 0x6198, v155
	ds_read2_b32 v[120:121], v120 offset1:1
	v_dot4c_i32_i8_e32 v170, v95, v164
	v_dot4c_i32_i8_e32 v172, v89, v164
	v_dot4c_i32_i8_e32 v173, v93, v164
	v_dot4c_i32_i8_e32 v174, v99, v164
	v_dot4c_i32_i8_e32 v170, v102, v161
	v_dot4c_i32_i8_e32 v172, v96, v161
	v_dot4c_i32_i8_e32 v173, v100, v161
	s_waitcnt lgkmcnt(2)
	v_dot4c_i32_i8_e32 v174, v106, v161
	v_dot4c_i32_i8_e32 v170, v103, v165
	v_dot4c_i32_i8_e32 v172, v97, v165
	v_dot4c_i32_i8_e32 v173, v101, v165
	v_dot4c_i32_i8_e32 v174, v107, v165
	v_dot4c_i32_i8_e32 v170, v108, v162
	v_dot4c_i32_i8_e32 v172, v104, v162
	v_dot4c_i32_i8_e32 v173, v110, v162
	s_waitcnt lgkmcnt(1)
	v_dot4c_i32_i8_e32 v174, v116, v162
	;; [unrolled: 9-line block ×3, first 2 shown]
	v_dot4c_i32_i8_e32 v170, v113, v167
	v_dot4c_i32_i8_e32 v172, v115, v167
	;; [unrolled: 1-line block ×4, first 2 shown]
	ds_read_b128 v[160:163], v154 offset:1024
	ds_read_b128 v[164:167], v154 offset:1040
	v_mov_b32_e32 v171, 0
	v_cvt_f32_i32_e32 v170, v170
	v_pk_mul_f32 v[168:169], v[86:87], v[122:123] op_sel_hi:[0,1]
	s_waitcnt lgkmcnt(1)
	v_dot4c_i32_i8_e32 v171, v94, v160
	s_waitcnt lgkmcnt(0)
	v_dot4c_i32_i8_e32 v171, v95, v164
	v_dot4c_i32_i8_e32 v171, v102, v161
	;; [unrolled: 1-line block ×7, first 2 shown]
	s_add_i32 s4, s4, 4
	v_add_u32_e32 v159, 4, v159
	v_add_u32_e32 v158, 4, v158
	v_cvt_f32_i32_e32 v171, v171
	v_add_u32_e32 v157, 4, v157
	v_add_u32_e32 v156, 4, v156
	;; [unrolled: 1-line block ×3, first 2 shown]
	v_pk_fma_f32 v[56:57], v[168:169], v[170:171], v[56:57]
	v_mov_b32_e32 v170, 0
	v_dot4c_i32_i8_e32 v170, v88, v160
	v_dot4c_i32_i8_e32 v170, v89, v164
	;; [unrolled: 1-line block ×8, first 2 shown]
	v_pk_mul_f32 v[168:169], v[82:83], v[122:123] op_sel_hi:[0,1]
	s_cmp_lt_u32 s4, 12
	s_nop 0
	v_cvt_f32_i32_e32 v171, v170
	v_cvt_f32_i32_e32 v170, v172
	v_mov_b32_e32 v172, 0
	v_pk_fma_f32 v[50:51], v[168:169], v[170:171], v[50:51]
	v_mov_b32_e32 v170, 0
	v_dot4c_i32_i8_e32 v170, v92, v160
	v_dot4c_i32_i8_e32 v170, v93, v164
	;; [unrolled: 1-line block ×8, first 2 shown]
	v_pk_mul_f32 v[168:169], v[84:85], v[122:123] op_sel_hi:[0,1]
	v_pk_mul_f32 v[122:123], v[90:91], v[122:123] op_sel_hi:[0,1]
	s_nop 0
	v_cvt_f32_i32_e32 v171, v170
	v_cvt_f32_i32_e32 v170, v173
	v_mov_b32_e32 v173, 0
	v_pk_fma_f32 v[40:41], v[168:169], v[170:171], v[40:41]
	v_mov_b32_e32 v168, 0
	v_dot4c_i32_i8_e32 v168, v98, v160
	v_dot4c_i32_i8_e32 v168, v99, v164
	;; [unrolled: 1-line block ×8, first 2 shown]
	v_cvt_f32_i32_e32 v160, v174
	v_mov_b32_e32 v170, 0
	v_mov_b32_e32 v174, 0
	v_cvt_f32_i32_e32 v161, v168
	v_mov_b32_e32 v171, 0
	v_pk_fma_f32 v[30:31], v[122:123], v[160:161], v[30:31]
	ds_read_b128 v[160:163], v154 offset:2048
	ds_read_b128 v[164:167], v154 offset:2064
	ds_read2_b32 v[122:123], v153 offset0:64 offset1:96
	s_waitcnt lgkmcnt(2)
	v_dot4c_i32_i8_e32 v170, v94, v160
	v_dot4c_i32_i8_e32 v172, v88, v160
	;; [unrolled: 1-line block ×4, first 2 shown]
	s_waitcnt lgkmcnt(1)
	v_dot4c_i32_i8_e32 v170, v95, v164
	v_dot4c_i32_i8_e32 v172, v89, v164
	;; [unrolled: 1-line block ×28, first 2 shown]
	ds_read_b128 v[160:163], v154 offset:3072
	ds_read_b128 v[164:167], v154 offset:3088
	v_cvt_f32_i32_e32 v170, v170
	s_waitcnt lgkmcnt(2)
	v_pk_mul_f32 v[168:169], v[86:87], v[122:123] op_sel_hi:[0,1]
	s_waitcnt lgkmcnt(1)
	v_dot4c_i32_i8_e32 v171, v94, v160
	s_waitcnt lgkmcnt(0)
	v_dot4c_i32_i8_e32 v171, v95, v164
	v_dot4c_i32_i8_e32 v171, v102, v161
	;; [unrolled: 1-line block ×7, first 2 shown]
	s_nop 2
	v_cvt_f32_i32_e32 v171, v171
	v_pk_fma_f32 v[24:25], v[168:169], v[170:171], v[24:25]
	v_mov_b32_e32 v170, 0
	v_dot4c_i32_i8_e32 v170, v88, v160
	v_dot4c_i32_i8_e32 v170, v89, v164
	;; [unrolled: 1-line block ×8, first 2 shown]
	v_pk_mul_f32 v[168:169], v[82:83], v[122:123] op_sel_hi:[0,1]
	s_nop 1
	v_cvt_f32_i32_e32 v171, v170
	v_cvt_f32_i32_e32 v170, v172
	v_mov_b32_e32 v172, 0
	v_pk_fma_f32 v[22:23], v[168:169], v[170:171], v[22:23]
	v_mov_b32_e32 v170, 0
	v_dot4c_i32_i8_e32 v170, v92, v160
	v_dot4c_i32_i8_e32 v170, v93, v164
	;; [unrolled: 1-line block ×8, first 2 shown]
	v_pk_mul_f32 v[168:169], v[84:85], v[122:123] op_sel_hi:[0,1]
	v_pk_mul_f32 v[122:123], v[90:91], v[122:123] op_sel_hi:[0,1]
	s_nop 0
	v_cvt_f32_i32_e32 v171, v170
	v_cvt_f32_i32_e32 v170, v173
	v_mov_b32_e32 v173, 0
	v_pk_fma_f32 v[20:21], v[168:169], v[170:171], v[20:21]
	v_mov_b32_e32 v168, 0
	v_dot4c_i32_i8_e32 v168, v98, v160
	v_dot4c_i32_i8_e32 v168, v99, v164
	;; [unrolled: 1-line block ×8, first 2 shown]
	v_cvt_f32_i32_e32 v160, v174
	v_mov_b32_e32 v170, 0
	v_mov_b32_e32 v174, 0
	v_cvt_f32_i32_e32 v161, v168
	v_mov_b32_e32 v171, 0
	v_pk_fma_f32 v[18:19], v[122:123], v[160:161], v[18:19]
	ds_read_b128 v[160:163], v154 offset:4096
	ds_read_b128 v[164:167], v154 offset:4112
	ds_read2_b32 v[122:123], v153 offset0:128 offset1:160
	s_waitcnt lgkmcnt(2)
	v_dot4c_i32_i8_e32 v170, v94, v160
	v_dot4c_i32_i8_e32 v172, v88, v160
	;; [unrolled: 1-line block ×4, first 2 shown]
	s_waitcnt lgkmcnt(1)
	v_dot4c_i32_i8_e32 v170, v95, v164
	v_dot4c_i32_i8_e32 v172, v89, v164
	;; [unrolled: 1-line block ×28, first 2 shown]
	ds_read_b128 v[160:163], v154 offset:5120
	ds_read_b128 v[164:167], v154 offset:5136
	v_cvt_f32_i32_e32 v170, v170
	s_waitcnt lgkmcnt(2)
	v_pk_mul_f32 v[168:169], v[86:87], v[122:123] op_sel_hi:[0,1]
	s_waitcnt lgkmcnt(1)
	v_dot4c_i32_i8_e32 v171, v94, v160
	s_waitcnt lgkmcnt(0)
	v_dot4c_i32_i8_e32 v171, v95, v164
	v_dot4c_i32_i8_e32 v171, v102, v161
	v_dot4c_i32_i8_e32 v171, v103, v165
	v_dot4c_i32_i8_e32 v171, v108, v162
	v_dot4c_i32_i8_e32 v171, v109, v166
	v_dot4c_i32_i8_e32 v171, v112, v163
	v_dot4c_i32_i8_e32 v171, v113, v167
	s_nop 2
	v_cvt_f32_i32_e32 v171, v171
	v_pk_fma_f32 v[16:17], v[168:169], v[170:171], v[16:17]
	v_mov_b32_e32 v170, 0
	v_dot4c_i32_i8_e32 v170, v88, v160
	v_dot4c_i32_i8_e32 v170, v89, v164
	;; [unrolled: 1-line block ×8, first 2 shown]
	v_pk_mul_f32 v[168:169], v[82:83], v[122:123] op_sel_hi:[0,1]
	s_nop 1
	v_cvt_f32_i32_e32 v171, v170
	v_cvt_f32_i32_e32 v170, v172
	v_mov_b32_e32 v172, 0
	v_pk_fma_f32 v[14:15], v[168:169], v[170:171], v[14:15]
	v_mov_b32_e32 v170, 0
	v_dot4c_i32_i8_e32 v170, v92, v160
	v_dot4c_i32_i8_e32 v170, v93, v164
	;; [unrolled: 1-line block ×8, first 2 shown]
	v_pk_mul_f32 v[168:169], v[84:85], v[122:123] op_sel_hi:[0,1]
	v_pk_mul_f32 v[122:123], v[90:91], v[122:123] op_sel_hi:[0,1]
	s_nop 0
	v_cvt_f32_i32_e32 v171, v170
	v_cvt_f32_i32_e32 v170, v173
	v_pk_fma_f32 v[12:13], v[168:169], v[170:171], v[12:13]
	v_mov_b32_e32 v168, 0
	v_dot4c_i32_i8_e32 v168, v98, v160
	v_dot4c_i32_i8_e32 v168, v99, v164
	v_dot4c_i32_i8_e32 v168, v106, v161
	v_dot4c_i32_i8_e32 v168, v107, v165
	v_dot4c_i32_i8_e32 v168, v116, v162
	v_dot4c_i32_i8_e32 v168, v117, v166
	v_dot4c_i32_i8_e32 v168, v120, v163
	v_dot4c_i32_i8_e32 v168, v121, v167
	v_cvt_f32_i32_e32 v160, v174
	v_mov_b32_e32 v169, 0
	v_mov_b32_e32 v170, 0
	v_cvt_f32_i32_e32 v161, v168
	v_mov_b32_e32 v168, 0
	v_mov_b32_e32 v171, 0
	v_pk_fma_f32 v[10:11], v[122:123], v[160:161], v[10:11]
	ds_read_b128 v[160:163], v154 offset:6144
	ds_read_b128 v[164:167], v154 offset:6160
	ds_read2_b32 v[122:123], v153 offset0:192 offset1:224
	v_add_u32_e32 v153, 4, v153
	s_waitcnt lgkmcnt(2)
	v_dot4c_i32_i8_e32 v168, v94, v160
	v_dot4c_i32_i8_e32 v169, v88, v160
	;; [unrolled: 1-line block ×4, first 2 shown]
	s_waitcnt lgkmcnt(1)
	v_dot4c_i32_i8_e32 v168, v95, v164
	v_dot4c_i32_i8_e32 v169, v89, v164
	;; [unrolled: 1-line block ×28, first 2 shown]
	ds_read_b128 v[160:163], v154 offset:7168
	ds_read_b128 v[164:167], v154 offset:7184
	v_add_u32_e32 v154, 32, v154
	s_waitcnt lgkmcnt(1)
	v_dot4c_i32_i8_e32 v172, v94, v160
	s_waitcnt lgkmcnt(0)
	v_dot4c_i32_i8_e32 v172, v95, v164
	v_pk_mul_f32 v[94:95], v[86:87], v[122:123] op_sel_hi:[0,1]
	v_mov_b32_e32 v86, 0
	v_dot4c_i32_i8_e32 v86, v88, v160
	v_dot4c_i32_i8_e32 v86, v89, v164
	v_pk_mul_f32 v[88:89], v[82:83], v[122:123] op_sel_hi:[0,1]
	v_mov_b32_e32 v82, 0
	v_dot4c_i32_i8_e32 v82, v92, v160
	v_dot4c_i32_i8_e32 v82, v93, v164
	;; [unrolled: 1-line block ×16, first 2 shown]
	v_cvt_f32_i32_e32 v102, v168
	v_cvt_f32_i32_e32 v103, v172
	v_dot4c_i32_i8_e32 v86, v104, v162
	v_cvt_f32_i32_e32 v93, v82
	v_mov_b32_e32 v82, 0
	v_dot4c_i32_i8_e32 v86, v105, v166
	v_dot4c_i32_i8_e32 v82, v98, v160
	;; [unrolled: 1-line block ×6, first 2 shown]
	v_pk_fma_f32 v[8:9], v[94:95], v[102:103], v[8:9]
	v_cvt_f32_i32_e32 v94, v169
	v_cvt_f32_i32_e32 v95, v86
	v_dot4c_i32_i8_e32 v82, v107, v165
	v_cvt_f32_i32_e32 v92, v170
	v_dot4c_i32_i8_e32 v82, v116, v162
	v_dot4c_i32_i8_e32 v82, v117, v166
	;; [unrolled: 1-line block ×3, first 2 shown]
	v_pk_fma_f32 v[6:7], v[88:89], v[94:95], v[6:7]
	v_pk_mul_f32 v[88:89], v[84:85], v[122:123] op_sel_hi:[0,1]
	v_dot4c_i32_i8_e32 v82, v121, v167
	v_pk_fma_f32 v[4:5], v[88:89], v[92:93], v[4:5]
	v_cvt_f32_i32_e32 v92, v171
	v_pk_mul_f32 v[88:89], v[90:91], v[122:123] op_sel_hi:[0,1]
	v_cvt_f32_i32_e32 v93, v82
	v_pk_fma_f32 v[2:3], v[88:89], v[92:93], v[2:3]
	s_cbranch_scc1 .LBB121_7
; %bb.8:                                ;   in Loop: Header=BB121_6 Depth=1
	s_or_b32 s4, s0, 4
	s_cmp_ge_i32 s4, s6
	s_barrier
	s_cbranch_scc1 .LBB121_5
; %bb.9:                                ;   in Loop: Header=BB121_6 Depth=1
	v_add_u32_e32 v82, s0, v136
	v_add_u32_e32 v84, v82, v77
	v_mad_i64_i32 v[88:89], s[4:5], v84, 36, v[78:79]
	v_add_u32_e32 v84, v82, v85
	v_mad_i64_i32 v[92:93], s[4:5], v84, 36, v[78:79]
	;; [unrolled: 2-line block ×6, first 2 shown]
	v_add_u32_e32 v84, v82, v131
	v_add_u32_e32 v82, v82, v133
	v_mad_i64_i32 v[104:105], s[4:5], v82, 36, v[78:79]
	v_add_u32_e32 v82, 4, v83
	v_mad_u64_u32 v[82:83], s[4:5], v82, 36, s[2:3]
	v_mad_i64_i32 v[102:103], s[4:5], v84, 36, v[78:79]
	global_load_dword v82, v[82:83], off
	s_nop 0
	global_load_dword v84, v[88:89], off offset:4
	global_load_dword v86, v[92:93], off offset:4
	s_nop 0
	global_load_dword v88, v[94:95], off offset:4
	global_load_dword v89, v[96:97], off offset:4
	;; [unrolled: 1-line block ×5, first 2 shown]
                                        ; kill: killed $vgpr102_vgpr103
                                        ; kill: killed $vgpr100_vgpr101
	s_nop 0
	global_load_dword v94, v[104:105], off offset:4
	s_mov_b32 s4, 12
	v_mov_b32_e32 v83, v142
	v_mov_b32_e32 v153, v141
	;; [unrolled: 1-line block ×7, first 2 shown]
	s_waitcnt vmcnt(8)
	v_cvt_f32_f16_e32 v82, v82
	s_waitcnt vmcnt(7)
	ds_write_b32 v81, v84
	s_waitcnt vmcnt(6)
	ds_write_b32 v87, v86
	;; [unrolled: 2-line block ×8, first 2 shown]
	ds_write_b32 v75, v82
	s_waitcnt lgkmcnt(0)
	s_barrier
.LBB121_10:                             ;   Parent Loop BB121_6 Depth=1
                                        ; =>  This Inner Loop Header: Depth=2
	v_add_u32_e32 v84, 0x2080, v154
	ds_read_b128 v[160:163], v153
	ds_read_b128 v[164:167], v153 offset:16
	ds_read2_b32 v[122:123], v83 offset1:32
	ds_read_b32 v86, v155
	ds_read2_b32 v[94:95], v154 offset1:1
	ds_read2_b32 v[102:103], v154 offset0:2 offset1:3
	ds_read2_b32 v[108:109], v154 offset0:4 offset1:5
	;; [unrolled: 1-line block ×3, first 2 shown]
	ds_read_b32 v82, v156
	ds_read2_b32 v[88:89], v84 offset1:1
	v_add_u32_e32 v84, 0x2088, v154
	ds_read2_b32 v[96:97], v84 offset1:1
	v_add_u32_e32 v84, 0x2090, v154
	;; [unrolled: 2-line block ×3, first 2 shown]
	v_add_u32_e32 v90, 0x4100, v154
	ds_read2_b32 v[114:115], v84 offset1:1
	ds_read_b32 v84, v157
	ds_read2_b32 v[92:93], v90 offset1:1
	v_add_u32_e32 v90, 0x4108, v154
	ds_read2_b32 v[100:101], v90 offset1:1
	v_add_u32_e32 v90, 0x4110, v154
	;; [unrolled: 2-line block ×3, first 2 shown]
	v_add_u32_e32 v98, 0x6180, v154
	ds_read2_b32 v[118:119], v90 offset1:1
	ds_read_b32 v90, v158
	ds_read2_b32 v[98:99], v98 offset1:1
	v_add_u32_e32 v106, 0x6188, v154
	ds_read2_b32 v[106:107], v106 offset1:1
	v_add_u32_e32 v116, 0x6190, v154
	ds_read2_b32 v[116:117], v116 offset1:1
	v_mov_b32_e32 v159, 0
	v_mov_b32_e32 v172, 0
	;; [unrolled: 1-line block ×4, first 2 shown]
	s_waitcnt lgkmcnt(14)
	v_dot4c_i32_i8_e32 v159, v94, v160
	s_waitcnt lgkmcnt(12)
	v_dot4c_i32_i8_e32 v172, v88, v160
	s_waitcnt lgkmcnt(7)
	v_dot4c_i32_i8_e32 v173, v92, v160
	s_waitcnt lgkmcnt(2)
	v_dot4c_i32_i8_e32 v174, v98, v160
	v_add_u32_e32 v120, 0x6198, v154
	ds_read2_b32 v[120:121], v120 offset1:1
	v_dot4c_i32_i8_e32 v159, v95, v164
	v_dot4c_i32_i8_e32 v172, v89, v164
	v_dot4c_i32_i8_e32 v173, v93, v164
	v_dot4c_i32_i8_e32 v174, v99, v164
	v_dot4c_i32_i8_e32 v159, v102, v161
	v_dot4c_i32_i8_e32 v172, v96, v161
	v_dot4c_i32_i8_e32 v173, v100, v161
	s_waitcnt lgkmcnt(2)
	v_dot4c_i32_i8_e32 v174, v106, v161
	v_dot4c_i32_i8_e32 v159, v103, v165
	v_dot4c_i32_i8_e32 v172, v97, v165
	v_dot4c_i32_i8_e32 v173, v101, v165
	v_dot4c_i32_i8_e32 v174, v107, v165
	v_dot4c_i32_i8_e32 v159, v108, v162
	v_dot4c_i32_i8_e32 v172, v104, v162
	v_dot4c_i32_i8_e32 v173, v110, v162
	s_waitcnt lgkmcnt(1)
	v_dot4c_i32_i8_e32 v174, v116, v162
	;; [unrolled: 9-line block ×3, first 2 shown]
	v_dot4c_i32_i8_e32 v159, v113, v167
	v_dot4c_i32_i8_e32 v172, v115, v167
	;; [unrolled: 1-line block ×4, first 2 shown]
	ds_read_b128 v[160:163], v153 offset:1024
	ds_read_b128 v[164:167], v153 offset:1040
	v_mov_b32_e32 v170, 0
	v_pk_mul_f32 v[168:169], v[86:87], v[122:123] op_sel_hi:[0,1]
	s_add_i32 s4, s4, 4
	s_waitcnt lgkmcnt(1)
	v_dot4c_i32_i8_e32 v170, v94, v160
	s_waitcnt lgkmcnt(0)
	v_dot4c_i32_i8_e32 v170, v95, v164
	v_dot4c_i32_i8_e32 v170, v102, v161
	v_dot4c_i32_i8_e32 v170, v103, v165
	v_dot4c_i32_i8_e32 v170, v108, v162
	v_dot4c_i32_i8_e32 v170, v109, v166
	v_dot4c_i32_i8_e32 v170, v112, v163
	v_dot4c_i32_i8_e32 v170, v113, v167
	v_add_u32_e32 v158, 4, v158
	v_add_u32_e32 v157, 4, v157
	;; [unrolled: 1-line block ×3, first 2 shown]
	v_cvt_f32_i32_e32 v171, v170
	v_cvt_f32_i32_e32 v170, v159
	v_mov_b32_e32 v159, 0
	v_dot4c_i32_i8_e32 v159, v88, v160
	v_dot4c_i32_i8_e32 v159, v89, v164
	v_dot4c_i32_i8_e32 v159, v96, v161
	v_dot4c_i32_i8_e32 v159, v97, v165
	v_dot4c_i32_i8_e32 v159, v104, v162
	v_dot4c_i32_i8_e32 v159, v105, v166
	v_dot4c_i32_i8_e32 v159, v114, v163
	v_dot4c_i32_i8_e32 v159, v115, v167
	v_pk_fma_f32 v[56:57], v[168:169], v[170:171], v[56:57]
	v_cvt_f32_i32_e32 v170, v172
	v_pk_mul_f32 v[168:169], v[82:83], v[122:123] op_sel_hi:[0,1]
	v_cvt_f32_i32_e32 v171, v159
	v_mov_b32_e32 v159, 0
	v_dot4c_i32_i8_e32 v159, v92, v160
	v_dot4c_i32_i8_e32 v159, v93, v164
	;; [unrolled: 1-line block ×8, first 2 shown]
	v_pk_fma_f32 v[50:51], v[168:169], v[170:171], v[50:51]
	v_pk_mul_f32 v[168:169], v[84:85], v[122:123] op_sel_hi:[0,1]
	v_pk_mul_f32 v[122:123], v[90:91], v[122:123] op_sel_hi:[0,1]
	v_cvt_f32_i32_e32 v171, v159
	v_mov_b32_e32 v159, 0
	v_dot4c_i32_i8_e32 v159, v98, v160
	v_dot4c_i32_i8_e32 v159, v99, v164
	;; [unrolled: 1-line block ×8, first 2 shown]
	v_cvt_f32_i32_e32 v160, v174
	v_cvt_f32_i32_e32 v170, v173
	v_mov_b32_e32 v172, 0
	v_cvt_f32_i32_e32 v161, v159
	v_mov_b32_e32 v159, 0
	v_mov_b32_e32 v173, 0
	;; [unrolled: 1-line block ×3, first 2 shown]
	v_pk_fma_f32 v[30:31], v[122:123], v[160:161], v[30:31]
	ds_read_b128 v[160:163], v153 offset:2048
	ds_read_b128 v[164:167], v153 offset:2064
	ds_read2_b32 v[122:123], v83 offset0:64 offset1:96
	v_pk_fma_f32 v[40:41], v[168:169], v[170:171], v[40:41]
	v_mov_b32_e32 v170, 0
	s_waitcnt lgkmcnt(2)
	v_dot4c_i32_i8_e32 v159, v94, v160
	v_dot4c_i32_i8_e32 v172, v88, v160
	;; [unrolled: 1-line block ×4, first 2 shown]
	s_waitcnt lgkmcnt(1)
	v_dot4c_i32_i8_e32 v159, v95, v164
	v_dot4c_i32_i8_e32 v172, v89, v164
	;; [unrolled: 1-line block ×28, first 2 shown]
	ds_read_b128 v[160:163], v153 offset:3072
	ds_read_b128 v[164:167], v153 offset:3088
	s_waitcnt lgkmcnt(2)
	v_pk_mul_f32 v[168:169], v[86:87], v[122:123] op_sel_hi:[0,1]
	v_add_u32_e32 v155, 4, v155
	v_add_u32_e32 v154, 32, v154
	s_waitcnt lgkmcnt(1)
	v_dot4c_i32_i8_e32 v170, v94, v160
	s_waitcnt lgkmcnt(0)
	v_dot4c_i32_i8_e32 v170, v95, v164
	v_dot4c_i32_i8_e32 v170, v102, v161
	;; [unrolled: 1-line block ×7, first 2 shown]
	s_cmp_lt_u32 s4, 28
	s_nop 1
	v_cvt_f32_i32_e32 v171, v170
	v_cvt_f32_i32_e32 v170, v159
	v_mov_b32_e32 v159, 0
	v_dot4c_i32_i8_e32 v159, v88, v160
	v_dot4c_i32_i8_e32 v159, v89, v164
	;; [unrolled: 1-line block ×8, first 2 shown]
	v_pk_fma_f32 v[24:25], v[168:169], v[170:171], v[24:25]
	v_cvt_f32_i32_e32 v170, v172
	v_pk_mul_f32 v[168:169], v[82:83], v[122:123] op_sel_hi:[0,1]
	v_cvt_f32_i32_e32 v171, v159
	v_mov_b32_e32 v159, 0
	v_dot4c_i32_i8_e32 v159, v92, v160
	v_dot4c_i32_i8_e32 v159, v93, v164
	;; [unrolled: 1-line block ×8, first 2 shown]
	v_pk_fma_f32 v[22:23], v[168:169], v[170:171], v[22:23]
	v_pk_mul_f32 v[168:169], v[84:85], v[122:123] op_sel_hi:[0,1]
	v_pk_mul_f32 v[122:123], v[90:91], v[122:123] op_sel_hi:[0,1]
	v_cvt_f32_i32_e32 v171, v159
	v_mov_b32_e32 v159, 0
	v_dot4c_i32_i8_e32 v159, v98, v160
	v_dot4c_i32_i8_e32 v159, v99, v164
	;; [unrolled: 1-line block ×8, first 2 shown]
	v_cvt_f32_i32_e32 v160, v174
	v_cvt_f32_i32_e32 v170, v173
	v_mov_b32_e32 v172, 0
	v_cvt_f32_i32_e32 v161, v159
	v_mov_b32_e32 v159, 0
	v_mov_b32_e32 v173, 0
	;; [unrolled: 1-line block ×3, first 2 shown]
	v_pk_fma_f32 v[18:19], v[122:123], v[160:161], v[18:19]
	ds_read_b128 v[160:163], v153 offset:4096
	ds_read_b128 v[164:167], v153 offset:4112
	ds_read2_b32 v[122:123], v83 offset0:128 offset1:160
	v_pk_fma_f32 v[20:21], v[168:169], v[170:171], v[20:21]
	v_mov_b32_e32 v170, 0
	s_waitcnt lgkmcnt(2)
	v_dot4c_i32_i8_e32 v159, v94, v160
	v_dot4c_i32_i8_e32 v172, v88, v160
	;; [unrolled: 1-line block ×4, first 2 shown]
	s_waitcnt lgkmcnt(1)
	v_dot4c_i32_i8_e32 v159, v95, v164
	v_dot4c_i32_i8_e32 v172, v89, v164
	;; [unrolled: 1-line block ×28, first 2 shown]
	ds_read_b128 v[160:163], v153 offset:5120
	ds_read_b128 v[164:167], v153 offset:5136
	s_waitcnt lgkmcnt(2)
	v_pk_mul_f32 v[168:169], v[86:87], v[122:123] op_sel_hi:[0,1]
	s_waitcnt lgkmcnt(1)
	v_dot4c_i32_i8_e32 v170, v94, v160
	s_waitcnt lgkmcnt(0)
	v_dot4c_i32_i8_e32 v170, v95, v164
	v_dot4c_i32_i8_e32 v170, v102, v161
	;; [unrolled: 1-line block ×7, first 2 shown]
	s_nop 2
	v_cvt_f32_i32_e32 v171, v170
	v_cvt_f32_i32_e32 v170, v159
	v_mov_b32_e32 v159, 0
	v_dot4c_i32_i8_e32 v159, v88, v160
	v_dot4c_i32_i8_e32 v159, v89, v164
	;; [unrolled: 1-line block ×8, first 2 shown]
	v_pk_fma_f32 v[16:17], v[168:169], v[170:171], v[16:17]
	v_cvt_f32_i32_e32 v170, v172
	v_pk_mul_f32 v[168:169], v[82:83], v[122:123] op_sel_hi:[0,1]
	v_cvt_f32_i32_e32 v171, v159
	v_mov_b32_e32 v159, 0
	v_dot4c_i32_i8_e32 v159, v92, v160
	v_dot4c_i32_i8_e32 v159, v93, v164
	;; [unrolled: 1-line block ×8, first 2 shown]
	v_pk_fma_f32 v[14:15], v[168:169], v[170:171], v[14:15]
	v_cvt_f32_i32_e32 v170, v173
	v_pk_mul_f32 v[168:169], v[84:85], v[122:123] op_sel_hi:[0,1]
	v_cvt_f32_i32_e32 v171, v159
	v_mov_b32_e32 v159, 0
	v_dot4c_i32_i8_e32 v159, v98, v160
	v_dot4c_i32_i8_e32 v159, v99, v164
	;; [unrolled: 1-line block ×8, first 2 shown]
	v_cvt_f32_i32_e32 v160, v174
	v_pk_mul_f32 v[122:123], v[90:91], v[122:123] op_sel_hi:[0,1]
	v_pk_fma_f32 v[12:13], v[168:169], v[170:171], v[12:13]
	v_cvt_f32_i32_e32 v161, v159
	v_mov_b32_e32 v159, 0
	v_mov_b32_e32 v168, 0
	;; [unrolled: 1-line block ×3, first 2 shown]
	v_pk_fma_f32 v[10:11], v[122:123], v[160:161], v[10:11]
	ds_read_b128 v[160:163], v153 offset:6144
	ds_read_b128 v[164:167], v153 offset:6160
	ds_read2_b32 v[122:123], v83 offset0:192 offset1:224
	v_mov_b32_e32 v170, 0
	v_mov_b32_e32 v171, 0
	s_waitcnt lgkmcnt(2)
	v_dot4c_i32_i8_e32 v159, v94, v160
	v_dot4c_i32_i8_e32 v168, v88, v160
	;; [unrolled: 1-line block ×4, first 2 shown]
	s_waitcnt lgkmcnt(1)
	v_dot4c_i32_i8_e32 v159, v95, v164
	v_dot4c_i32_i8_e32 v168, v89, v164
	;; [unrolled: 1-line block ×28, first 2 shown]
	ds_read_b128 v[160:163], v153 offset:7168
	ds_read_b128 v[164:167], v153 offset:7184
	v_add_u32_e32 v153, 32, v153
	s_waitcnt lgkmcnt(1)
	v_dot4c_i32_i8_e32 v171, v94, v160
	s_waitcnt lgkmcnt(0)
	v_dot4c_i32_i8_e32 v171, v95, v164
	v_pk_mul_f32 v[94:95], v[86:87], v[122:123] op_sel_hi:[0,1]
	v_mov_b32_e32 v86, 0
	v_dot4c_i32_i8_e32 v86, v88, v160
	v_dot4c_i32_i8_e32 v86, v89, v164
	v_pk_mul_f32 v[88:89], v[82:83], v[122:123] op_sel_hi:[0,1]
	v_mov_b32_e32 v82, 0
	v_dot4c_i32_i8_e32 v82, v92, v160
	v_dot4c_i32_i8_e32 v82, v93, v164
	;; [unrolled: 1-line block ×16, first 2 shown]
	v_cvt_f32_i32_e32 v102, v159
	v_cvt_f32_i32_e32 v103, v171
	v_dot4c_i32_i8_e32 v86, v104, v162
	v_cvt_f32_i32_e32 v93, v82
	v_mov_b32_e32 v82, 0
	v_dot4c_i32_i8_e32 v86, v105, v166
	v_dot4c_i32_i8_e32 v82, v98, v160
	v_dot4c_i32_i8_e32 v86, v114, v163
	v_dot4c_i32_i8_e32 v82, v99, v164
	v_dot4c_i32_i8_e32 v86, v115, v167
	v_dot4c_i32_i8_e32 v82, v106, v161
	v_pk_fma_f32 v[8:9], v[94:95], v[102:103], v[8:9]
	v_cvt_f32_i32_e32 v94, v168
	v_cvt_f32_i32_e32 v95, v86
	v_dot4c_i32_i8_e32 v82, v107, v165
	v_cvt_f32_i32_e32 v92, v169
	v_dot4c_i32_i8_e32 v82, v116, v162
	v_dot4c_i32_i8_e32 v82, v117, v166
	v_dot4c_i32_i8_e32 v82, v120, v163
	v_pk_fma_f32 v[6:7], v[88:89], v[94:95], v[6:7]
	v_pk_mul_f32 v[88:89], v[84:85], v[122:123] op_sel_hi:[0,1]
	v_dot4c_i32_i8_e32 v82, v121, v167
	v_pk_fma_f32 v[4:5], v[88:89], v[92:93], v[4:5]
	v_cvt_f32_i32_e32 v92, v170
	v_pk_mul_f32 v[88:89], v[90:91], v[122:123] op_sel_hi:[0,1]
	v_cvt_f32_i32_e32 v93, v82
	v_add_u32_e32 v83, 4, v83
	v_pk_fma_f32 v[2:3], v[88:89], v[92:93], v[2:3]
	s_cbranch_scc1 .LBB121_10
; %bb.11:                               ;   in Loop: Header=BB121_6 Depth=1
	s_barrier
	s_branch .LBB121_5
.LBB121_12:
	v_mov_b32_e32 v26, v29
.LBB121_13:
	v_cmp_gt_u32_e32 vcc, s8, v33
	s_and_saveexec_b64 s[0:1], vcc
	s_cbranch_execz .LBB121_64
; %bb.14:
	v_add_u32_e32 v0, s14, v1
	v_mul_lo_u32 v29, v33, s10
	v_cmp_gt_u32_e32 vcc, s10, v0
	s_and_saveexec_b64 s[0:1], vcc
	s_cbranch_execz .LBB121_16
; %bb.15:
	v_add_u32_e32 v32, v0, v29
	v_mov_b32_e32 v33, 0
	s_waitcnt lgkmcnt(0)
	v_lshl_add_u64 v[32:33], v[32:33], 2, s[12:13]
	global_store_dword v[32:33], v56, off
.LBB121_16:
	s_or_b64 exec, exec, s[0:1]
	v_add_u32_e32 v1, 32, v0
	v_cmp_gt_u32_e64 s[0:1], s10, v1
	s_and_saveexec_b64 s[2:3], s[0:1]
	s_cbranch_execz .LBB121_18
; %bb.17:
	v_add_u32_e32 v32, v1, v29
	v_mov_b32_e32 v33, 0
	s_waitcnt lgkmcnt(0)
	v_lshl_add_u64 v[32:33], v[32:33], 2, s[12:13]
	global_store_dword v[32:33], v50, off
.LBB121_18:
	s_or_b64 exec, exec, s[2:3]
	v_add_u32_e32 v27, 64, v0
	v_cmp_gt_u32_e64 s[2:3], s10, v27
	s_and_saveexec_b64 s[4:5], s[2:3]
	s_cbranch_execz .LBB121_20
; %bb.19:
	v_add_u32_e32 v32, v27, v29
	v_mov_b32_e32 v33, 0
	s_waitcnt lgkmcnt(0)
	v_lshl_add_u64 v[32:33], v[32:33], 2, s[12:13]
	global_store_dword v[32:33], v40, off
.LBB121_20:
	s_or_b64 exec, exec, s[4:5]
	v_add_u32_e32 v28, 0x60, v0
	v_cmp_gt_u32_e64 s[4:5], s10, v28
	s_and_saveexec_b64 s[6:7], s[4:5]
	s_cbranch_execz .LBB121_22
; %bb.21:
	v_add_u32_e32 v32, v28, v29
	v_mov_b32_e32 v33, 0
	s_waitcnt lgkmcnt(0)
	v_lshl_add_u64 v[32:33], v[32:33], 2, s[12:13]
	global_store_dword v[32:33], v30, off
.LBB121_22:
	s_or_b64 exec, exec, s[6:7]
	v_add3_u32 v29, v26, s11, 8
	v_cmp_gt_u32_e64 s[6:7], s8, v29
	s_and_b64 exec, exec, s[6:7]
	s_cbranch_execz .LBB121_64
; %bb.23:
	v_mul_lo_u32 v29, v29, s10
	s_and_saveexec_b64 s[6:7], vcc
	s_cbranch_execnz .LBB121_65
; %bb.24:
	s_or_b64 exec, exec, s[6:7]
	s_and_saveexec_b64 s[6:7], s[0:1]
	s_cbranch_execnz .LBB121_66
.LBB121_25:
	s_or_b64 exec, exec, s[6:7]
	s_and_saveexec_b64 s[6:7], s[2:3]
	s_cbranch_execnz .LBB121_67
.LBB121_26:
	s_or_b64 exec, exec, s[6:7]
	s_and_saveexec_b64 s[6:7], s[4:5]
	s_cbranch_execz .LBB121_28
.LBB121_27:
	v_add_u32_e32 v32, v29, v28
	v_mov_b32_e32 v33, 0
	s_waitcnt lgkmcnt(0)
	v_lshl_add_u64 v[32:33], v[32:33], 2, s[12:13]
	global_store_dword v[32:33], v31, off
.LBB121_28:
	s_or_b64 exec, exec, s[6:7]
	v_add3_u32 v29, v26, s11, 16
	v_cmp_gt_u32_e64 s[6:7], s8, v29
	s_and_b64 exec, exec, s[6:7]
	s_cbranch_execz .LBB121_64
; %bb.29:
	v_mul_lo_u32 v29, v29, s10
	s_and_saveexec_b64 s[6:7], vcc
	s_cbranch_execnz .LBB121_68
; %bb.30:
	s_or_b64 exec, exec, s[6:7]
	s_and_saveexec_b64 s[6:7], s[0:1]
	s_cbranch_execnz .LBB121_69
.LBB121_31:
	s_or_b64 exec, exec, s[6:7]
	s_and_saveexec_b64 s[6:7], s[2:3]
	s_cbranch_execnz .LBB121_70
.LBB121_32:
	s_or_b64 exec, exec, s[6:7]
	s_and_saveexec_b64 s[6:7], s[4:5]
	s_cbranch_execz .LBB121_34
.LBB121_33:
	v_add_u32_e32 v30, v29, v28
	v_mov_b32_e32 v31, 0
	s_waitcnt lgkmcnt(0)
	v_lshl_add_u64 v[30:31], v[30:31], 2, s[12:13]
	global_store_dword v[30:31], v18, off
.LBB121_34:
	s_or_b64 exec, exec, s[6:7]
	v_add3_u32 v18, v26, s11, 24
	v_cmp_gt_u32_e64 s[6:7], s8, v18
	s_and_b64 exec, exec, s[6:7]
	s_cbranch_execz .LBB121_64
; %bb.35:
	v_mul_lo_u32 v18, v18, s10
	s_and_saveexec_b64 s[6:7], vcc
	s_cbranch_execnz .LBB121_71
; %bb.36:
	s_or_b64 exec, exec, s[6:7]
	s_and_saveexec_b64 s[6:7], s[0:1]
	s_cbranch_execnz .LBB121_72
.LBB121_37:
	s_or_b64 exec, exec, s[6:7]
	s_and_saveexec_b64 s[6:7], s[2:3]
	s_cbranch_execnz .LBB121_73
.LBB121_38:
	s_or_b64 exec, exec, s[6:7]
	s_and_saveexec_b64 s[6:7], s[4:5]
	s_cbranch_execz .LBB121_40
.LBB121_39:
	v_add_u32_e32 v20, v18, v28
	v_mov_b32_e32 v21, 0
	s_waitcnt lgkmcnt(0)
	v_lshl_add_u64 v[20:21], v[20:21], 2, s[12:13]
	global_store_dword v[20:21], v19, off
.LBB121_40:
	s_or_b64 exec, exec, s[6:7]
	v_add3_u32 v18, v26, s11, 32
	v_cmp_gt_u32_e64 s[6:7], s8, v18
	s_and_b64 exec, exec, s[6:7]
	s_cbranch_execz .LBB121_64
; %bb.41:
	v_mul_lo_u32 v18, v18, s10
	s_and_saveexec_b64 s[6:7], vcc
	s_cbranch_execnz .LBB121_74
; %bb.42:
	s_or_b64 exec, exec, s[6:7]
	s_and_saveexec_b64 s[6:7], s[0:1]
	s_cbranch_execnz .LBB121_75
.LBB121_43:
	s_or_b64 exec, exec, s[6:7]
	s_and_saveexec_b64 s[6:7], s[2:3]
	s_cbranch_execnz .LBB121_76
.LBB121_44:
	s_or_b64 exec, exec, s[6:7]
	s_and_saveexec_b64 s[6:7], s[4:5]
	s_cbranch_execz .LBB121_46
.LBB121_45:
	v_add_u32_e32 v18, v18, v28
	v_mov_b32_e32 v19, 0
	s_waitcnt lgkmcnt(0)
	v_lshl_add_u64 v[18:19], v[18:19], 2, s[12:13]
	global_store_dword v[18:19], v10, off
.LBB121_46:
	s_or_b64 exec, exec, s[6:7]
	v_add3_u32 v10, v26, s11, 40
	v_cmp_gt_u32_e64 s[6:7], s8, v10
	s_and_b64 exec, exec, s[6:7]
	s_cbranch_execz .LBB121_64
; %bb.47:
	v_mul_lo_u32 v10, v10, s10
	s_and_saveexec_b64 s[6:7], vcc
	s_cbranch_execnz .LBB121_77
; %bb.48:
	s_or_b64 exec, exec, s[6:7]
	s_and_saveexec_b64 s[6:7], s[0:1]
	s_cbranch_execnz .LBB121_78
.LBB121_49:
	s_or_b64 exec, exec, s[6:7]
	s_and_saveexec_b64 s[6:7], s[2:3]
	s_cbranch_execnz .LBB121_79
.LBB121_50:
	s_or_b64 exec, exec, s[6:7]
	s_and_saveexec_b64 s[6:7], s[4:5]
	s_cbranch_execz .LBB121_52
.LBB121_51:
	v_add_u32_e32 v12, v10, v28
	v_mov_b32_e32 v13, 0
	s_waitcnt lgkmcnt(0)
	v_lshl_add_u64 v[12:13], v[12:13], 2, s[12:13]
	global_store_dword v[12:13], v11, off
.LBB121_52:
	s_or_b64 exec, exec, s[6:7]
	v_add3_u32 v10, v26, s11, 48
	v_cmp_gt_u32_e64 s[6:7], s8, v10
	s_and_b64 exec, exec, s[6:7]
	s_cbranch_execz .LBB121_64
; %bb.53:
	v_mul_lo_u32 v10, v10, s10
	s_and_saveexec_b64 s[6:7], vcc
	s_cbranch_execnz .LBB121_80
; %bb.54:
	s_or_b64 exec, exec, s[6:7]
	s_and_saveexec_b64 s[6:7], s[0:1]
	s_cbranch_execnz .LBB121_81
.LBB121_55:
	s_or_b64 exec, exec, s[6:7]
	s_and_saveexec_b64 s[6:7], s[2:3]
	s_cbranch_execnz .LBB121_82
.LBB121_56:
	s_or_b64 exec, exec, s[6:7]
	s_and_saveexec_b64 s[6:7], s[4:5]
	s_cbranch_execz .LBB121_58
.LBB121_57:
	v_add_u32_e32 v10, v10, v28
	v_mov_b32_e32 v11, 0
	s_waitcnt lgkmcnt(0)
	v_lshl_add_u64 v[10:11], v[10:11], 2, s[12:13]
	global_store_dword v[10:11], v2, off
.LBB121_58:
	s_or_b64 exec, exec, s[6:7]
	v_add3_u32 v2, v26, s11, 56
	v_cmp_gt_u32_e64 s[6:7], s8, v2
	s_and_b64 exec, exec, s[6:7]
	s_cbranch_execz .LBB121_64
; %bb.59:
	v_mul_lo_u32 v2, v2, s10
	s_and_saveexec_b64 s[6:7], vcc
	s_cbranch_execnz .LBB121_83
; %bb.60:
	s_or_b64 exec, exec, s[6:7]
	s_and_saveexec_b64 s[6:7], s[0:1]
	s_cbranch_execnz .LBB121_84
.LBB121_61:
	s_or_b64 exec, exec, s[6:7]
	s_and_saveexec_b64 s[0:1], s[2:3]
	s_cbranch_execnz .LBB121_85
.LBB121_62:
	s_or_b64 exec, exec, s[0:1]
	s_and_b64 exec, exec, s[4:5]
	s_cbranch_execz .LBB121_64
.LBB121_63:
	v_add_u32_e32 v0, v2, v28
	v_mov_b32_e32 v1, 0
	s_waitcnt lgkmcnt(0)
	v_lshl_add_u64 v[0:1], v[0:1], 2, s[12:13]
	global_store_dword v[0:1], v3, off
.LBB121_64:
	s_endpgm
.LBB121_65:
	v_add_u32_e32 v32, v29, v0
	v_mov_b32_e32 v33, 0
	s_waitcnt lgkmcnt(0)
	v_lshl_add_u64 v[32:33], v[32:33], 2, s[12:13]
	global_store_dword v[32:33], v57, off
	s_or_b64 exec, exec, s[6:7]
	s_and_saveexec_b64 s[6:7], s[0:1]
	s_cbranch_execz .LBB121_25
.LBB121_66:
	v_add_u32_e32 v32, v29, v1
	v_mov_b32_e32 v33, 0
	s_waitcnt lgkmcnt(0)
	v_lshl_add_u64 v[32:33], v[32:33], 2, s[12:13]
	global_store_dword v[32:33], v51, off
	s_or_b64 exec, exec, s[6:7]
	s_and_saveexec_b64 s[6:7], s[2:3]
	s_cbranch_execz .LBB121_26
.LBB121_67:
	v_add_u32_e32 v32, v29, v27
	v_mov_b32_e32 v33, 0
	s_waitcnt lgkmcnt(0)
	v_lshl_add_u64 v[32:33], v[32:33], 2, s[12:13]
	global_store_dword v[32:33], v41, off
	s_or_b64 exec, exec, s[6:7]
	s_and_saveexec_b64 s[6:7], s[4:5]
	s_cbranch_execnz .LBB121_27
	s_branch .LBB121_28
.LBB121_68:
	v_add_u32_e32 v30, v29, v0
	v_mov_b32_e32 v31, 0
	s_waitcnt lgkmcnt(0)
	v_lshl_add_u64 v[30:31], v[30:31], 2, s[12:13]
	global_store_dword v[30:31], v24, off
	s_or_b64 exec, exec, s[6:7]
	s_and_saveexec_b64 s[6:7], s[0:1]
	s_cbranch_execz .LBB121_31
.LBB121_69:
	v_add_u32_e32 v30, v29, v1
	v_mov_b32_e32 v31, 0
	s_waitcnt lgkmcnt(0)
	v_lshl_add_u64 v[30:31], v[30:31], 2, s[12:13]
	global_store_dword v[30:31], v22, off
	s_or_b64 exec, exec, s[6:7]
	s_and_saveexec_b64 s[6:7], s[2:3]
	s_cbranch_execz .LBB121_32
.LBB121_70:
	v_add_u32_e32 v30, v29, v27
	v_mov_b32_e32 v31, 0
	s_waitcnt lgkmcnt(0)
	v_lshl_add_u64 v[30:31], v[30:31], 2, s[12:13]
	global_store_dword v[30:31], v20, off
	s_or_b64 exec, exec, s[6:7]
	s_and_saveexec_b64 s[6:7], s[4:5]
	s_cbranch_execnz .LBB121_33
	s_branch .LBB121_34
.LBB121_71:
	v_add_u32_e32 v30, v18, v0
	v_mov_b32_e32 v31, 0
	s_waitcnt lgkmcnt(0)
	v_lshl_add_u64 v[30:31], v[30:31], 2, s[12:13]
	global_store_dword v[30:31], v25, off
	s_or_b64 exec, exec, s[6:7]
	s_and_saveexec_b64 s[6:7], s[0:1]
	s_cbranch_execz .LBB121_37
.LBB121_72:
	v_add_u32_e32 v24, v18, v1
	v_mov_b32_e32 v25, 0
	s_waitcnt lgkmcnt(0)
	v_lshl_add_u64 v[24:25], v[24:25], 2, s[12:13]
	global_store_dword v[24:25], v23, off
	s_or_b64 exec, exec, s[6:7]
	s_and_saveexec_b64 s[6:7], s[2:3]
	s_cbranch_execz .LBB121_38
.LBB121_73:
	v_add_u32_e32 v22, v18, v27
	v_mov_b32_e32 v23, 0
	s_waitcnt lgkmcnt(0)
	v_lshl_add_u64 v[22:23], v[22:23], 2, s[12:13]
	global_store_dword v[22:23], v21, off
	s_or_b64 exec, exec, s[6:7]
	s_and_saveexec_b64 s[6:7], s[4:5]
	s_cbranch_execnz .LBB121_39
	s_branch .LBB121_40
.LBB121_74:
	v_add_u32_e32 v20, v18, v0
	v_mov_b32_e32 v21, 0
	s_waitcnt lgkmcnt(0)
	v_lshl_add_u64 v[20:21], v[20:21], 2, s[12:13]
	global_store_dword v[20:21], v16, off
	s_or_b64 exec, exec, s[6:7]
	s_and_saveexec_b64 s[6:7], s[0:1]
	s_cbranch_execz .LBB121_43
.LBB121_75:
	v_add_u32_e32 v20, v18, v1
	v_mov_b32_e32 v21, 0
	s_waitcnt lgkmcnt(0)
	v_lshl_add_u64 v[20:21], v[20:21], 2, s[12:13]
	global_store_dword v[20:21], v14, off
	s_or_b64 exec, exec, s[6:7]
	s_and_saveexec_b64 s[6:7], s[2:3]
	s_cbranch_execz .LBB121_44
.LBB121_76:
	v_add_u32_e32 v20, v18, v27
	v_mov_b32_e32 v21, 0
	s_waitcnt lgkmcnt(0)
	v_lshl_add_u64 v[20:21], v[20:21], 2, s[12:13]
	global_store_dword v[20:21], v12, off
	s_or_b64 exec, exec, s[6:7]
	s_and_saveexec_b64 s[6:7], s[4:5]
	s_cbranch_execnz .LBB121_45
	s_branch .LBB121_46
.LBB121_77:
	v_add_u32_e32 v18, v10, v0
	v_mov_b32_e32 v19, 0
	s_waitcnt lgkmcnt(0)
	v_lshl_add_u64 v[18:19], v[18:19], 2, s[12:13]
	global_store_dword v[18:19], v17, off
	s_or_b64 exec, exec, s[6:7]
	s_and_saveexec_b64 s[6:7], s[0:1]
	s_cbranch_execz .LBB121_49
.LBB121_78:
	v_add_u32_e32 v16, v10, v1
	v_mov_b32_e32 v17, 0
	s_waitcnt lgkmcnt(0)
	v_lshl_add_u64 v[16:17], v[16:17], 2, s[12:13]
	global_store_dword v[16:17], v15, off
	s_or_b64 exec, exec, s[6:7]
	s_and_saveexec_b64 s[6:7], s[2:3]
	s_cbranch_execz .LBB121_50
.LBB121_79:
	v_add_u32_e32 v14, v10, v27
	v_mov_b32_e32 v15, 0
	s_waitcnt lgkmcnt(0)
	v_lshl_add_u64 v[14:15], v[14:15], 2, s[12:13]
	global_store_dword v[14:15], v13, off
	s_or_b64 exec, exec, s[6:7]
	s_and_saveexec_b64 s[6:7], s[4:5]
	s_cbranch_execnz .LBB121_51
	s_branch .LBB121_52
.LBB121_80:
	v_add_u32_e32 v12, v10, v0
	v_mov_b32_e32 v13, 0
	s_waitcnt lgkmcnt(0)
	v_lshl_add_u64 v[12:13], v[12:13], 2, s[12:13]
	global_store_dword v[12:13], v8, off
	s_or_b64 exec, exec, s[6:7]
	s_and_saveexec_b64 s[6:7], s[0:1]
	s_cbranch_execz .LBB121_55
.LBB121_81:
	v_add_u32_e32 v12, v10, v1
	v_mov_b32_e32 v13, 0
	s_waitcnt lgkmcnt(0)
	v_lshl_add_u64 v[12:13], v[12:13], 2, s[12:13]
	global_store_dword v[12:13], v6, off
	s_or_b64 exec, exec, s[6:7]
	s_and_saveexec_b64 s[6:7], s[2:3]
	s_cbranch_execz .LBB121_56
.LBB121_82:
	v_add_u32_e32 v12, v10, v27
	v_mov_b32_e32 v13, 0
	s_waitcnt lgkmcnt(0)
	v_lshl_add_u64 v[12:13], v[12:13], 2, s[12:13]
	global_store_dword v[12:13], v4, off
	s_or_b64 exec, exec, s[6:7]
	s_and_saveexec_b64 s[6:7], s[4:5]
	s_cbranch_execnz .LBB121_57
	s_branch .LBB121_58
.LBB121_83:
	v_add_u32_e32 v10, v2, v0
	v_mov_b32_e32 v11, 0
	s_waitcnt lgkmcnt(0)
	v_lshl_add_u64 v[10:11], v[10:11], 2, s[12:13]
	global_store_dword v[10:11], v9, off
	s_or_b64 exec, exec, s[6:7]
	s_and_saveexec_b64 s[6:7], s[0:1]
	s_cbranch_execz .LBB121_61
.LBB121_84:
	v_add_u32_e32 v0, v2, v1
	v_mov_b32_e32 v1, 0
	s_waitcnt lgkmcnt(0)
	v_lshl_add_u64 v[0:1], v[0:1], 2, s[12:13]
	global_store_dword v[0:1], v7, off
	s_or_b64 exec, exec, s[6:7]
	s_and_saveexec_b64 s[0:1], s[2:3]
	s_cbranch_execz .LBB121_62
.LBB121_85:
	v_add_u32_e32 v0, v2, v27
	v_mov_b32_e32 v1, 0
	s_waitcnt lgkmcnt(0)
	v_lshl_add_u64 v[0:1], v[0:1], 2, s[12:13]
	global_store_dword v[0:1], v5, off
	s_or_b64 exec, exec, s[0:1]
	s_and_b64 exec, exec, s[4:5]
	s_cbranch_execnz .LBB121_63
	s_branch .LBB121_64
	.section	.rodata,"a",@progbits
	.p2align	6, 0x0
	.amdhsa_kernel _ZL12mul_mat_q5_0IfLb0EEvPKvS1_PT_iiiii
		.amdhsa_group_segment_fixed_size 46720
		.amdhsa_private_segment_fixed_size 0
		.amdhsa_kernarg_size 44
		.amdhsa_user_sgpr_count 2
		.amdhsa_user_sgpr_dispatch_ptr 0
		.amdhsa_user_sgpr_queue_ptr 0
		.amdhsa_user_sgpr_kernarg_segment_ptr 1
		.amdhsa_user_sgpr_dispatch_id 0
		.amdhsa_user_sgpr_kernarg_preload_length 0
		.amdhsa_user_sgpr_kernarg_preload_offset 0
		.amdhsa_user_sgpr_private_segment_size 0
		.amdhsa_uses_dynamic_stack 0
		.amdhsa_enable_private_segment 0
		.amdhsa_system_sgpr_workgroup_id_x 1
		.amdhsa_system_sgpr_workgroup_id_y 1
		.amdhsa_system_sgpr_workgroup_id_z 0
		.amdhsa_system_sgpr_workgroup_info 0
		.amdhsa_system_vgpr_workitem_id 1
		.amdhsa_next_free_vgpr 175
		.amdhsa_next_free_sgpr 20
		.amdhsa_accum_offset 176
		.amdhsa_reserve_vcc 1
		.amdhsa_float_round_mode_32 0
		.amdhsa_float_round_mode_16_64 0
		.amdhsa_float_denorm_mode_32 3
		.amdhsa_float_denorm_mode_16_64 3
		.amdhsa_dx10_clamp 1
		.amdhsa_ieee_mode 1
		.amdhsa_fp16_overflow 0
		.amdhsa_tg_split 0
		.amdhsa_exception_fp_ieee_invalid_op 0
		.amdhsa_exception_fp_denorm_src 0
		.amdhsa_exception_fp_ieee_div_zero 0
		.amdhsa_exception_fp_ieee_overflow 0
		.amdhsa_exception_fp_ieee_underflow 0
		.amdhsa_exception_fp_ieee_inexact 0
		.amdhsa_exception_int_div_zero 0
	.end_amdhsa_kernel
	.section	.text._ZL12mul_mat_q5_0IfLb0EEvPKvS1_PT_iiiii,"axG",@progbits,_ZL12mul_mat_q5_0IfLb0EEvPKvS1_PT_iiiii,comdat
.Lfunc_end121:
	.size	_ZL12mul_mat_q5_0IfLb0EEvPKvS1_PT_iiiii, .Lfunc_end121-_ZL12mul_mat_q5_0IfLb0EEvPKvS1_PT_iiiii
                                        ; -- End function
	.section	.AMDGPU.csdata,"",@progbits
; Kernel info:
; codeLenInByte = 13988
; NumSgprs: 26
; NumVgprs: 175
; NumAgprs: 0
; TotalNumVgprs: 175
; ScratchSize: 0
; MemoryBound: 0
; FloatMode: 240
; IeeeMode: 1
; LDSByteSize: 46720 bytes/workgroup (compile time only)
; SGPRBlocks: 3
; VGPRBlocks: 21
; NumSGPRsForWavesPerEU: 26
; NumVGPRsForWavesPerEU: 175
; AccumOffset: 176
; Occupancy: 1
; WaveLimiterHint : 0
; COMPUTE_PGM_RSRC2:SCRATCH_EN: 0
; COMPUTE_PGM_RSRC2:USER_SGPR: 2
; COMPUTE_PGM_RSRC2:TRAP_HANDLER: 0
; COMPUTE_PGM_RSRC2:TGID_X_EN: 1
; COMPUTE_PGM_RSRC2:TGID_Y_EN: 1
; COMPUTE_PGM_RSRC2:TGID_Z_EN: 0
; COMPUTE_PGM_RSRC2:TIDIG_COMP_CNT: 1
; COMPUTE_PGM_RSRC3_GFX90A:ACCUM_OFFSET: 43
; COMPUTE_PGM_RSRC3_GFX90A:TG_SPLIT: 0
	.section	.text._ZL12mul_mat_q5_0IfLb1EEvPKvS1_PT_iiiii,"axG",@progbits,_ZL12mul_mat_q5_0IfLb1EEvPKvS1_PT_iiiii,comdat
	.globl	_ZL12mul_mat_q5_0IfLb1EEvPKvS1_PT_iiiii ; -- Begin function _ZL12mul_mat_q5_0IfLb1EEvPKvS1_PT_iiiii
	.p2align	8
	.type	_ZL12mul_mat_q5_0IfLb1EEvPKvS1_PT_iiiii,@function
_ZL12mul_mat_q5_0IfLb1EEvPKvS1_PT_iiiii: ; @_ZL12mul_mat_q5_0IfLb1EEvPKvS1_PT_iiiii
; %bb.0:
	s_load_dwordx4 s[8:11], s[0:1], 0x18
	s_load_dword s14, s[0:1], 0x28
	s_lshl_b32 s15, s3, 6
	v_bfe_u32 v29, v0, 10, 10
	s_waitcnt lgkmcnt(0)
	s_cmp_gt_i32 s8, 31
	s_cbranch_scc1 .LBB122_2
; %bb.1:
	v_bfe_u32 v26, v0, 10, 10
	s_mov_b32 s4, 0
	v_and_b32_e32 v1, 0x3ff, v0
	v_add_u32_e32 v31, s15, v26
	s_mov_b32 s5, s4
	s_mov_b64 s[6:7], 0
	s_branch .LBB122_3
.LBB122_2:
	s_mov_b64 s[6:7], -1
                                        ; implicit-def: $sgpr4_sgpr5
                                        ; implicit-def: $vgpr26
                                        ; implicit-def: $vgpr1
                                        ; implicit-def: $vgpr31
.LBB122_3:
	s_load_dwordx2 s[12:13], s[0:1], 0x10
	s_lshl_b32 s16, s2, 7
	s_andn2_b64 vcc, exec, s[6:7]
	v_mov_b64_e32 v[2:3], s[4:5]
	v_mov_b64_e32 v[10:11], s[4:5]
	;; [unrolled: 1-line block ×16, first 2 shown]
	s_cbranch_vccnz .LBB122_13
; %bb.4:
	s_ashr_i32 s4, s8, 31
	s_lshr_b32 s4, s4, 27
	s_load_dwordx4 s[0:3], s[0:1], 0x0
	s_add_i32 s4, s8, s4
	s_ashr_i32 s6, s4, 5
	s_ashr_i32 s4, s11, 31
	s_lshr_b32 s4, s4, 27
	s_add_i32 s4, s11, s4
	s_mul_i32 s5, s6, s16
	s_ashr_i32 s4, s4, 5
	s_mul_hi_i32 s8, s5, 22
	s_mul_i32 s5, s5, 22
	s_waitcnt lgkmcnt(0)
	s_add_u32 s7, s0, s5
	s_addc_u32 s8, s1, s8
	s_not_b32 s0, s16
	s_add_i32 s5, s0, s9
	v_and_b32_e32 v1, 0x3ff, v0
	v_min_i32_e32 v3, s5, v29
	v_lshlrev_b32_e32 v4, 3, v1
	s_movk_i32 s1, 0x104
	v_add_u32_e32 v8, 8, v29
	v_mul_lo_u32 v28, v3, s6
	v_mad_u64_u32 v[30:31], s[18:19], v3, s1, v[4:5]
	v_min_i32_e32 v3, s5, v8
	v_add_u32_e32 v9, 16, v29
	v_mul_lo_u32 v32, v3, s6
	v_mad_u64_u32 v[34:35], s[18:19], v3, s1, v[4:5]
	v_min_i32_e32 v3, s5, v9
	;; [unrolled: 4-line block ×7, first 2 shown]
	v_mul_lo_u32 v56, v3, s6
	v_mad_u64_u32 v[58:59], s[18:19], v3, s1, v[4:5]
	v_add_u32_e32 v3, 64, v29
	v_min_i32_e32 v3, s5, v3
	v_mul_lo_u32 v60, v3, s6
	v_mad_u64_u32 v[62:63], s[18:19], v3, s1, v[4:5]
	v_add_u32_e32 v3, 0x48, v29
	v_min_i32_e32 v3, s5, v3
	;; [unrolled: 4-line block ×8, first 2 shown]
	v_lshrrev_b32_e32 v33, 3, v1
	v_mul_lo_u32 v92, v3, s6
	v_mad_u64_u32 v[94:95], s[18:19], v3, s1, v[4:5]
	v_lshl_add_u32 v3, v29, 2, v33
	v_min_i32_e32 v4, s5, v3
	v_ashrrev_i32_e32 v5, 31, v4
	v_lshrrev_b32_e32 v5, 30, v5
	v_and_b32_e32 v96, 7, v1
	v_mul_lo_u32 v100, v4, s6
	v_add_u32_e32 v5, v4, v5
	v_lshlrev_b32_e32 v16, 5, v4
	v_add_u32_e32 v4, 32, v3
	v_and_b32_e32 v5, -4, v5
	v_lshlrev_b32_e32 v6, 2, v96
	s_mov_b32 s9, 0xa200
	v_min_i32_e32 v4, s5, v4
	v_add3_u32 v15, v5, v6, s9
	v_ashrrev_i32_e32 v5, 31, v4
	v_lshrrev_b32_e32 v5, 30, v5
	v_mul_lo_u32 v104, v4, s6
	v_add_u32_e32 v5, v4, v5
	v_lshlrev_b32_e32 v18, 5, v4
	v_add_u32_e32 v4, 64, v3
	v_and_b32_e32 v5, -4, v5
	v_min_i32_e32 v4, s5, v4
	v_add3_u32 v17, v5, v6, s9
	v_ashrrev_i32_e32 v5, 31, v4
	v_add_u32_e32 v3, 0x60, v3
	v_lshrrev_b32_e32 v5, 30, v5
	v_min_i32_e32 v3, s5, v3
	v_mul_lo_u32 v106, v4, s6
	v_add_u32_e32 v5, v4, v5
	v_lshlrev_b32_e32 v20, 5, v4
	v_ashrrev_i32_e32 v4, 31, v3
	v_lshrrev_b32_e32 v4, 30, v4
	v_add_u32_e32 v4, v3, v4
	v_lshrrev_b32_e32 v0, 2, v1
	v_and_b32_e32 v5, -4, v5
	v_mul_lo_u32 v108, v3, s6
	v_and_b32_e32 v4, -4, v4
	v_lshlrev_b32_e32 v22, 5, v3
	v_lshlrev_b32_e32 v3, 2, v1
	v_mov_b32_e32 v27, 0
	v_add3_u32 v19, v5, v6, s9
	v_add3_u32 v21, v4, v6, s9
	v_and_b32_e32 v6, 28, v3
	v_lshl_add_u32 v3, v29, 3, v0
	v_mov_b32_e32 v7, v27
	v_and_b32_e32 v3, 63, v3
	v_and_b32_e32 v2, 3, v1
	s_add_i32 s5, s10, -1
	v_lshl_add_u64 v[110:111], s[2:3], 0, v[6:7]
	v_or_b32_e32 v6, s15, v3
	v_lshlrev_b32_e32 v26, 2, v2
	v_min_i32_e32 v6, s5, v6
	v_add_u32_e32 v31, s15, v29
	v_mad_u64_u32 v[112:113], s[18:19], v6, s4, v[2:3]
	v_lshl_or_b32 v2, v3, 4, v26
	v_cvt_f64_i32_e32 v[4:5], s5
	v_add_u32_e32 v35, 0xb280, v2
	v_cvt_f64_u32_e32 v[2:3], v31
	v_and_b32_e32 v23, 31, v1
	v_min_f64 v[2:3], v[2:3], v[4:5]
	v_cvt_i32_f64_e32 v2, v[2:3]
	v_lshlrev_b32_e32 v6, 2, v23
	v_lshlrev_b32_e32 v7, 7, v29
	v_mul_lo_u32 v37, s4, v2
	v_or_b32_e32 v2, v7, v6
	v_add_u32_e32 v39, 0x8200, v2
	v_add_u32_e32 v2, 8, v31
	v_cvt_f64_u32_e32 v[2:3], v2
	v_min_f64 v[2:3], v[2:3], v[4:5]
	v_cvt_i32_f64_e32 v2, v[2:3]
	v_mul_lo_u32 v41, s4, v2
	v_lshl_or_b32 v2, v8, 7, v6
	v_add_u32_e32 v43, 0x8200, v2
	v_add_u32_e32 v2, 16, v31
	v_cvt_f64_u32_e32 v[2:3], v2
	v_min_f64 v[2:3], v[2:3], v[4:5]
	v_cvt_i32_f64_e32 v2, v[2:3]
	v_mul_lo_u32 v45, s4, v2
	v_lshl_or_b32 v2, v9, 7, v6
	;; [unrolled: 7-line block ×7, first 2 shown]
	v_add_u32_e32 v67, 0x8200, v2
	v_add_u32_e32 v2, 32, v1
	v_lshlrev_b32_e32 v5, 5, v1
	v_lshrrev_b32_e32 v71, 3, v2
	v_and_b32_e32 v2, 0x1fc, v2
	v_add_u32_e32 v2, v5, v2
	s_mov_b32 s0, 0
	v_add_u32_e32 v3, 64, v1
	v_add_u32_e32 v4, 0x60, v1
	;; [unrolled: 1-line block ×4, first 2 shown]
	v_mov_b32_e32 v2, 0x80
	v_and_b32_e32 v4, 0x1fc, v4
	v_and_b32_e32 v3, 0x1fc, v3
	;; [unrolled: 1-line block ×3, first 2 shown]
	v_mad_u32_u24 v97, v1, s1, v2
	s_mov_b32 s1, s0
	v_add_u32_e32 v4, v5, v4
	v_add_u32_e32 v3, v5, v3
	;; [unrolled: 1-line block ×3, first 2 shown]
	v_mov_b32_e32 v6, 0xb280
	v_mov_b64_e32 v[102:103], s[0:1]
	v_mul_u32_u24_e32 v69, 0x104, v1
	v_add_u32_e32 v75, 0xae00, v4
	v_add_u32_e32 v77, 0xaa00, v3
	;; [unrolled: 1-line block ×4, first 2 shown]
	v_lshl_add_u32 v87, v29, 4, v6
	v_add_u32_e32 v89, 0xae10, v4
	v_add_u32_e32 v91, 0xaa10, v3
	;; [unrolled: 1-line block ×3, first 2 shown]
	s_movk_i32 s1, 0x1f00
	s_movk_i32 s9, 0xf000
	;; [unrolled: 1-line block ×3, first 2 shown]
	v_add_u32_e32 v101, v15, v16
	v_add_u32_e32 v105, v17, v18
	;; [unrolled: 1-line block ×4, first 2 shown]
	v_mov_b32_e32 v113, 8
	v_mov_b64_e32 v[24:25], v[102:103]
	v_mov_b64_e32 v[16:17], v[102:103]
	;; [unrolled: 1-line block ×15, first 2 shown]
	s_branch .LBB122_6
.LBB122_5:                              ;   in Loop: Header=BB122_6 Depth=1
	s_add_i32 s0, s0, 8
	s_cmp_ge_i32 s0, s6
	s_cbranch_scc1 .LBB122_12
.LBB122_6:                              ; =>This Loop Header: Depth=1
                                        ;     Child Loop BB122_7 Depth 2
                                        ;     Child Loop BB122_10 Depth 2
	s_mul_i32 s4, s0, 22
	s_mul_hi_u32 s5, s0, 22
	s_add_u32 s4, s7, s4
	s_addc_u32 s5, s8, s5
	v_mad_u64_u32 v[114:115], s[18:19], v0, 22, s[4:5]
	v_mad_i64_i32 v[116:117], s[18:19], v28, 22, v[114:115]
	v_lshl_add_u64 v[118:119], v[116:117], 0, v[26:27]
	v_mad_i64_i32 v[124:125], s[18:19], v40, 22, v[114:115]
	v_mad_i64_i32 v[120:121], s[18:19], v32, 22, v[114:115]
	;; [unrolled: 1-line block ×3, first 2 shown]
	global_load_dword v132, v[124:125], off offset:2
	global_load_dword v126, v[122:123], off offset:2
	global_load_dword v127, v[120:121], off offset:2
	global_load_dword v128, v[116:117], off offset:2
	s_nop 0
	global_load_dword v118, v[118:119], off offset:6
	v_lshl_add_u64 v[116:117], v[120:121], 0, v[26:27]
	global_load_dword v119, v[116:117], off offset:6
	v_lshl_add_u64 v[116:117], v[122:123], 0, v[26:27]
	;; [unrolled: 2-line block ×3, first 2 shown]
	global_load_dword v134, v[116:117], off offset:6
	v_mov_b32_e32 v156, v81
	v_mov_b32_e32 v157, v79
	;; [unrolled: 1-line block ×4, first 2 shown]
	s_waitcnt vmcnt(5)
	v_ashrrev_i32_e32 v120, v26, v127
	s_waitcnt vmcnt(4)
	v_ashrrev_i32_e32 v116, v26, v128
	v_lshlrev_b32_e32 v122, 4, v116
	v_lshlrev_b32_e32 v123, 11, v116
	;; [unrolled: 1-line block ×4, first 2 shown]
	v_lshrrev_b32_e32 v127, 12, v116
	v_lshrrev_b32_e32 v128, 5, v116
	v_lshlrev_b32_e32 v129, 2, v116
	s_waitcnt vmcnt(3)
	v_and_b32_e32 v117, 0xf0f0f0f, v118
	v_lshrrev_b32_e32 v118, 4, v118
	v_lshlrev_b32_e32 v116, 9, v116
	v_lshlrev_b32_e32 v130, 4, v120
	v_lshlrev_b32_e32 v131, 11, v120
	v_lshlrev_b32_e32 v135, 18, v120
	v_lshlrev_b32_e32 v136, 25, v120
	v_and_b32_e32 v122, 16, v122
	v_and_b32_e32 v123, 0x1000, v123
	;; [unrolled: 1-line block ×7, first 2 shown]
	s_waitcnt vmcnt(2)
	v_and_b32_e32 v121, 0xf0f0f0f, v119
	v_and_b32_e32 v118, 0xf0f0f0f, v118
	;; [unrolled: 1-line block ×7, first 2 shown]
	v_or3_b32 v122, v122, v117, v123
	v_or3_b32 v117, v117, v124, v125
	;; [unrolled: 1-line block ×5, first 2 shown]
	v_and_b32_e32 v125, 0x1f00, v122
	v_lshlrev_b16_e32 v122, 8, v122
	v_and_b32_sdwa v127, v117, s1 dst_sel:DWORD dst_unused:UNUSED_PAD src0_sel:WORD_1 src1_sel:DWORD
	v_lshlrev_b16_sdwa v117, v113, v117 dst_sel:DWORD dst_unused:UNUSED_PAD src0_sel:DWORD src1_sel:WORD_1
	v_or3_b32 v116, v123, v116, v118
	v_and_b32_e32 v118, 0x1f00, v124
	v_lshlrev_b16_e32 v123, 8, v124
	v_and_b32_sdwa v124, v121, s1 dst_sel:DWORD dst_unused:UNUSED_PAD src0_sel:WORD_1 src1_sel:DWORD
	v_lshlrev_b16_sdwa v121, v113, v121 dst_sel:DWORD dst_unused:UNUSED_PAD src0_sel:DWORD src1_sel:WORD_1
	v_add_u16_e32 v122, 0xf000, v122
	v_add_u16_e32 v117, 0xf000, v117
	v_lshlrev_b16_e32 v129, 8, v116
	v_and_b32_sdwa v130, v116, s11 dst_sel:DWORD dst_unused:UNUSED_PAD src0_sel:WORD_1 src1_sel:DWORD
	v_and_b32_e32 v128, 0x1f00, v116
	v_lshlrev_b16_sdwa v116, v113, v116 dst_sel:DWORD dst_unused:UNUSED_PAD src0_sel:DWORD src1_sel:WORD_1
	v_add_u16_e32 v123, 0xf000, v123
	v_add_u16_e32 v121, 0xf000, v121
	v_or_b32_sdwa v122, v125, v122 dst_sel:DWORD dst_unused:UNUSED_PAD src0_sel:DWORD src1_sel:BYTE_1
	v_or_b32_sdwa v117, v127, v117 dst_sel:DWORD dst_unused:UNUSED_PAD src0_sel:DWORD src1_sel:BYTE_1
	v_add_i16 v125, v129, s9 clamp
	v_add_i16 v127, v130, s9 clamp
	;; [unrolled: 1-line block ×3, first 2 shown]
	v_or_b32_sdwa v118, v118, v123 dst_sel:DWORD dst_unused:UNUSED_PAD src0_sel:DWORD src1_sel:BYTE_1
	v_or_b32_sdwa v121, v124, v121 dst_sel:DWORD dst_unused:UNUSED_PAD src0_sel:DWORD src1_sel:BYTE_1
	v_add_u16_e32 v122, 0xf000, v122
	v_add_u16_sdwa v117, v117, s9 dst_sel:WORD_1 dst_unused:UNUSED_PAD src0_sel:DWORD src1_sel:DWORD
	v_or_b32_sdwa v123, v128, v125 dst_sel:DWORD dst_unused:UNUSED_PAD src0_sel:DWORD src1_sel:BYTE_1
	v_and_b32_e32 v124, 0xffffff00, v127
	v_or_b32_e32 v117, v122, v117
	v_add_u16_e32 v122, 0xf000, v123
	v_or_b32_sdwa v116, v116, v124 dst_sel:WORD_1 dst_unused:UNUSED_PAD src0_sel:BYTE_1 src1_sel:DWORD
	v_add_u16_e32 v118, 0xf000, v118
	v_add_u16_sdwa v121, v121, s9 dst_sel:WORD_1 dst_unused:UNUSED_PAD src0_sel:DWORD src1_sel:DWORD
	v_or_b32_e32 v116, v122, v116
	v_or_b32_e32 v118, v118, v121
	ds_write2_b32 v30, v117, v116 offset1:1
	v_lshrrev_b32_e32 v116, 4, v119
	v_lshrrev_b32_e32 v117, 12, v120
	;; [unrolled: 1-line block ×3, first 2 shown]
	v_lshlrev_b32_e32 v121, 2, v120
	v_and_b32_e32 v117, 16, v117
	v_and_b32_e32 v119, 0x1000, v119
	;; [unrolled: 1-line block ×3, first 2 shown]
	v_lshlrev_b32_e32 v120, 9, v120
	v_and_b32_e32 v116, 0xf0f0f0f, v116
	v_and_b32_e32 v120, 0x10000000, v120
	v_or3_b32 v117, v119, v117, v121
	v_or3_b32 v116, v117, v120, v116
	v_lshlrev_b16_e32 v119, 8, v116
	v_and_b32_e32 v117, 0x1f00, v116
	v_add_i16 v119, v119, s9 clamp
	v_or_b32_sdwa v117, v117, v119 dst_sel:DWORD dst_unused:UNUSED_PAD src0_sel:DWORD src1_sel:BYTE_1
	v_and_b32_sdwa v119, v116, s11 dst_sel:DWORD dst_unused:UNUSED_PAD src0_sel:WORD_1 src1_sel:DWORD
	v_add_i16 v119, v119, s9 clamp
	v_lshlrev_b16_sdwa v116, v113, v116 dst_sel:DWORD dst_unused:UNUSED_PAD src0_sel:DWORD src1_sel:WORD_1
	v_and_b32_e32 v119, 0xffffff00, v119
	v_add_i16 v116, v116, s9 clamp
	v_add_u16_e32 v117, 0xf000, v117
	v_or_b32_sdwa v116, v116, v119 dst_sel:WORD_1 dst_unused:UNUSED_PAD src0_sel:BYTE_1 src1_sel:DWORD
	v_ashrrev_i32_e32 v135, v26, v126
	v_or_b32_e32 v116, v117, v116
	ds_write2_b32 v34, v118, v116 offset1:1
	v_lshlrev_b32_e32 v117, 4, v135
	v_lshlrev_b32_e32 v118, 11, v135
	s_waitcnt vmcnt(1)
	v_and_b32_e32 v116, 0xf0f0f0f, v133
	v_and_b32_e32 v117, 16, v117
	;; [unrolled: 1-line block ×3, first 2 shown]
	v_or3_b32 v117, v117, v116, v118
	v_lshlrev_b32_e32 v118, 18, v135
	v_lshlrev_b32_e32 v119, 25, v135
	v_and_b32_e32 v118, 0x100000, v118
	v_and_b32_e32 v119, 0x10000000, v119
	v_or3_b32 v136, v116, v118, v119
	v_and_b32_e32 v116, 0x1f00, v117
	v_lshlrev_b16_e32 v117, 8, v117
	v_add_u16_e32 v117, 0xf000, v117
	v_or_b32_sdwa v116, v116, v117 dst_sel:DWORD dst_unused:UNUSED_PAD src0_sel:DWORD src1_sel:BYTE_1
	v_add_u16_e32 v137, 0xf000, v116
	v_mad_i64_i32 v[116:117], s[18:19], v44, 22, v[114:115]
	v_mad_i64_i32 v[120:121], s[18:19], v48, 22, v[114:115]
	;; [unrolled: 1-line block ×3, first 2 shown]
	v_lshl_add_u64 v[118:119], v[116:117], 0, v[26:27]
	v_lshl_add_u64 v[122:123], v[120:121], 0, v[26:27]
	v_mad_i64_i32 v[124:125], s[18:19], v52, 22, v[114:115]
	v_lshl_add_u64 v[130:131], v[128:129], 0, v[26:27]
	v_lshl_add_u64 v[126:127], v[124:125], 0, v[26:27]
	global_load_dword v138, v[130:131], off offset:6
	global_load_dword v139, v[128:129], off offset:2
	;; [unrolled: 1-line block ×3, first 2 shown]
	s_nop 0
	global_load_dword v124, v[124:125], off offset:2
	s_nop 0
	global_load_dword v122, v[122:123], off offset:6
	;; [unrolled: 2-line block ×5, first 2 shown]
	v_lshlrev_b16_sdwa v119, v113, v136 dst_sel:DWORD dst_unused:UNUSED_PAD src0_sel:DWORD src1_sel:WORD_1
	v_and_b32_sdwa v117, v136, s1 dst_sel:DWORD dst_unused:UNUSED_PAD src0_sel:WORD_1 src1_sel:DWORD
	v_add_u16_e32 v119, 0xf000, v119
	v_lshrrev_b32_e32 v121, 12, v135
	v_lshrrev_b32_e32 v123, 5, v135
	v_lshlrev_b32_e32 v125, 2, v135
	v_or_b32_sdwa v117, v117, v119 dst_sel:DWORD dst_unused:UNUSED_PAD src0_sel:DWORD src1_sel:BYTE_1
	v_lshrrev_b32_e32 v119, 4, v133
	v_and_b32_e32 v121, 16, v121
	v_and_b32_e32 v123, 0x1000, v123
	v_and_b32_e32 v125, 0x100000, v125
	v_lshlrev_b32_e32 v126, 9, v135
	v_and_b32_e32 v119, 0xf0f0f0f, v119
	v_and_b32_e32 v126, 0x10000000, v126
	v_or3_b32 v121, v123, v121, v125
	v_or3_b32 v119, v121, v126, v119
	v_lshlrev_b16_e32 v123, 8, v119
	v_and_b32_e32 v121, 0x1f00, v119
	v_add_i16 v123, v123, s9 clamp
	v_or_b32_sdwa v121, v121, v123 dst_sel:DWORD dst_unused:UNUSED_PAD src0_sel:DWORD src1_sel:BYTE_1
	v_and_b32_sdwa v123, v119, s11 dst_sel:DWORD dst_unused:UNUSED_PAD src0_sel:WORD_1 src1_sel:DWORD
	v_add_i16 v123, v123, s9 clamp
	v_lshlrev_b16_sdwa v119, v113, v119 dst_sel:DWORD dst_unused:UNUSED_PAD src0_sel:DWORD src1_sel:WORD_1
	v_and_b32_e32 v123, 0xffffff00, v123
	v_add_i16 v119, v119, s9 clamp
	v_add_u16_sdwa v117, v117, s9 dst_sel:WORD_1 dst_unused:UNUSED_PAD src0_sel:DWORD src1_sel:DWORD
	v_add_u16_e32 v121, 0xf000, v121
	v_or_b32_sdwa v119, v119, v123 dst_sel:WORD_1 dst_unused:UNUSED_PAD src0_sel:BYTE_1 src1_sel:DWORD
	v_or_b32_e32 v117, v137, v117
	v_or_b32_e32 v119, v121, v119
	ds_write2_b32 v38, v117, v119 offset1:1
	v_ashrrev_i32_e32 v117, v26, v132
	v_lshlrev_b32_e32 v121, 4, v117
	v_lshlrev_b32_e32 v123, 11, v117
	s_waitcnt vmcnt(8)
	v_and_b32_e32 v119, 0xf0f0f0f, v134
	v_and_b32_e32 v121, 16, v121
	;; [unrolled: 1-line block ×3, first 2 shown]
	v_or3_b32 v121, v121, v119, v123
	v_lshlrev_b32_e32 v123, 18, v117
	v_lshlrev_b32_e32 v125, 25, v117
	v_and_b32_e32 v123, 0x100000, v123
	v_and_b32_e32 v125, 0x10000000, v125
	v_or3_b32 v119, v119, v123, v125
	v_and_b32_e32 v123, 0x1f00, v121
	v_lshlrev_b16_e32 v121, 8, v121
	v_add_u16_e32 v121, 0xf000, v121
	v_or_b32_sdwa v121, v123, v121 dst_sel:DWORD dst_unused:UNUSED_PAD src0_sel:DWORD src1_sel:BYTE_1
	v_and_b32_sdwa v123, v119, s1 dst_sel:DWORD dst_unused:UNUSED_PAD src0_sel:WORD_1 src1_sel:DWORD
	v_lshlrev_b16_sdwa v119, v113, v119 dst_sel:DWORD dst_unused:UNUSED_PAD src0_sel:DWORD src1_sel:WORD_1
	v_add_u16_e32 v119, 0xf000, v119
	v_or_b32_sdwa v119, v123, v119 dst_sel:DWORD dst_unused:UNUSED_PAD src0_sel:DWORD src1_sel:BYTE_1
	v_add_u16_e32 v121, 0xf000, v121
	v_add_u16_sdwa v119, v119, s9 dst_sel:WORD_1 dst_unused:UNUSED_PAD src0_sel:DWORD src1_sel:DWORD
	v_lshrrev_b32_e32 v123, 12, v117
	v_lshrrev_b32_e32 v125, 5, v117
	v_lshlrev_b32_e32 v126, 2, v117
	v_or_b32_e32 v119, v121, v119
	v_lshrrev_b32_e32 v121, 4, v134
	v_and_b32_e32 v123, 16, v123
	v_and_b32_e32 v125, 0x1000, v125
	;; [unrolled: 1-line block ×3, first 2 shown]
	v_lshlrev_b32_e32 v117, 9, v117
	v_and_b32_e32 v121, 0xf0f0f0f, v121
	v_and_b32_e32 v117, 0x10000000, v117
	v_or3_b32 v123, v125, v123, v126
	v_or3_b32 v117, v123, v117, v121
	v_lshlrev_b16_e32 v123, 8, v117
	v_and_b32_e32 v121, 0x1f00, v117
	v_add_i16 v123, v123, s9 clamp
	v_or_b32_sdwa v121, v121, v123 dst_sel:DWORD dst_unused:UNUSED_PAD src0_sel:DWORD src1_sel:BYTE_1
	v_and_b32_sdwa v123, v117, s11 dst_sel:DWORD dst_unused:UNUSED_PAD src0_sel:WORD_1 src1_sel:DWORD
	v_add_i16 v123, v123, s9 clamp
	v_lshlrev_b16_sdwa v117, v113, v117 dst_sel:DWORD dst_unused:UNUSED_PAD src0_sel:DWORD src1_sel:WORD_1
	v_and_b32_e32 v123, 0xffffff00, v123
	v_add_i16 v117, v117, s9 clamp
	v_add_u16_e32 v121, 0xf000, v121
	v_or_b32_sdwa v117, v117, v123 dst_sel:WORD_1 dst_unused:UNUSED_PAD src0_sel:BYTE_1 src1_sel:DWORD
	s_waitcnt vmcnt(4)
	v_ashrrev_i32_e32 v132, v26, v124
	v_or_b32_e32 v117, v121, v117
	s_waitcnt vmcnt(0)
	v_ashrrev_i32_e32 v116, v26, v116
	ds_write2_b32 v42, v119, v117 offset1:1
	v_lshlrev_b32_e32 v119, 4, v116
	v_lshlrev_b32_e32 v121, 11, v116
	v_and_b32_e32 v117, 0xf0f0f0f, v118
	v_and_b32_e32 v119, 16, v119
	;; [unrolled: 1-line block ×3, first 2 shown]
	v_or3_b32 v119, v119, v117, v121
	v_lshlrev_b32_e32 v121, 18, v116
	v_lshlrev_b32_e32 v123, 25, v116
	v_and_b32_e32 v121, 0x100000, v121
	v_and_b32_e32 v123, 0x10000000, v123
	v_or3_b32 v117, v117, v121, v123
	v_and_b32_e32 v121, 0x1f00, v119
	v_lshlrev_b16_e32 v119, 8, v119
	v_add_u16_e32 v119, 0xf000, v119
	v_or_b32_sdwa v119, v121, v119 dst_sel:DWORD dst_unused:UNUSED_PAD src0_sel:DWORD src1_sel:BYTE_1
	v_and_b32_sdwa v121, v117, s1 dst_sel:DWORD dst_unused:UNUSED_PAD src0_sel:WORD_1 src1_sel:DWORD
	v_lshlrev_b16_sdwa v117, v113, v117 dst_sel:DWORD dst_unused:UNUSED_PAD src0_sel:DWORD src1_sel:WORD_1
	v_add_u16_e32 v117, 0xf000, v117
	v_or_b32_sdwa v117, v121, v117 dst_sel:DWORD dst_unused:UNUSED_PAD src0_sel:DWORD src1_sel:BYTE_1
	v_add_u16_e32 v119, 0xf000, v119
	v_add_u16_sdwa v117, v117, s9 dst_sel:WORD_1 dst_unused:UNUSED_PAD src0_sel:DWORD src1_sel:DWORD
	v_lshrrev_b32_e32 v121, 5, v116
	v_or_b32_e32 v117, v119, v117
	v_lshrrev_b32_e32 v119, 12, v116
	v_lshlrev_b32_e32 v123, 2, v116
	v_lshrrev_b32_e32 v118, 4, v118
	v_and_b32_e32 v119, 16, v119
	v_and_b32_e32 v121, 0x1000, v121
	;; [unrolled: 1-line block ×3, first 2 shown]
	v_lshlrev_b32_e32 v116, 9, v116
	v_and_b32_e32 v118, 0xf0f0f0f, v118
	v_and_b32_e32 v116, 0x10000000, v116
	v_or3_b32 v119, v121, v119, v123
	v_or3_b32 v116, v119, v116, v118
	v_lshlrev_b16_e32 v119, 8, v116
	v_and_b32_e32 v118, 0x1f00, v116
	v_add_i16 v119, v119, s9 clamp
	v_or_b32_sdwa v118, v118, v119 dst_sel:DWORD dst_unused:UNUSED_PAD src0_sel:DWORD src1_sel:BYTE_1
	v_and_b32_sdwa v119, v116, s11 dst_sel:DWORD dst_unused:UNUSED_PAD src0_sel:WORD_1 src1_sel:DWORD
	v_add_i16 v119, v119, s9 clamp
	v_lshlrev_b16_sdwa v116, v113, v116 dst_sel:DWORD dst_unused:UNUSED_PAD src0_sel:DWORD src1_sel:WORD_1
	v_and_b32_e32 v119, 0xffffff00, v119
	v_add_i16 v116, v116, s9 clamp
	v_add_u16_e32 v118, 0xf000, v118
	v_or_b32_sdwa v116, v116, v119 dst_sel:WORD_1 dst_unused:UNUSED_PAD src0_sel:BYTE_1 src1_sel:DWORD
	v_mad_i64_i32 v[128:129], s[18:19], v74, 22, v[114:115]
	v_or_b32_e32 v116, v118, v116
	ds_write2_b32 v46, v117, v116 offset1:1
	v_ashrrev_i32_e32 v116, v26, v120
	v_lshlrev_b32_e32 v118, 4, v116
	v_lshlrev_b32_e32 v119, 11, v116
	v_and_b32_e32 v117, 0xf0f0f0f, v122
	v_and_b32_e32 v118, 16, v118
	;; [unrolled: 1-line block ×3, first 2 shown]
	v_or3_b32 v118, v118, v117, v119
	v_lshlrev_b32_e32 v119, 18, v116
	v_lshlrev_b32_e32 v120, 25, v116
	v_and_b32_e32 v119, 0x100000, v119
	v_and_b32_e32 v120, 0x10000000, v120
	v_or3_b32 v117, v117, v119, v120
	v_and_b32_e32 v119, 0x1f00, v118
	v_lshlrev_b16_e32 v118, 8, v118
	v_add_u16_e32 v118, 0xf000, v118
	v_or_b32_sdwa v118, v119, v118 dst_sel:DWORD dst_unused:UNUSED_PAD src0_sel:DWORD src1_sel:BYTE_1
	v_and_b32_sdwa v119, v117, s1 dst_sel:DWORD dst_unused:UNUSED_PAD src0_sel:WORD_1 src1_sel:DWORD
	v_lshlrev_b16_sdwa v117, v113, v117 dst_sel:DWORD dst_unused:UNUSED_PAD src0_sel:DWORD src1_sel:WORD_1
	v_add_u16_e32 v117, 0xf000, v117
	v_or_b32_sdwa v117, v119, v117 dst_sel:DWORD dst_unused:UNUSED_PAD src0_sel:DWORD src1_sel:BYTE_1
	v_add_u16_e32 v118, 0xf000, v118
	v_add_u16_sdwa v117, v117, s9 dst_sel:WORD_1 dst_unused:UNUSED_PAD src0_sel:DWORD src1_sel:DWORD
	v_lshrrev_b32_e32 v119, 12, v116
	v_lshrrev_b32_e32 v120, 5, v116
	v_lshlrev_b32_e32 v121, 2, v116
	v_or_b32_e32 v117, v118, v117
	v_lshrrev_b32_e32 v118, 4, v122
	v_and_b32_e32 v119, 16, v119
	v_and_b32_e32 v120, 0x1000, v120
	;; [unrolled: 1-line block ×3, first 2 shown]
	v_lshlrev_b32_e32 v116, 9, v116
	v_and_b32_e32 v118, 0xf0f0f0f, v118
	v_and_b32_e32 v116, 0x10000000, v116
	v_or3_b32 v119, v120, v119, v121
	v_or3_b32 v116, v119, v116, v118
	v_lshlrev_b16_e32 v119, 8, v116
	v_and_b32_e32 v118, 0x1f00, v116
	v_add_i16 v119, v119, s9 clamp
	v_or_b32_sdwa v118, v118, v119 dst_sel:DWORD dst_unused:UNUSED_PAD src0_sel:DWORD src1_sel:BYTE_1
	v_and_b32_sdwa v119, v116, s11 dst_sel:DWORD dst_unused:UNUSED_PAD src0_sel:WORD_1 src1_sel:DWORD
	v_add_i16 v119, v119, s9 clamp
	v_lshlrev_b16_sdwa v116, v113, v116 dst_sel:DWORD dst_unused:UNUSED_PAD src0_sel:DWORD src1_sel:WORD_1
	v_and_b32_e32 v119, 0xffffff00, v119
	v_add_i16 v116, v116, s9 clamp
	v_add_u16_e32 v118, 0xf000, v118
	v_or_b32_sdwa v116, v116, v119 dst_sel:WORD_1 dst_unused:UNUSED_PAD src0_sel:BYTE_1 src1_sel:DWORD
	v_lshlrev_b32_e32 v119, 25, v132
	v_or_b32_e32 v116, v118, v116
	ds_write2_b32 v50, v117, v116 offset1:1
	v_lshlrev_b32_e32 v117, 4, v132
	v_lshlrev_b32_e32 v118, 11, v132
	v_and_b32_e32 v116, 0xf0f0f0f, v140
	v_and_b32_e32 v117, 16, v117
	;; [unrolled: 1-line block ×3, first 2 shown]
	v_or3_b32 v117, v117, v116, v118
	v_lshlrev_b32_e32 v118, 18, v132
	v_and_b32_e32 v118, 0x100000, v118
	v_and_b32_e32 v119, 0x10000000, v119
	v_or3_b32 v133, v116, v118, v119
	v_and_b32_e32 v116, 0x1f00, v117
	v_lshlrev_b16_e32 v117, 8, v117
	v_add_u16_e32 v117, 0xf000, v117
	v_or_b32_sdwa v116, v116, v117 dst_sel:DWORD dst_unused:UNUSED_PAD src0_sel:DWORD src1_sel:BYTE_1
	v_add_u16_e32 v134, 0xf000, v116
	v_mad_i64_i32 v[116:117], s[18:19], v60, 22, v[114:115]
	v_mad_i64_i32 v[120:121], s[18:19], v64, 22, v[114:115]
	v_lshl_add_u64 v[118:119], v[116:117], 0, v[26:27]
	v_lshl_add_u64 v[122:123], v[120:121], 0, v[26:27]
	v_mad_i64_i32 v[124:125], s[18:19], v68, 22, v[114:115]
	v_lshl_add_u64 v[130:131], v[128:129], 0, v[26:27]
	v_lshl_add_u64 v[126:127], v[124:125], 0, v[26:27]
	global_load_dword v130, v[130:131], off offset:6
	s_nop 0
	global_load_dword v131, v[128:129], off offset:2
	global_load_dword v135, v[126:127], off offset:6
	s_nop 0
	global_load_dword v124, v[124:125], off offset:2
	s_nop 0
	;; [unrolled: 2-line block ×5, first 2 shown]
	global_load_dword v116, v[116:117], off offset:2
	v_lshlrev_b16_sdwa v119, v113, v133 dst_sel:DWORD dst_unused:UNUSED_PAD src0_sel:DWORD src1_sel:WORD_1
	v_and_b32_sdwa v117, v133, s1 dst_sel:DWORD dst_unused:UNUSED_PAD src0_sel:WORD_1 src1_sel:DWORD
	v_add_u16_e32 v119, 0xf000, v119
	v_lshrrev_b32_e32 v121, 12, v132
	v_lshrrev_b32_e32 v123, 5, v132
	v_lshlrev_b32_e32 v125, 2, v132
	v_or_b32_sdwa v117, v117, v119 dst_sel:DWORD dst_unused:UNUSED_PAD src0_sel:DWORD src1_sel:BYTE_1
	v_lshrrev_b32_e32 v119, 4, v140
	v_and_b32_e32 v121, 16, v121
	v_and_b32_e32 v123, 0x1000, v123
	;; [unrolled: 1-line block ×3, first 2 shown]
	v_lshlrev_b32_e32 v126, 9, v132
	v_and_b32_e32 v119, 0xf0f0f0f, v119
	v_and_b32_e32 v126, 0x10000000, v126
	v_or3_b32 v121, v123, v121, v125
	v_or3_b32 v119, v121, v126, v119
	v_lshlrev_b16_e32 v123, 8, v119
	v_and_b32_e32 v121, 0x1f00, v119
	v_add_i16 v123, v123, s9 clamp
	v_or_b32_sdwa v121, v121, v123 dst_sel:DWORD dst_unused:UNUSED_PAD src0_sel:DWORD src1_sel:BYTE_1
	v_and_b32_sdwa v123, v119, s11 dst_sel:DWORD dst_unused:UNUSED_PAD src0_sel:WORD_1 src1_sel:DWORD
	v_add_i16 v123, v123, s9 clamp
	v_lshlrev_b16_sdwa v119, v113, v119 dst_sel:DWORD dst_unused:UNUSED_PAD src0_sel:DWORD src1_sel:WORD_1
	v_and_b32_e32 v123, 0xffffff00, v123
	v_add_i16 v119, v119, s9 clamp
	v_add_u16_sdwa v117, v117, s9 dst_sel:WORD_1 dst_unused:UNUSED_PAD src0_sel:DWORD src1_sel:DWORD
	v_add_u16_e32 v121, 0xf000, v121
	v_or_b32_sdwa v119, v119, v123 dst_sel:WORD_1 dst_unused:UNUSED_PAD src0_sel:BYTE_1 src1_sel:DWORD
	v_or_b32_e32 v117, v134, v117
	v_or_b32_e32 v119, v121, v119
	ds_write2_b32 v54, v117, v119 offset1:1
	v_ashrrev_i32_e32 v117, v26, v139
	v_lshlrev_b32_e32 v121, 4, v117
	v_lshlrev_b32_e32 v123, 11, v117
	v_and_b32_e32 v119, 0xf0f0f0f, v138
	v_and_b32_e32 v121, 16, v121
	;; [unrolled: 1-line block ×3, first 2 shown]
	v_or3_b32 v121, v121, v119, v123
	v_lshlrev_b32_e32 v123, 18, v117
	v_lshlrev_b32_e32 v125, 25, v117
	v_and_b32_e32 v123, 0x100000, v123
	v_and_b32_e32 v125, 0x10000000, v125
	v_or3_b32 v119, v119, v123, v125
	v_and_b32_e32 v123, 0x1f00, v121
	v_lshlrev_b16_e32 v121, 8, v121
	v_add_u16_e32 v121, 0xf000, v121
	v_or_b32_sdwa v121, v123, v121 dst_sel:DWORD dst_unused:UNUSED_PAD src0_sel:DWORD src1_sel:BYTE_1
	v_and_b32_sdwa v123, v119, s1 dst_sel:DWORD dst_unused:UNUSED_PAD src0_sel:WORD_1 src1_sel:DWORD
	v_lshlrev_b16_sdwa v119, v113, v119 dst_sel:DWORD dst_unused:UNUSED_PAD src0_sel:DWORD src1_sel:WORD_1
	v_add_u16_e32 v119, 0xf000, v119
	v_or_b32_sdwa v119, v123, v119 dst_sel:DWORD dst_unused:UNUSED_PAD src0_sel:DWORD src1_sel:BYTE_1
	v_add_u16_e32 v121, 0xf000, v121
	v_add_u16_sdwa v119, v119, s9 dst_sel:WORD_1 dst_unused:UNUSED_PAD src0_sel:DWORD src1_sel:DWORD
	v_lshrrev_b32_e32 v123, 12, v117
	v_lshrrev_b32_e32 v125, 5, v117
	v_lshlrev_b32_e32 v126, 2, v117
	v_or_b32_e32 v119, v121, v119
	v_lshrrev_b32_e32 v121, 4, v138
	v_and_b32_e32 v123, 16, v123
	v_and_b32_e32 v125, 0x1000, v125
	;; [unrolled: 1-line block ×3, first 2 shown]
	v_lshlrev_b32_e32 v117, 9, v117
	v_and_b32_e32 v121, 0xf0f0f0f, v121
	v_and_b32_e32 v117, 0x10000000, v117
	v_or3_b32 v123, v125, v123, v126
	v_or3_b32 v117, v123, v117, v121
	v_lshlrev_b16_e32 v123, 8, v117
	v_and_b32_e32 v121, 0x1f00, v117
	v_add_i16 v123, v123, s9 clamp
	v_or_b32_sdwa v121, v121, v123 dst_sel:DWORD dst_unused:UNUSED_PAD src0_sel:DWORD src1_sel:BYTE_1
	v_and_b32_sdwa v123, v117, s11 dst_sel:DWORD dst_unused:UNUSED_PAD src0_sel:WORD_1 src1_sel:DWORD
	v_add_i16 v123, v123, s9 clamp
	v_lshlrev_b16_sdwa v117, v113, v117 dst_sel:DWORD dst_unused:UNUSED_PAD src0_sel:DWORD src1_sel:WORD_1
	v_and_b32_e32 v123, 0xffffff00, v123
	v_add_i16 v117, v117, s9 clamp
	v_add_u16_e32 v121, 0xf000, v121
	v_or_b32_sdwa v117, v117, v123 dst_sel:WORD_1 dst_unused:UNUSED_PAD src0_sel:BYTE_1 src1_sel:DWORD
	s_waitcnt vmcnt(4)
	v_ashrrev_i32_e32 v132, v26, v124
	v_or_b32_e32 v117, v121, v117
	s_waitcnt vmcnt(0)
	v_ashrrev_i32_e32 v116, v26, v116
	ds_write2_b32 v58, v119, v117 offset1:1
	v_lshlrev_b32_e32 v119, 4, v116
	v_lshlrev_b32_e32 v121, 11, v116
	v_and_b32_e32 v117, 0xf0f0f0f, v118
	v_and_b32_e32 v119, 16, v119
	;; [unrolled: 1-line block ×3, first 2 shown]
	v_or3_b32 v119, v119, v117, v121
	v_lshlrev_b32_e32 v121, 18, v116
	v_lshlrev_b32_e32 v123, 25, v116
	v_and_b32_e32 v121, 0x100000, v121
	v_and_b32_e32 v123, 0x10000000, v123
	v_or3_b32 v117, v117, v121, v123
	v_and_b32_e32 v121, 0x1f00, v119
	v_lshlrev_b16_e32 v119, 8, v119
	v_add_u16_e32 v119, 0xf000, v119
	v_or_b32_sdwa v119, v121, v119 dst_sel:DWORD dst_unused:UNUSED_PAD src0_sel:DWORD src1_sel:BYTE_1
	v_and_b32_sdwa v121, v117, s1 dst_sel:DWORD dst_unused:UNUSED_PAD src0_sel:WORD_1 src1_sel:DWORD
	v_lshlrev_b16_sdwa v117, v113, v117 dst_sel:DWORD dst_unused:UNUSED_PAD src0_sel:DWORD src1_sel:WORD_1
	v_add_u16_e32 v117, 0xf000, v117
	v_or_b32_sdwa v117, v121, v117 dst_sel:DWORD dst_unused:UNUSED_PAD src0_sel:DWORD src1_sel:BYTE_1
	v_add_u16_e32 v119, 0xf000, v119
	v_add_u16_sdwa v117, v117, s9 dst_sel:WORD_1 dst_unused:UNUSED_PAD src0_sel:DWORD src1_sel:DWORD
	v_lshrrev_b32_e32 v121, 5, v116
	v_or_b32_e32 v117, v119, v117
	v_lshrrev_b32_e32 v119, 12, v116
	v_lshlrev_b32_e32 v123, 2, v116
	v_lshrrev_b32_e32 v118, 4, v118
	v_and_b32_e32 v119, 16, v119
	v_and_b32_e32 v121, 0x1000, v121
	;; [unrolled: 1-line block ×3, first 2 shown]
	v_lshlrev_b32_e32 v116, 9, v116
	v_and_b32_e32 v118, 0xf0f0f0f, v118
	v_and_b32_e32 v116, 0x10000000, v116
	v_or3_b32 v119, v121, v119, v123
	v_or3_b32 v116, v119, v116, v118
	v_lshlrev_b16_e32 v119, 8, v116
	v_and_b32_e32 v118, 0x1f00, v116
	v_add_i16 v119, v119, s9 clamp
	v_or_b32_sdwa v118, v118, v119 dst_sel:DWORD dst_unused:UNUSED_PAD src0_sel:DWORD src1_sel:BYTE_1
	v_and_b32_sdwa v119, v116, s11 dst_sel:DWORD dst_unused:UNUSED_PAD src0_sel:WORD_1 src1_sel:DWORD
	v_add_i16 v119, v119, s9 clamp
	v_lshlrev_b16_sdwa v116, v113, v116 dst_sel:DWORD dst_unused:UNUSED_PAD src0_sel:DWORD src1_sel:WORD_1
	v_and_b32_e32 v119, 0xffffff00, v119
	v_add_i16 v116, v116, s9 clamp
	v_add_u16_e32 v118, 0xf000, v118
	v_or_b32_sdwa v116, v116, v119 dst_sel:WORD_1 dst_unused:UNUSED_PAD src0_sel:BYTE_1 src1_sel:DWORD
	v_mad_i64_i32 v[124:125], s[18:19], v88, 22, v[114:115]
	v_or_b32_e32 v116, v118, v116
	ds_write2_b32 v62, v117, v116 offset1:1
	v_ashrrev_i32_e32 v116, v26, v120
	v_lshlrev_b32_e32 v118, 4, v116
	v_lshlrev_b32_e32 v119, 11, v116
	v_and_b32_e32 v117, 0xf0f0f0f, v122
	v_and_b32_e32 v118, 16, v118
	;; [unrolled: 1-line block ×3, first 2 shown]
	v_or3_b32 v118, v118, v117, v119
	v_lshlrev_b32_e32 v119, 18, v116
	v_lshlrev_b32_e32 v120, 25, v116
	v_and_b32_e32 v119, 0x100000, v119
	v_and_b32_e32 v120, 0x10000000, v120
	v_or3_b32 v117, v117, v119, v120
	v_and_b32_e32 v119, 0x1f00, v118
	v_lshlrev_b16_e32 v118, 8, v118
	v_add_u16_e32 v118, 0xf000, v118
	v_or_b32_sdwa v118, v119, v118 dst_sel:DWORD dst_unused:UNUSED_PAD src0_sel:DWORD src1_sel:BYTE_1
	v_and_b32_sdwa v119, v117, s1 dst_sel:DWORD dst_unused:UNUSED_PAD src0_sel:WORD_1 src1_sel:DWORD
	v_lshlrev_b16_sdwa v117, v113, v117 dst_sel:DWORD dst_unused:UNUSED_PAD src0_sel:DWORD src1_sel:WORD_1
	v_add_u16_e32 v117, 0xf000, v117
	v_or_b32_sdwa v117, v119, v117 dst_sel:DWORD dst_unused:UNUSED_PAD src0_sel:DWORD src1_sel:BYTE_1
	v_add_u16_e32 v118, 0xf000, v118
	v_add_u16_sdwa v117, v117, s9 dst_sel:WORD_1 dst_unused:UNUSED_PAD src0_sel:DWORD src1_sel:DWORD
	v_lshrrev_b32_e32 v119, 12, v116
	v_lshrrev_b32_e32 v120, 5, v116
	v_lshlrev_b32_e32 v121, 2, v116
	v_or_b32_e32 v117, v118, v117
	v_lshrrev_b32_e32 v118, 4, v122
	v_and_b32_e32 v119, 16, v119
	v_and_b32_e32 v120, 0x1000, v120
	;; [unrolled: 1-line block ×3, first 2 shown]
	v_lshlrev_b32_e32 v116, 9, v116
	v_and_b32_e32 v118, 0xf0f0f0f, v118
	v_and_b32_e32 v116, 0x10000000, v116
	v_or3_b32 v119, v120, v119, v121
	v_or3_b32 v116, v119, v116, v118
	v_lshlrev_b16_e32 v119, 8, v116
	v_and_b32_e32 v118, 0x1f00, v116
	v_add_i16 v119, v119, s9 clamp
	v_or_b32_sdwa v118, v118, v119 dst_sel:DWORD dst_unused:UNUSED_PAD src0_sel:DWORD src1_sel:BYTE_1
	v_and_b32_sdwa v119, v116, s11 dst_sel:DWORD dst_unused:UNUSED_PAD src0_sel:WORD_1 src1_sel:DWORD
	v_add_i16 v119, v119, s9 clamp
	v_lshlrev_b16_sdwa v116, v113, v116 dst_sel:DWORD dst_unused:UNUSED_PAD src0_sel:DWORD src1_sel:WORD_1
	v_and_b32_e32 v119, 0xffffff00, v119
	v_add_i16 v116, v116, s9 clamp
	v_add_u16_e32 v118, 0xf000, v118
	v_or_b32_sdwa v116, v116, v119 dst_sel:WORD_1 dst_unused:UNUSED_PAD src0_sel:BYTE_1 src1_sel:DWORD
	v_lshlrev_b32_e32 v119, 25, v132
	v_or_b32_e32 v116, v118, v116
	ds_write2_b32 v66, v117, v116 offset1:1
	v_lshlrev_b32_e32 v117, 4, v132
	v_lshlrev_b32_e32 v118, 11, v132
	v_and_b32_e32 v116, 0xf0f0f0f, v135
	v_and_b32_e32 v117, 16, v117
	;; [unrolled: 1-line block ×3, first 2 shown]
	v_or3_b32 v117, v117, v116, v118
	v_lshlrev_b32_e32 v118, 18, v132
	v_and_b32_e32 v118, 0x100000, v118
	v_and_b32_e32 v119, 0x10000000, v119
	v_or3_b32 v133, v116, v118, v119
	v_and_b32_e32 v116, 0x1f00, v117
	v_lshlrev_b16_e32 v117, 8, v117
	v_add_u16_e32 v117, 0xf000, v117
	v_or_b32_sdwa v116, v116, v117 dst_sel:DWORD dst_unused:UNUSED_PAD src0_sel:DWORD src1_sel:BYTE_1
	v_add_u16_e32 v134, 0xf000, v116
	v_mad_i64_i32 v[116:117], s[18:19], v78, 22, v[114:115]
	v_mad_i64_i32 v[120:121], s[18:19], v82, 22, v[114:115]
	;; [unrolled: 1-line block ×3, first 2 shown]
	v_lshl_add_u64 v[118:119], v[116:117], 0, v[26:27]
	v_lshl_add_u64 v[122:123], v[120:121], 0, v[26:27]
	v_lshl_add_u64 v[128:129], v[114:115], 0, v[26:27]
	v_lshl_add_u64 v[126:127], v[124:125], 0, v[26:27]
	global_load_dword v136, v[128:129], off offset:6
	global_load_dword v137, v[114:115], off offset:2
	s_nop 0
	global_load_dword v114, v[126:127], off offset:6
	global_load_dword v115, v[124:125], off offset:2
	s_nop 0
	global_load_dword v122, v[122:123], off offset:6
	s_nop 0
	;; [unrolled: 2-line block ×4, first 2 shown]
	global_load_dword v116, v[116:117], off offset:2
	v_lshlrev_b16_sdwa v119, v113, v133 dst_sel:DWORD dst_unused:UNUSED_PAD src0_sel:DWORD src1_sel:WORD_1
	v_and_b32_sdwa v117, v133, s1 dst_sel:DWORD dst_unused:UNUSED_PAD src0_sel:WORD_1 src1_sel:DWORD
	v_add_u16_e32 v119, 0xf000, v119
	v_lshrrev_b32_e32 v121, 12, v132
	v_lshrrev_b32_e32 v123, 5, v132
	v_lshlrev_b32_e32 v124, 2, v132
	v_or_b32_sdwa v117, v117, v119 dst_sel:DWORD dst_unused:UNUSED_PAD src0_sel:DWORD src1_sel:BYTE_1
	v_lshrrev_b32_e32 v119, 4, v135
	v_and_b32_e32 v121, 16, v121
	v_and_b32_e32 v123, 0x1000, v123
	;; [unrolled: 1-line block ×3, first 2 shown]
	v_lshlrev_b32_e32 v125, 9, v132
	v_and_b32_e32 v119, 0xf0f0f0f, v119
	v_and_b32_e32 v125, 0x10000000, v125
	v_or3_b32 v121, v123, v121, v124
	v_or3_b32 v119, v121, v125, v119
	v_lshlrev_b16_e32 v123, 8, v119
	v_and_b32_e32 v121, 0x1f00, v119
	v_add_i16 v123, v123, s9 clamp
	v_or_b32_sdwa v121, v121, v123 dst_sel:DWORD dst_unused:UNUSED_PAD src0_sel:DWORD src1_sel:BYTE_1
	v_and_b32_sdwa v123, v119, s11 dst_sel:DWORD dst_unused:UNUSED_PAD src0_sel:WORD_1 src1_sel:DWORD
	v_add_i16 v123, v123, s9 clamp
	v_lshlrev_b16_sdwa v119, v113, v119 dst_sel:DWORD dst_unused:UNUSED_PAD src0_sel:DWORD src1_sel:WORD_1
	v_and_b32_e32 v123, 0xffffff00, v123
	v_add_i16 v119, v119, s9 clamp
	v_add_u16_sdwa v117, v117, s9 dst_sel:WORD_1 dst_unused:UNUSED_PAD src0_sel:DWORD src1_sel:DWORD
	v_add_u16_e32 v121, 0xf000, v121
	v_or_b32_sdwa v119, v119, v123 dst_sel:WORD_1 dst_unused:UNUSED_PAD src0_sel:BYTE_1 src1_sel:DWORD
	v_or_b32_e32 v117, v134, v117
	v_or_b32_e32 v119, v121, v119
	ds_write2_b32 v70, v117, v119 offset1:1
	v_ashrrev_i32_e32 v117, v26, v131
	v_lshlrev_b32_e32 v121, 4, v117
	v_lshlrev_b32_e32 v123, 11, v117
	v_and_b32_e32 v119, 0xf0f0f0f, v130
	v_and_b32_e32 v121, 16, v121
	;; [unrolled: 1-line block ×3, first 2 shown]
	v_or3_b32 v121, v121, v119, v123
	v_lshlrev_b32_e32 v123, 18, v117
	v_lshlrev_b32_e32 v124, 25, v117
	v_and_b32_e32 v123, 0x100000, v123
	v_and_b32_e32 v124, 0x10000000, v124
	v_or3_b32 v119, v119, v123, v124
	v_and_b32_e32 v123, 0x1f00, v121
	v_lshlrev_b16_e32 v121, 8, v121
	v_add_u16_e32 v121, 0xf000, v121
	v_or_b32_sdwa v121, v123, v121 dst_sel:DWORD dst_unused:UNUSED_PAD src0_sel:DWORD src1_sel:BYTE_1
	v_and_b32_sdwa v123, v119, s1 dst_sel:DWORD dst_unused:UNUSED_PAD src0_sel:WORD_1 src1_sel:DWORD
	v_lshlrev_b16_sdwa v119, v113, v119 dst_sel:DWORD dst_unused:UNUSED_PAD src0_sel:DWORD src1_sel:WORD_1
	v_add_u16_e32 v119, 0xf000, v119
	v_or_b32_sdwa v119, v123, v119 dst_sel:DWORD dst_unused:UNUSED_PAD src0_sel:DWORD src1_sel:BYTE_1
	v_add_u16_e32 v121, 0xf000, v121
	v_add_u16_sdwa v119, v119, s9 dst_sel:WORD_1 dst_unused:UNUSED_PAD src0_sel:DWORD src1_sel:DWORD
	v_lshrrev_b32_e32 v123, 12, v117
	v_lshrrev_b32_e32 v124, 5, v117
	v_lshlrev_b32_e32 v125, 2, v117
	v_or_b32_e32 v119, v121, v119
	v_lshrrev_b32_e32 v121, 4, v130
	v_and_b32_e32 v123, 16, v123
	v_and_b32_e32 v124, 0x1000, v124
	;; [unrolled: 1-line block ×3, first 2 shown]
	v_lshlrev_b32_e32 v117, 9, v117
	v_and_b32_e32 v121, 0xf0f0f0f, v121
	v_and_b32_e32 v117, 0x10000000, v117
	v_or3_b32 v123, v124, v123, v125
	v_or3_b32 v117, v123, v117, v121
	v_lshlrev_b16_e32 v123, 8, v117
	v_and_b32_e32 v121, 0x1f00, v117
	v_add_i16 v123, v123, s9 clamp
	v_or_b32_sdwa v121, v121, v123 dst_sel:DWORD dst_unused:UNUSED_PAD src0_sel:DWORD src1_sel:BYTE_1
	v_and_b32_sdwa v123, v117, s11 dst_sel:DWORD dst_unused:UNUSED_PAD src0_sel:WORD_1 src1_sel:DWORD
	v_add_i16 v123, v123, s9 clamp
	v_lshlrev_b16_sdwa v117, v113, v117 dst_sel:DWORD dst_unused:UNUSED_PAD src0_sel:DWORD src1_sel:WORD_1
	v_and_b32_e32 v123, 0xffffff00, v123
	v_add_i16 v117, v117, s9 clamp
	v_add_u16_e32 v121, 0xf000, v121
	v_or_b32_sdwa v117, v117, v123 dst_sel:WORD_1 dst_unused:UNUSED_PAD src0_sel:BYTE_1 src1_sel:DWORD
	s_waitcnt vmcnt(4)
	v_ashrrev_i32_e32 v115, v26, v115
	v_or_b32_e32 v117, v121, v117
	s_waitcnt vmcnt(0)
	v_ashrrev_i32_e32 v116, v26, v116
	ds_write2_b32 v76, v119, v117 offset1:1
	v_lshlrev_b32_e32 v119, 4, v116
	v_lshlrev_b32_e32 v121, 11, v116
	v_and_b32_e32 v117, 0xf0f0f0f, v118
	v_and_b32_e32 v119, 16, v119
	;; [unrolled: 1-line block ×3, first 2 shown]
	v_or3_b32 v119, v119, v117, v121
	v_lshlrev_b32_e32 v121, 18, v116
	v_lshlrev_b32_e32 v123, 25, v116
	v_and_b32_e32 v121, 0x100000, v121
	v_and_b32_e32 v123, 0x10000000, v123
	v_or3_b32 v117, v117, v121, v123
	v_and_b32_e32 v121, 0x1f00, v119
	v_lshlrev_b16_e32 v119, 8, v119
	v_add_u16_e32 v119, 0xf000, v119
	v_or_b32_sdwa v119, v121, v119 dst_sel:DWORD dst_unused:UNUSED_PAD src0_sel:DWORD src1_sel:BYTE_1
	v_and_b32_sdwa v121, v117, s1 dst_sel:DWORD dst_unused:UNUSED_PAD src0_sel:WORD_1 src1_sel:DWORD
	v_lshlrev_b16_sdwa v117, v113, v117 dst_sel:DWORD dst_unused:UNUSED_PAD src0_sel:DWORD src1_sel:WORD_1
	v_add_u16_e32 v117, 0xf000, v117
	v_or_b32_sdwa v117, v121, v117 dst_sel:DWORD dst_unused:UNUSED_PAD src0_sel:DWORD src1_sel:BYTE_1
	v_add_u16_e32 v119, 0xf000, v119
	v_add_u16_sdwa v117, v117, s9 dst_sel:WORD_1 dst_unused:UNUSED_PAD src0_sel:DWORD src1_sel:DWORD
	v_lshrrev_b32_e32 v121, 5, v116
	v_or_b32_e32 v117, v119, v117
	v_lshrrev_b32_e32 v119, 12, v116
	v_lshlrev_b32_e32 v123, 2, v116
	v_lshrrev_b32_e32 v118, 4, v118
	v_and_b32_e32 v119, 16, v119
	v_and_b32_e32 v121, 0x1000, v121
	v_and_b32_e32 v123, 0x100000, v123
	v_lshlrev_b32_e32 v116, 9, v116
	v_and_b32_e32 v118, 0xf0f0f0f, v118
	v_and_b32_e32 v116, 0x10000000, v116
	v_or3_b32 v119, v121, v119, v123
	v_or3_b32 v116, v119, v116, v118
	v_lshlrev_b16_e32 v119, 8, v116
	v_and_b32_e32 v118, 0x1f00, v116
	v_add_i16 v119, v119, s9 clamp
	v_or_b32_sdwa v118, v118, v119 dst_sel:DWORD dst_unused:UNUSED_PAD src0_sel:DWORD src1_sel:BYTE_1
	v_and_b32_sdwa v119, v116, s11 dst_sel:DWORD dst_unused:UNUSED_PAD src0_sel:WORD_1 src1_sel:DWORD
	v_add_i16 v119, v119, s9 clamp
	v_lshlrev_b16_sdwa v116, v113, v116 dst_sel:DWORD dst_unused:UNUSED_PAD src0_sel:DWORD src1_sel:WORD_1
	v_and_b32_e32 v119, 0xffffff00, v119
	v_add_i16 v116, v116, s9 clamp
	v_add_u16_e32 v118, 0xf000, v118
	v_or_b32_sdwa v116, v116, v119 dst_sel:WORD_1 dst_unused:UNUSED_PAD src0_sel:BYTE_1 src1_sel:DWORD
	v_add_u32_e32 v130, s0, v33
	v_or_b32_e32 v116, v118, v116
	ds_write2_b32 v80, v117, v116 offset1:1
	v_ashrrev_i32_e32 v116, v26, v120
	v_lshlrev_b32_e32 v118, 4, v116
	v_lshlrev_b32_e32 v119, 11, v116
	v_and_b32_e32 v117, 0xf0f0f0f, v122
	v_and_b32_e32 v118, 16, v118
	;; [unrolled: 1-line block ×3, first 2 shown]
	v_or3_b32 v118, v118, v117, v119
	v_lshlrev_b32_e32 v119, 18, v116
	v_lshlrev_b32_e32 v120, 25, v116
	v_and_b32_e32 v119, 0x100000, v119
	v_and_b32_e32 v120, 0x10000000, v120
	v_or3_b32 v117, v117, v119, v120
	v_and_b32_e32 v119, 0x1f00, v118
	v_lshlrev_b16_e32 v118, 8, v118
	v_add_u16_e32 v118, 0xf000, v118
	v_or_b32_sdwa v118, v119, v118 dst_sel:DWORD dst_unused:UNUSED_PAD src0_sel:DWORD src1_sel:BYTE_1
	v_and_b32_sdwa v119, v117, s1 dst_sel:DWORD dst_unused:UNUSED_PAD src0_sel:WORD_1 src1_sel:DWORD
	v_lshlrev_b16_sdwa v117, v113, v117 dst_sel:DWORD dst_unused:UNUSED_PAD src0_sel:DWORD src1_sel:WORD_1
	v_add_u16_e32 v117, 0xf000, v117
	v_or_b32_sdwa v117, v119, v117 dst_sel:DWORD dst_unused:UNUSED_PAD src0_sel:DWORD src1_sel:BYTE_1
	v_add_u16_e32 v118, 0xf000, v118
	v_add_u16_sdwa v117, v117, s9 dst_sel:WORD_1 dst_unused:UNUSED_PAD src0_sel:DWORD src1_sel:DWORD
	v_lshrrev_b32_e32 v119, 12, v116
	v_lshrrev_b32_e32 v120, 5, v116
	v_lshlrev_b32_e32 v121, 2, v116
	v_or_b32_e32 v117, v118, v117
	v_lshrrev_b32_e32 v118, 4, v122
	v_and_b32_e32 v119, 16, v119
	v_and_b32_e32 v120, 0x1000, v120
	;; [unrolled: 1-line block ×3, first 2 shown]
	v_lshlrev_b32_e32 v116, 9, v116
	v_and_b32_e32 v118, 0xf0f0f0f, v118
	v_and_b32_e32 v116, 0x10000000, v116
	v_or3_b32 v119, v120, v119, v121
	v_or3_b32 v116, v119, v116, v118
	v_lshlrev_b16_e32 v119, 8, v116
	v_and_b32_e32 v118, 0x1f00, v116
	v_add_i16 v119, v119, s9 clamp
	v_or_b32_sdwa v118, v118, v119 dst_sel:DWORD dst_unused:UNUSED_PAD src0_sel:DWORD src1_sel:BYTE_1
	v_and_b32_sdwa v119, v116, s11 dst_sel:DWORD dst_unused:UNUSED_PAD src0_sel:WORD_1 src1_sel:DWORD
	v_add_i16 v119, v119, s9 clamp
	v_lshlrev_b16_sdwa v116, v113, v116 dst_sel:DWORD dst_unused:UNUSED_PAD src0_sel:DWORD src1_sel:WORD_1
	v_and_b32_e32 v119, 0xffffff00, v119
	v_add_i16 v116, v116, s9 clamp
	v_add_u16_e32 v118, 0xf000, v118
	v_or_b32_sdwa v116, v116, v119 dst_sel:WORD_1 dst_unused:UNUSED_PAD src0_sel:BYTE_1 src1_sel:DWORD
	v_lshlrev_b32_e32 v119, 25, v115
	v_or_b32_e32 v116, v118, v116
	ds_write2_b32 v86, v117, v116 offset1:1
	v_lshlrev_b32_e32 v117, 4, v115
	v_lshlrev_b32_e32 v118, 11, v115
	v_and_b32_e32 v116, 0xf0f0f0f, v114
	v_and_b32_e32 v117, 16, v117
	;; [unrolled: 1-line block ×3, first 2 shown]
	v_or3_b32 v117, v117, v116, v118
	v_lshlrev_b32_e32 v118, 18, v115
	v_and_b32_e32 v118, 0x100000, v118
	v_and_b32_e32 v119, 0x10000000, v119
	v_or3_b32 v116, v116, v118, v119
	v_and_b32_e32 v118, 0x1f00, v117
	v_lshlrev_b16_e32 v117, 8, v117
	v_lshrrev_b32_e32 v114, 4, v114
	v_add_u16_e32 v117, 0xf000, v117
	v_and_b32_e32 v135, 0xf0f0f0f, v114
	v_lshrrev_b32_e32 v114, 12, v115
	v_or_b32_sdwa v117, v118, v117 dst_sel:DWORD dst_unused:UNUSED_PAD src0_sel:DWORD src1_sel:BYTE_1
	v_and_b32_sdwa v118, v116, s1 dst_sel:DWORD dst_unused:UNUSED_PAD src0_sel:WORD_1 src1_sel:DWORD
	v_lshlrev_b16_sdwa v116, v113, v116 dst_sel:DWORD dst_unused:UNUSED_PAD src0_sel:DWORD src1_sel:WORD_1
	v_and_b32_e32 v138, 16, v114
	v_lshrrev_b32_e32 v114, 5, v115
	v_add_u16_e32 v116, 0xf000, v116
	v_and_b32_e32 v139, 0x1000, v114
	v_lshlrev_b32_e32 v114, 2, v115
	v_or_b32_sdwa v116, v118, v116 dst_sel:DWORD dst_unused:UNUSED_PAD src0_sel:DWORD src1_sel:BYTE_1
	v_and_b32_e32 v140, 0x100000, v114
	v_lshlrev_b32_e32 v114, 9, v115
	v_add_u16_e32 v117, 0xf000, v117
	v_add_u16_sdwa v116, v116, s9 dst_sel:WORD_1 dst_unused:UNUSED_PAD src0_sel:DWORD src1_sel:DWORD
	v_and_b32_e32 v141, 0x10000000, v114
	v_mad_u64_u32 v[114:115], s[4:5], v96, 22, s[4:5]
	v_or_b32_e32 v134, v117, v116
	v_mad_i64_i32 v[116:117], s[4:5], v100, 22, v[114:115]
	v_mad_i64_i32 v[118:119], s[4:5], v104, 22, v[114:115]
	;; [unrolled: 1-line block ×4, first 2 shown]
	global_load_ushort v142, v[116:117], off
	global_load_ushort v143, v[118:119], off
	;; [unrolled: 1-line block ×3, first 2 shown]
	s_nop 0
	global_load_ushort v114, v[114:115], off
	v_add_u32_e32 v116, v130, v37
	v_add_u32_e32 v118, v130, v41
	;; [unrolled: 1-line block ×6, first 2 shown]
	v_mad_i64_i32 v[116:117], s[4:5], v116, 36, v[110:111]
	v_mad_i64_i32 v[118:119], s[4:5], v118, 36, v[110:111]
	;; [unrolled: 1-line block ×5, first 2 shown]
	v_add_u32_e32 v126, v130, v57
	v_add_u32_e32 v128, v130, v61
	v_add_u32_e32 v130, v130, v65
	v_mad_i64_i32 v[126:127], s[4:5], v126, 36, v[110:111]
	v_mad_i64_i32 v[128:129], s[4:5], v128, 36, v[110:111]
	v_mad_i64_i32 v[130:131], s[4:5], v130, 36, v[110:111]
	v_mad_u64_u32 v[132:133], s[4:5], v115, 36, s[2:3]
	global_load_dword v116, v[116:117], off offset:4
	s_nop 0
	global_load_dword v117, v[118:119], off offset:4
	s_nop 0
	global_load_dword v118, v[120:121], off offset:4
	global_load_dword v119, v[122:123], off offset:4
	s_nop 0
	global_load_dword v120, v[124:125], off offset:4
	global_load_dword v121, v[132:133], off
	global_load_dword v122, v[126:127], off offset:4
	global_load_dword v123, v[128:129], off offset:4
	s_nop 0
	global_load_dword v124, v[130:131], off offset:4
	v_or3_b32 v125, v139, v138, v140
	v_or3_b32 v125, v125, v141, v135
	v_lshlrev_b16_e32 v127, 8, v125
	v_and_b32_e32 v126, 0x1f00, v125
	v_add_i16 v127, v127, s9 clamp
	v_or_b32_sdwa v126, v126, v127 dst_sel:DWORD dst_unused:UNUSED_PAD src0_sel:DWORD src1_sel:BYTE_1
	v_and_b32_sdwa v127, v125, s11 dst_sel:DWORD dst_unused:UNUSED_PAD src0_sel:WORD_1 src1_sel:DWORD
	v_add_i16 v127, v127, s9 clamp
	v_lshlrev_b16_sdwa v125, v113, v125 dst_sel:DWORD dst_unused:UNUSED_PAD src0_sel:DWORD src1_sel:WORD_1
	v_and_b32_e32 v127, 0xffffff00, v127
	v_add_i16 v125, v125, s9 clamp
	v_add_u16_e32 v126, 0xf000, v126
	v_or_b32_sdwa v125, v125, v127 dst_sel:WORD_1 dst_unused:UNUSED_PAD src0_sel:BYTE_1 src1_sel:DWORD
	s_mov_b32 s4, -4
	v_or_b32_e32 v125, v126, v125
	ds_write2_b32 v90, v134, v125 offset1:1
	v_ashrrev_i32_e32 v125, v26, v137
	v_lshlrev_b32_e32 v127, 4, v125
	v_lshlrev_b32_e32 v128, 11, v125
	v_and_b32_e32 v126, 0xf0f0f0f, v136
	v_and_b32_e32 v127, 16, v127
	;; [unrolled: 1-line block ×3, first 2 shown]
	v_or3_b32 v127, v127, v126, v128
	v_lshlrev_b32_e32 v128, 18, v125
	v_lshlrev_b32_e32 v129, 25, v125
	v_and_b32_e32 v128, 0x100000, v128
	v_and_b32_e32 v129, 0x10000000, v129
	v_or3_b32 v126, v126, v128, v129
	v_and_b32_e32 v128, 0x1f00, v127
	v_lshlrev_b16_e32 v127, 8, v127
	v_add_u16_e32 v127, 0xf000, v127
	v_or_b32_sdwa v127, v128, v127 dst_sel:DWORD dst_unused:UNUSED_PAD src0_sel:DWORD src1_sel:BYTE_1
	v_and_b32_sdwa v128, v126, s1 dst_sel:DWORD dst_unused:UNUSED_PAD src0_sel:WORD_1 src1_sel:DWORD
	v_lshlrev_b16_sdwa v126, v113, v126 dst_sel:DWORD dst_unused:UNUSED_PAD src0_sel:DWORD src1_sel:WORD_1
	v_add_u16_e32 v126, 0xf000, v126
	v_or_b32_sdwa v126, v128, v126 dst_sel:DWORD dst_unused:UNUSED_PAD src0_sel:DWORD src1_sel:BYTE_1
	v_add_u16_e32 v127, 0xf000, v127
	v_add_u16_sdwa v126, v126, s9 dst_sel:WORD_1 dst_unused:UNUSED_PAD src0_sel:DWORD src1_sel:DWORD
	v_lshrrev_b32_e32 v128, 12, v125
	v_lshrrev_b32_e32 v129, 5, v125
	v_lshlrev_b32_e32 v130, 2, v125
	v_or_b32_e32 v126, v127, v126
	v_lshrrev_b32_e32 v127, 4, v136
	v_and_b32_e32 v128, 16, v128
	v_and_b32_e32 v129, 0x1000, v129
	;; [unrolled: 1-line block ×3, first 2 shown]
	v_lshlrev_b32_e32 v125, 9, v125
	v_and_b32_e32 v127, 0xf0f0f0f, v127
	v_and_b32_e32 v125, 0x10000000, v125
	v_or3_b32 v128, v129, v128, v130
	v_or3_b32 v125, v128, v125, v127
	v_lshlrev_b16_e32 v128, 8, v125
	v_and_b32_e32 v127, 0x1f00, v125
	v_add_i16 v128, v128, s9 clamp
	v_or_b32_sdwa v127, v127, v128 dst_sel:DWORD dst_unused:UNUSED_PAD src0_sel:DWORD src1_sel:BYTE_1
	v_and_b32_sdwa v128, v125, s11 dst_sel:DWORD dst_unused:UNUSED_PAD src0_sel:WORD_1 src1_sel:DWORD
	v_add_i16 v128, v128, s9 clamp
	v_lshlrev_b16_sdwa v125, v113, v125 dst_sel:DWORD dst_unused:UNUSED_PAD src0_sel:DWORD src1_sel:WORD_1
	v_and_b32_e32 v128, 0xffffff00, v128
	v_add_i16 v125, v125, s9 clamp
	v_add_u16_e32 v127, 0xf000, v127
	v_or_b32_sdwa v125, v125, v128 dst_sel:WORD_1 dst_unused:UNUSED_PAD src0_sel:BYTE_1 src1_sel:DWORD
	s_waitcnt vmcnt(9)
	v_cvt_f32_f16_e32 v114, v114
	v_or_b32_e32 v125, v127, v125
	ds_write2_b32 v94, v126, v125 offset1:1
	v_cvt_f32_f16_e32 v125, v142
	v_cvt_f32_f16_e32 v126, v143
	;; [unrolled: 1-line block ×3, first 2 shown]
	ds_write_b32 v101, v125
	ds_write_b32 v105, v126
	;; [unrolled: 1-line block ×4, first 2 shown]
	s_waitcnt vmcnt(8)
	ds_write_b32 v39, v116
	s_waitcnt vmcnt(7)
	ds_write_b32 v43, v117
	;; [unrolled: 2-line block ×5, first 2 shown]
	s_waitcnt vmcnt(3)
	v_cvt_f32_f16_e32 v114, v121
	s_waitcnt vmcnt(2)
	ds_write_b32 v59, v122
	s_waitcnt vmcnt(1)
	ds_write_b32 v63, v123
	;; [unrolled: 2-line block ×3, first 2 shown]
	ds_write_b32 v35, v114
	v_mov_b32_e32 v117, v87
	v_mov_b32_e32 v119, v83
	;; [unrolled: 1-line block ×3, first 2 shown]
	s_waitcnt lgkmcnt(0)
	s_barrier
.LBB122_7:                              ;   Parent Loop BB122_6 Depth=1
                                        ; =>  This Inner Loop Header: Depth=2
	v_add_u32_e32 v116, 0x2080, v123
	ds_read_b128 v[160:163], v119
	ds_read_b128 v[164:167], v119 offset:16
	ds_read2_b32 v[154:155], v117 offset1:32
	ds_read_b32 v118, v156
	ds_read2_b32 v[126:127], v123 offset1:1
	ds_read2_b32 v[134:135], v123 offset0:2 offset1:3
	ds_read2_b32 v[140:141], v123 offset0:4 offset1:5
	;; [unrolled: 1-line block ×3, first 2 shown]
	ds_read_b32 v114, v157
	ds_read2_b32 v[120:121], v116 offset1:1
	v_add_u32_e32 v116, 0x2088, v123
	ds_read2_b32 v[128:129], v116 offset1:1
	v_add_u32_e32 v116, 0x2090, v123
	;; [unrolled: 2-line block ×3, first 2 shown]
	v_add_u32_e32 v122, 0x4100, v123
	ds_read2_b32 v[146:147], v116 offset1:1
	ds_read_b32 v116, v158
	ds_read2_b32 v[124:125], v122 offset1:1
	v_add_u32_e32 v122, 0x4108, v123
	ds_read2_b32 v[132:133], v122 offset1:1
	v_add_u32_e32 v122, 0x4110, v123
	;; [unrolled: 2-line block ×3, first 2 shown]
	v_add_u32_e32 v130, 0x6180, v123
	ds_read2_b32 v[150:151], v122 offset1:1
	ds_read_b32 v122, v159
	ds_read2_b32 v[130:131], v130 offset1:1
	v_add_u32_e32 v138, 0x6188, v123
	ds_read2_b32 v[138:139], v138 offset1:1
	v_add_u32_e32 v148, 0x6190, v123
	ds_read2_b32 v[148:149], v148 offset1:1
	v_mov_b32_e32 v170, 0
	v_mov_b32_e32 v172, 0
	;; [unrolled: 1-line block ×4, first 2 shown]
	s_waitcnt lgkmcnt(14)
	v_dot4c_i32_i8_e32 v170, v126, v160
	s_waitcnt lgkmcnt(12)
	v_dot4c_i32_i8_e32 v172, v120, v160
	;; [unrolled: 2-line block ×4, first 2 shown]
	v_add_u32_e32 v152, 0x6198, v123
	ds_read2_b32 v[152:153], v152 offset1:1
	v_dot4c_i32_i8_e32 v170, v127, v164
	v_dot4c_i32_i8_e32 v172, v121, v164
	v_dot4c_i32_i8_e32 v173, v125, v164
	v_dot4c_i32_i8_e32 v174, v131, v164
	v_dot4c_i32_i8_e32 v170, v134, v161
	v_dot4c_i32_i8_e32 v172, v128, v161
	v_dot4c_i32_i8_e32 v173, v132, v161
	s_waitcnt lgkmcnt(2)
	v_dot4c_i32_i8_e32 v174, v138, v161
	v_dot4c_i32_i8_e32 v170, v135, v165
	v_dot4c_i32_i8_e32 v172, v129, v165
	v_dot4c_i32_i8_e32 v173, v133, v165
	v_dot4c_i32_i8_e32 v174, v139, v165
	v_dot4c_i32_i8_e32 v170, v140, v162
	v_dot4c_i32_i8_e32 v172, v136, v162
	v_dot4c_i32_i8_e32 v173, v142, v162
	s_waitcnt lgkmcnt(1)
	v_dot4c_i32_i8_e32 v174, v148, v162
	;; [unrolled: 9-line block ×3, first 2 shown]
	v_dot4c_i32_i8_e32 v170, v145, v167
	v_dot4c_i32_i8_e32 v172, v147, v167
	;; [unrolled: 1-line block ×4, first 2 shown]
	ds_read_b128 v[160:163], v119 offset:1024
	ds_read_b128 v[164:167], v119 offset:1040
	v_mov_b32_e32 v171, 0
	v_cvt_f32_i32_e32 v170, v170
	v_pk_mul_f32 v[168:169], v[118:119], v[154:155] op_sel_hi:[0,1]
	s_waitcnt lgkmcnt(1)
	v_dot4c_i32_i8_e32 v171, v126, v160
	s_waitcnt lgkmcnt(0)
	v_dot4c_i32_i8_e32 v171, v127, v164
	v_dot4c_i32_i8_e32 v171, v134, v161
	;; [unrolled: 1-line block ×7, first 2 shown]
	s_add_i32 s4, s4, 4
	v_add_u32_e32 v159, 4, v159
	v_add_u32_e32 v158, 4, v158
	v_cvt_f32_i32_e32 v171, v171
	v_add_u32_e32 v157, 4, v157
	v_add_u32_e32 v156, 4, v156
	s_cmp_lt_u32 s4, 12
	v_pk_fma_f32 v[102:103], v[168:169], v[170:171], v[102:103]
	v_mov_b32_e32 v170, 0
	v_dot4c_i32_i8_e32 v170, v120, v160
	v_dot4c_i32_i8_e32 v170, v121, v164
	;; [unrolled: 1-line block ×8, first 2 shown]
	v_pk_mul_f32 v[168:169], v[114:115], v[154:155] op_sel_hi:[0,1]
	s_nop 1
	v_cvt_f32_i32_e32 v171, v170
	v_cvt_f32_i32_e32 v170, v172
	v_mov_b32_e32 v172, 0
	v_pk_fma_f32 v[98:99], v[168:169], v[170:171], v[98:99]
	v_mov_b32_e32 v170, 0
	v_dot4c_i32_i8_e32 v170, v124, v160
	v_dot4c_i32_i8_e32 v170, v125, v164
	;; [unrolled: 1-line block ×8, first 2 shown]
	v_pk_mul_f32 v[168:169], v[116:117], v[154:155] op_sel_hi:[0,1]
	v_pk_mul_f32 v[154:155], v[122:123], v[154:155] op_sel_hi:[0,1]
	s_nop 0
	v_cvt_f32_i32_e32 v171, v170
	v_cvt_f32_i32_e32 v170, v173
	v_mov_b32_e32 v173, 0
	v_pk_fma_f32 v[84:85], v[168:169], v[170:171], v[84:85]
	v_mov_b32_e32 v168, 0
	v_dot4c_i32_i8_e32 v168, v130, v160
	v_dot4c_i32_i8_e32 v168, v131, v164
	;; [unrolled: 1-line block ×8, first 2 shown]
	v_cvt_f32_i32_e32 v160, v174
	v_mov_b32_e32 v170, 0
	v_mov_b32_e32 v174, 0
	v_cvt_f32_i32_e32 v161, v168
	v_mov_b32_e32 v171, 0
	v_pk_fma_f32 v[72:73], v[154:155], v[160:161], v[72:73]
	ds_read_b128 v[160:163], v119 offset:2048
	ds_read_b128 v[164:167], v119 offset:2064
	ds_read2_b32 v[154:155], v117 offset0:64 offset1:96
	s_waitcnt lgkmcnt(2)
	v_dot4c_i32_i8_e32 v170, v126, v160
	v_dot4c_i32_i8_e32 v172, v120, v160
	v_dot4c_i32_i8_e32 v173, v124, v160
	v_dot4c_i32_i8_e32 v174, v130, v160
	s_waitcnt lgkmcnt(1)
	v_dot4c_i32_i8_e32 v170, v127, v164
	v_dot4c_i32_i8_e32 v172, v121, v164
	;; [unrolled: 1-line block ×28, first 2 shown]
	ds_read_b128 v[160:163], v119 offset:3072
	ds_read_b128 v[164:167], v119 offset:3088
	v_cvt_f32_i32_e32 v170, v170
	s_waitcnt lgkmcnt(2)
	v_pk_mul_f32 v[168:169], v[118:119], v[154:155] op_sel_hi:[0,1]
	s_waitcnt lgkmcnt(1)
	v_dot4c_i32_i8_e32 v171, v126, v160
	s_waitcnt lgkmcnt(0)
	v_dot4c_i32_i8_e32 v171, v127, v164
	v_dot4c_i32_i8_e32 v171, v134, v161
	v_dot4c_i32_i8_e32 v171, v135, v165
	v_dot4c_i32_i8_e32 v171, v140, v162
	v_dot4c_i32_i8_e32 v171, v141, v166
	v_dot4c_i32_i8_e32 v171, v144, v163
	v_dot4c_i32_i8_e32 v171, v145, v167
	s_nop 2
	v_cvt_f32_i32_e32 v171, v171
	v_pk_fma_f32 v[24:25], v[168:169], v[170:171], v[24:25]
	v_mov_b32_e32 v170, 0
	v_dot4c_i32_i8_e32 v170, v120, v160
	v_dot4c_i32_i8_e32 v170, v121, v164
	;; [unrolled: 1-line block ×8, first 2 shown]
	v_pk_mul_f32 v[168:169], v[114:115], v[154:155] op_sel_hi:[0,1]
	s_nop 1
	v_cvt_f32_i32_e32 v171, v170
	v_cvt_f32_i32_e32 v170, v172
	v_mov_b32_e32 v172, 0
	v_pk_fma_f32 v[22:23], v[168:169], v[170:171], v[22:23]
	v_mov_b32_e32 v170, 0
	v_dot4c_i32_i8_e32 v170, v124, v160
	v_dot4c_i32_i8_e32 v170, v125, v164
	;; [unrolled: 1-line block ×8, first 2 shown]
	v_pk_mul_f32 v[168:169], v[116:117], v[154:155] op_sel_hi:[0,1]
	v_pk_mul_f32 v[154:155], v[122:123], v[154:155] op_sel_hi:[0,1]
	s_nop 0
	v_cvt_f32_i32_e32 v171, v170
	v_cvt_f32_i32_e32 v170, v173
	v_mov_b32_e32 v173, 0
	v_pk_fma_f32 v[20:21], v[168:169], v[170:171], v[20:21]
	v_mov_b32_e32 v168, 0
	v_dot4c_i32_i8_e32 v168, v130, v160
	v_dot4c_i32_i8_e32 v168, v131, v164
	;; [unrolled: 1-line block ×8, first 2 shown]
	v_cvt_f32_i32_e32 v160, v174
	v_mov_b32_e32 v170, 0
	v_mov_b32_e32 v174, 0
	v_cvt_f32_i32_e32 v161, v168
	v_mov_b32_e32 v171, 0
	v_pk_fma_f32 v[18:19], v[154:155], v[160:161], v[18:19]
	ds_read_b128 v[160:163], v119 offset:4096
	ds_read_b128 v[164:167], v119 offset:4112
	ds_read2_b32 v[154:155], v117 offset0:128 offset1:160
	s_waitcnt lgkmcnt(2)
	v_dot4c_i32_i8_e32 v170, v126, v160
	v_dot4c_i32_i8_e32 v172, v120, v160
	;; [unrolled: 1-line block ×4, first 2 shown]
	s_waitcnt lgkmcnt(1)
	v_dot4c_i32_i8_e32 v170, v127, v164
	v_dot4c_i32_i8_e32 v172, v121, v164
	;; [unrolled: 1-line block ×28, first 2 shown]
	ds_read_b128 v[160:163], v119 offset:5120
	ds_read_b128 v[164:167], v119 offset:5136
	v_cvt_f32_i32_e32 v170, v170
	s_waitcnt lgkmcnt(2)
	v_pk_mul_f32 v[168:169], v[118:119], v[154:155] op_sel_hi:[0,1]
	s_waitcnt lgkmcnt(1)
	v_dot4c_i32_i8_e32 v171, v126, v160
	s_waitcnt lgkmcnt(0)
	v_dot4c_i32_i8_e32 v171, v127, v164
	v_dot4c_i32_i8_e32 v171, v134, v161
	;; [unrolled: 1-line block ×7, first 2 shown]
	s_nop 2
	v_cvt_f32_i32_e32 v171, v171
	v_pk_fma_f32 v[16:17], v[168:169], v[170:171], v[16:17]
	v_mov_b32_e32 v170, 0
	v_dot4c_i32_i8_e32 v170, v120, v160
	v_dot4c_i32_i8_e32 v170, v121, v164
	;; [unrolled: 1-line block ×8, first 2 shown]
	v_pk_mul_f32 v[168:169], v[114:115], v[154:155] op_sel_hi:[0,1]
	s_nop 1
	v_cvt_f32_i32_e32 v171, v170
	v_cvt_f32_i32_e32 v170, v172
	v_mov_b32_e32 v172, 0
	v_pk_fma_f32 v[14:15], v[168:169], v[170:171], v[14:15]
	v_mov_b32_e32 v170, 0
	v_dot4c_i32_i8_e32 v170, v124, v160
	v_dot4c_i32_i8_e32 v170, v125, v164
	v_dot4c_i32_i8_e32 v170, v132, v161
	v_dot4c_i32_i8_e32 v170, v133, v165
	v_dot4c_i32_i8_e32 v170, v142, v162
	v_dot4c_i32_i8_e32 v170, v143, v166
	v_dot4c_i32_i8_e32 v170, v150, v163
	v_dot4c_i32_i8_e32 v170, v151, v167
	v_pk_mul_f32 v[168:169], v[116:117], v[154:155] op_sel_hi:[0,1]
	v_pk_mul_f32 v[154:155], v[122:123], v[154:155] op_sel_hi:[0,1]
	s_nop 0
	v_cvt_f32_i32_e32 v171, v170
	v_cvt_f32_i32_e32 v170, v173
	v_pk_fma_f32 v[12:13], v[168:169], v[170:171], v[12:13]
	v_mov_b32_e32 v168, 0
	v_dot4c_i32_i8_e32 v168, v130, v160
	v_dot4c_i32_i8_e32 v168, v131, v164
	;; [unrolled: 1-line block ×8, first 2 shown]
	v_cvt_f32_i32_e32 v160, v174
	v_mov_b32_e32 v169, 0
	v_mov_b32_e32 v170, 0
	v_cvt_f32_i32_e32 v161, v168
	v_mov_b32_e32 v168, 0
	v_mov_b32_e32 v171, 0
	v_pk_fma_f32 v[10:11], v[154:155], v[160:161], v[10:11]
	ds_read_b128 v[160:163], v119 offset:6144
	ds_read_b128 v[164:167], v119 offset:6160
	ds_read2_b32 v[154:155], v117 offset0:192 offset1:224
	s_waitcnt lgkmcnt(2)
	v_dot4c_i32_i8_e32 v168, v126, v160
	v_dot4c_i32_i8_e32 v169, v120, v160
	;; [unrolled: 1-line block ×4, first 2 shown]
	s_waitcnt lgkmcnt(1)
	v_dot4c_i32_i8_e32 v168, v127, v164
	v_dot4c_i32_i8_e32 v169, v121, v164
	;; [unrolled: 1-line block ×28, first 2 shown]
	ds_read_b128 v[160:163], v119 offset:7168
	ds_read_b128 v[164:167], v119 offset:7184
	s_waitcnt lgkmcnt(1)
	v_dot4c_i32_i8_e32 v172, v126, v160
	s_waitcnt lgkmcnt(0)
	v_dot4c_i32_i8_e32 v172, v127, v164
	v_pk_mul_f32 v[126:127], v[118:119], v[154:155] op_sel_hi:[0,1]
	v_mov_b32_e32 v118, 0
	v_dot4c_i32_i8_e32 v118, v120, v160
	v_dot4c_i32_i8_e32 v118, v121, v164
	v_pk_mul_f32 v[120:121], v[114:115], v[154:155] op_sel_hi:[0,1]
	v_mov_b32_e32 v114, 0
	v_dot4c_i32_i8_e32 v114, v124, v160
	v_dot4c_i32_i8_e32 v114, v125, v164
	;; [unrolled: 1-line block ×16, first 2 shown]
	v_cvt_f32_i32_e32 v134, v168
	v_cvt_f32_i32_e32 v135, v172
	v_dot4c_i32_i8_e32 v118, v136, v162
	v_cvt_f32_i32_e32 v125, v114
	v_mov_b32_e32 v114, 0
	v_dot4c_i32_i8_e32 v118, v137, v166
	v_dot4c_i32_i8_e32 v114, v130, v160
	;; [unrolled: 1-line block ×6, first 2 shown]
	v_pk_fma_f32 v[8:9], v[126:127], v[134:135], v[8:9]
	v_cvt_f32_i32_e32 v126, v169
	v_cvt_f32_i32_e32 v127, v118
	v_dot4c_i32_i8_e32 v114, v139, v165
	v_cvt_f32_i32_e32 v124, v170
	v_dot4c_i32_i8_e32 v114, v148, v162
	v_dot4c_i32_i8_e32 v114, v149, v166
	;; [unrolled: 1-line block ×3, first 2 shown]
	v_pk_fma_f32 v[6:7], v[120:121], v[126:127], v[6:7]
	v_pk_mul_f32 v[120:121], v[116:117], v[154:155] op_sel_hi:[0,1]
	v_dot4c_i32_i8_e32 v114, v153, v167
	v_pk_fma_f32 v[4:5], v[120:121], v[124:125], v[4:5]
	v_cvt_f32_i32_e32 v124, v171
	v_pk_mul_f32 v[120:121], v[122:123], v[154:155] op_sel_hi:[0,1]
	v_cvt_f32_i32_e32 v125, v114
	v_add_u32_e32 v123, 32, v123
	v_add_u32_e32 v119, 32, v119
	;; [unrolled: 1-line block ×3, first 2 shown]
	v_pk_fma_f32 v[2:3], v[120:121], v[124:125], v[2:3]
	s_cbranch_scc1 .LBB122_7
; %bb.8:                                ;   in Loop: Header=BB122_6 Depth=1
	s_or_b32 s4, s0, 4
	s_cmp_ge_i32 s4, s6
	s_barrier
	s_cbranch_scc1 .LBB122_5
; %bb.9:                                ;   in Loop: Header=BB122_6 Depth=1
	v_add_u32_e32 v114, s0, v71
	v_add_u32_e32 v116, v114, v37
	;; [unrolled: 1-line block ×9, first 2 shown]
	v_mad_i64_i32 v[130:131], s[4:5], v114, 36, v[110:111]
	v_add_u32_e32 v114, 4, v115
	v_mad_i64_i32 v[116:117], s[4:5], v116, 36, v[110:111]
	v_mad_i64_i32 v[118:119], s[4:5], v118, 36, v[110:111]
	;; [unrolled: 1-line block ×6, first 2 shown]
	v_mad_u64_u32 v[114:115], s[4:5], v114, 36, s[2:3]
	v_mad_i64_i32 v[128:129], s[4:5], v128, 36, v[110:111]
	global_load_dword v114, v[114:115], off
	s_nop 0
	global_load_dword v116, v[116:117], off offset:4
	s_nop 0
	global_load_dword v118, v[118:119], off offset:4
	;; [unrolled: 2-line block ×6, first 2 shown]
	global_load_dword v125, v[128:129], off offset:4
                                        ; kill: killed $vgpr128_vgpr129
                                        ; kill: killed $vgpr126_vgpr127
	s_nop 0
	global_load_dword v126, v[130:131], off offset:4
	s_mov_b32 s4, 12
	v_mov_b32_e32 v115, v87
	v_mov_b32_e32 v117, v83
	;; [unrolled: 1-line block ×7, first 2 shown]
	s_waitcnt vmcnt(8)
	v_cvt_f32_f16_e32 v114, v114
	s_waitcnt vmcnt(7)
	ds_write_b32 v39, v116
	s_waitcnt vmcnt(6)
	ds_write_b32 v43, v118
	;; [unrolled: 2-line block ×8, first 2 shown]
	ds_write_b32 v35, v114
	s_waitcnt lgkmcnt(0)
	s_barrier
.LBB122_10:                             ;   Parent Loop BB122_6 Depth=1
                                        ; =>  This Inner Loop Header: Depth=2
	v_add_u32_e32 v116, 0x2080, v119
	ds_read_b128 v[160:163], v117
	ds_read_b128 v[164:167], v117 offset:16
	ds_read2_b32 v[154:155], v115 offset1:32
	ds_read_b32 v118, v123
	ds_read2_b32 v[126:127], v119 offset1:1
	ds_read2_b32 v[134:135], v119 offset0:2 offset1:3
	ds_read2_b32 v[140:141], v119 offset0:4 offset1:5
	;; [unrolled: 1-line block ×3, first 2 shown]
	ds_read_b32 v114, v156
	ds_read2_b32 v[120:121], v116 offset1:1
	v_add_u32_e32 v116, 0x2088, v119
	ds_read2_b32 v[128:129], v116 offset1:1
	v_add_u32_e32 v116, 0x2090, v119
	;; [unrolled: 2-line block ×3, first 2 shown]
	v_add_u32_e32 v122, 0x4100, v119
	ds_read2_b32 v[146:147], v116 offset1:1
	ds_read_b32 v116, v157
	ds_read2_b32 v[124:125], v122 offset1:1
	v_add_u32_e32 v122, 0x4108, v119
	ds_read2_b32 v[132:133], v122 offset1:1
	v_add_u32_e32 v122, 0x4110, v119
	;; [unrolled: 2-line block ×3, first 2 shown]
	v_add_u32_e32 v130, 0x6180, v119
	ds_read2_b32 v[150:151], v122 offset1:1
	ds_read_b32 v122, v158
	ds_read2_b32 v[130:131], v130 offset1:1
	v_add_u32_e32 v138, 0x6188, v119
	ds_read2_b32 v[138:139], v138 offset1:1
	v_add_u32_e32 v148, 0x6190, v119
	ds_read2_b32 v[148:149], v148 offset1:1
	v_mov_b32_e32 v159, 0
	v_mov_b32_e32 v172, 0
	;; [unrolled: 1-line block ×4, first 2 shown]
	s_waitcnt lgkmcnt(14)
	v_dot4c_i32_i8_e32 v159, v126, v160
	s_waitcnt lgkmcnt(12)
	v_dot4c_i32_i8_e32 v172, v120, v160
	;; [unrolled: 2-line block ×4, first 2 shown]
	v_add_u32_e32 v152, 0x6198, v119
	ds_read2_b32 v[152:153], v152 offset1:1
	v_dot4c_i32_i8_e32 v159, v127, v164
	v_dot4c_i32_i8_e32 v172, v121, v164
	v_dot4c_i32_i8_e32 v173, v125, v164
	v_dot4c_i32_i8_e32 v174, v131, v164
	v_dot4c_i32_i8_e32 v159, v134, v161
	v_dot4c_i32_i8_e32 v172, v128, v161
	v_dot4c_i32_i8_e32 v173, v132, v161
	s_waitcnt lgkmcnt(2)
	v_dot4c_i32_i8_e32 v174, v138, v161
	v_dot4c_i32_i8_e32 v159, v135, v165
	v_dot4c_i32_i8_e32 v172, v129, v165
	v_dot4c_i32_i8_e32 v173, v133, v165
	v_dot4c_i32_i8_e32 v174, v139, v165
	v_dot4c_i32_i8_e32 v159, v140, v162
	v_dot4c_i32_i8_e32 v172, v136, v162
	v_dot4c_i32_i8_e32 v173, v142, v162
	s_waitcnt lgkmcnt(1)
	v_dot4c_i32_i8_e32 v174, v148, v162
	;; [unrolled: 9-line block ×3, first 2 shown]
	v_dot4c_i32_i8_e32 v159, v145, v167
	v_dot4c_i32_i8_e32 v172, v147, v167
	;; [unrolled: 1-line block ×4, first 2 shown]
	ds_read_b128 v[160:163], v117 offset:1024
	ds_read_b128 v[164:167], v117 offset:1040
	v_mov_b32_e32 v170, 0
	v_pk_mul_f32 v[168:169], v[118:119], v[154:155] op_sel_hi:[0,1]
	s_add_i32 s4, s4, 4
	s_waitcnt lgkmcnt(1)
	v_dot4c_i32_i8_e32 v170, v126, v160
	s_waitcnt lgkmcnt(0)
	v_dot4c_i32_i8_e32 v170, v127, v164
	v_dot4c_i32_i8_e32 v170, v134, v161
	;; [unrolled: 1-line block ×7, first 2 shown]
	v_add_u32_e32 v158, 4, v158
	v_add_u32_e32 v157, 4, v157
	;; [unrolled: 1-line block ×3, first 2 shown]
	v_cvt_f32_i32_e32 v171, v170
	v_cvt_f32_i32_e32 v170, v159
	v_mov_b32_e32 v159, 0
	v_dot4c_i32_i8_e32 v159, v120, v160
	v_dot4c_i32_i8_e32 v159, v121, v164
	;; [unrolled: 1-line block ×8, first 2 shown]
	v_pk_fma_f32 v[102:103], v[168:169], v[170:171], v[102:103]
	v_cvt_f32_i32_e32 v170, v172
	v_pk_mul_f32 v[168:169], v[114:115], v[154:155] op_sel_hi:[0,1]
	v_cvt_f32_i32_e32 v171, v159
	v_mov_b32_e32 v159, 0
	v_dot4c_i32_i8_e32 v159, v124, v160
	v_dot4c_i32_i8_e32 v159, v125, v164
	;; [unrolled: 1-line block ×8, first 2 shown]
	v_pk_fma_f32 v[98:99], v[168:169], v[170:171], v[98:99]
	v_pk_mul_f32 v[168:169], v[116:117], v[154:155] op_sel_hi:[0,1]
	v_pk_mul_f32 v[154:155], v[122:123], v[154:155] op_sel_hi:[0,1]
	v_cvt_f32_i32_e32 v171, v159
	v_mov_b32_e32 v159, 0
	v_dot4c_i32_i8_e32 v159, v130, v160
	v_dot4c_i32_i8_e32 v159, v131, v164
	;; [unrolled: 1-line block ×8, first 2 shown]
	v_cvt_f32_i32_e32 v160, v174
	v_cvt_f32_i32_e32 v170, v173
	v_mov_b32_e32 v172, 0
	v_cvt_f32_i32_e32 v161, v159
	v_mov_b32_e32 v159, 0
	v_mov_b32_e32 v173, 0
	;; [unrolled: 1-line block ×3, first 2 shown]
	v_pk_fma_f32 v[72:73], v[154:155], v[160:161], v[72:73]
	ds_read_b128 v[160:163], v117 offset:2048
	ds_read_b128 v[164:167], v117 offset:2064
	ds_read2_b32 v[154:155], v115 offset0:64 offset1:96
	v_pk_fma_f32 v[84:85], v[168:169], v[170:171], v[84:85]
	v_mov_b32_e32 v170, 0
	s_waitcnt lgkmcnt(2)
	v_dot4c_i32_i8_e32 v159, v126, v160
	v_dot4c_i32_i8_e32 v172, v120, v160
	;; [unrolled: 1-line block ×4, first 2 shown]
	s_waitcnt lgkmcnt(1)
	v_dot4c_i32_i8_e32 v159, v127, v164
	v_dot4c_i32_i8_e32 v172, v121, v164
	;; [unrolled: 1-line block ×28, first 2 shown]
	ds_read_b128 v[160:163], v117 offset:3072
	ds_read_b128 v[164:167], v117 offset:3088
	s_waitcnt lgkmcnt(2)
	v_pk_mul_f32 v[168:169], v[118:119], v[154:155] op_sel_hi:[0,1]
	s_cmp_lt_u32 s4, 28
	s_waitcnt lgkmcnt(1)
	v_dot4c_i32_i8_e32 v170, v126, v160
	s_waitcnt lgkmcnt(0)
	v_dot4c_i32_i8_e32 v170, v127, v164
	v_dot4c_i32_i8_e32 v170, v134, v161
	v_dot4c_i32_i8_e32 v170, v135, v165
	v_dot4c_i32_i8_e32 v170, v140, v162
	v_dot4c_i32_i8_e32 v170, v141, v166
	v_dot4c_i32_i8_e32 v170, v144, v163
	v_dot4c_i32_i8_e32 v170, v145, v167
	s_nop 2
	v_cvt_f32_i32_e32 v171, v170
	v_cvt_f32_i32_e32 v170, v159
	v_mov_b32_e32 v159, 0
	v_dot4c_i32_i8_e32 v159, v120, v160
	v_dot4c_i32_i8_e32 v159, v121, v164
	;; [unrolled: 1-line block ×8, first 2 shown]
	v_pk_fma_f32 v[24:25], v[168:169], v[170:171], v[24:25]
	v_cvt_f32_i32_e32 v170, v172
	v_pk_mul_f32 v[168:169], v[114:115], v[154:155] op_sel_hi:[0,1]
	v_cvt_f32_i32_e32 v171, v159
	v_mov_b32_e32 v159, 0
	v_dot4c_i32_i8_e32 v159, v124, v160
	v_dot4c_i32_i8_e32 v159, v125, v164
	v_dot4c_i32_i8_e32 v159, v132, v161
	v_dot4c_i32_i8_e32 v159, v133, v165
	v_dot4c_i32_i8_e32 v159, v142, v162
	v_dot4c_i32_i8_e32 v159, v143, v166
	v_dot4c_i32_i8_e32 v159, v150, v163
	v_dot4c_i32_i8_e32 v159, v151, v167
	v_pk_fma_f32 v[22:23], v[168:169], v[170:171], v[22:23]
	v_pk_mul_f32 v[168:169], v[116:117], v[154:155] op_sel_hi:[0,1]
	v_pk_mul_f32 v[154:155], v[122:123], v[154:155] op_sel_hi:[0,1]
	v_cvt_f32_i32_e32 v171, v159
	v_mov_b32_e32 v159, 0
	v_dot4c_i32_i8_e32 v159, v130, v160
	v_dot4c_i32_i8_e32 v159, v131, v164
	;; [unrolled: 1-line block ×8, first 2 shown]
	v_cvt_f32_i32_e32 v160, v174
	v_cvt_f32_i32_e32 v170, v173
	v_mov_b32_e32 v172, 0
	v_cvt_f32_i32_e32 v161, v159
	v_mov_b32_e32 v159, 0
	v_mov_b32_e32 v173, 0
	v_mov_b32_e32 v174, 0
	v_pk_fma_f32 v[18:19], v[154:155], v[160:161], v[18:19]
	ds_read_b128 v[160:163], v117 offset:4096
	ds_read_b128 v[164:167], v117 offset:4112
	ds_read2_b32 v[154:155], v115 offset0:128 offset1:160
	v_pk_fma_f32 v[20:21], v[168:169], v[170:171], v[20:21]
	v_mov_b32_e32 v170, 0
	s_waitcnt lgkmcnt(2)
	v_dot4c_i32_i8_e32 v159, v126, v160
	v_dot4c_i32_i8_e32 v172, v120, v160
	v_dot4c_i32_i8_e32 v173, v124, v160
	v_dot4c_i32_i8_e32 v174, v130, v160
	s_waitcnt lgkmcnt(1)
	v_dot4c_i32_i8_e32 v159, v127, v164
	v_dot4c_i32_i8_e32 v172, v121, v164
	;; [unrolled: 1-line block ×28, first 2 shown]
	ds_read_b128 v[160:163], v117 offset:5120
	ds_read_b128 v[164:167], v117 offset:5136
	s_waitcnt lgkmcnt(2)
	v_pk_mul_f32 v[168:169], v[118:119], v[154:155] op_sel_hi:[0,1]
	s_waitcnt lgkmcnt(1)
	v_dot4c_i32_i8_e32 v170, v126, v160
	s_waitcnt lgkmcnt(0)
	v_dot4c_i32_i8_e32 v170, v127, v164
	v_dot4c_i32_i8_e32 v170, v134, v161
	;; [unrolled: 1-line block ×7, first 2 shown]
	s_nop 2
	v_cvt_f32_i32_e32 v171, v170
	v_cvt_f32_i32_e32 v170, v159
	v_mov_b32_e32 v159, 0
	v_dot4c_i32_i8_e32 v159, v120, v160
	v_dot4c_i32_i8_e32 v159, v121, v164
	;; [unrolled: 1-line block ×8, first 2 shown]
	v_pk_fma_f32 v[16:17], v[168:169], v[170:171], v[16:17]
	v_cvt_f32_i32_e32 v170, v172
	v_pk_mul_f32 v[168:169], v[114:115], v[154:155] op_sel_hi:[0,1]
	v_cvt_f32_i32_e32 v171, v159
	v_mov_b32_e32 v159, 0
	v_dot4c_i32_i8_e32 v159, v124, v160
	v_dot4c_i32_i8_e32 v159, v125, v164
	;; [unrolled: 1-line block ×8, first 2 shown]
	v_pk_fma_f32 v[14:15], v[168:169], v[170:171], v[14:15]
	v_cvt_f32_i32_e32 v170, v173
	v_pk_mul_f32 v[168:169], v[116:117], v[154:155] op_sel_hi:[0,1]
	v_cvt_f32_i32_e32 v171, v159
	v_mov_b32_e32 v159, 0
	v_dot4c_i32_i8_e32 v159, v130, v160
	v_dot4c_i32_i8_e32 v159, v131, v164
	;; [unrolled: 1-line block ×8, first 2 shown]
	v_cvt_f32_i32_e32 v160, v174
	v_pk_mul_f32 v[154:155], v[122:123], v[154:155] op_sel_hi:[0,1]
	v_pk_fma_f32 v[12:13], v[168:169], v[170:171], v[12:13]
	v_cvt_f32_i32_e32 v161, v159
	v_mov_b32_e32 v159, 0
	v_mov_b32_e32 v168, 0
	;; [unrolled: 1-line block ×3, first 2 shown]
	v_pk_fma_f32 v[10:11], v[154:155], v[160:161], v[10:11]
	ds_read_b128 v[160:163], v117 offset:6144
	ds_read_b128 v[164:167], v117 offset:6160
	ds_read2_b32 v[154:155], v115 offset0:192 offset1:224
	v_mov_b32_e32 v170, 0
	v_mov_b32_e32 v171, 0
	s_waitcnt lgkmcnt(2)
	v_dot4c_i32_i8_e32 v159, v126, v160
	v_dot4c_i32_i8_e32 v168, v120, v160
	;; [unrolled: 1-line block ×4, first 2 shown]
	s_waitcnt lgkmcnt(1)
	v_dot4c_i32_i8_e32 v159, v127, v164
	v_dot4c_i32_i8_e32 v168, v121, v164
	;; [unrolled: 1-line block ×28, first 2 shown]
	ds_read_b128 v[160:163], v117 offset:7168
	ds_read_b128 v[164:167], v117 offset:7184
	s_waitcnt lgkmcnt(1)
	v_dot4c_i32_i8_e32 v171, v126, v160
	s_waitcnt lgkmcnt(0)
	v_dot4c_i32_i8_e32 v171, v127, v164
	v_pk_mul_f32 v[126:127], v[118:119], v[154:155] op_sel_hi:[0,1]
	v_mov_b32_e32 v118, 0
	v_dot4c_i32_i8_e32 v118, v120, v160
	v_dot4c_i32_i8_e32 v118, v121, v164
	v_pk_mul_f32 v[120:121], v[114:115], v[154:155] op_sel_hi:[0,1]
	v_mov_b32_e32 v114, 0
	v_dot4c_i32_i8_e32 v114, v124, v160
	v_dot4c_i32_i8_e32 v114, v125, v164
	v_dot4c_i32_i8_e32 v171, v134, v161
	v_dot4c_i32_i8_e32 v114, v132, v161
	v_dot4c_i32_i8_e32 v171, v135, v165
	v_dot4c_i32_i8_e32 v114, v133, v165
	v_dot4c_i32_i8_e32 v171, v140, v162
	v_dot4c_i32_i8_e32 v114, v142, v162
	v_dot4c_i32_i8_e32 v171, v141, v166
	v_dot4c_i32_i8_e32 v114, v143, v166
	v_dot4c_i32_i8_e32 v171, v144, v163
	v_dot4c_i32_i8_e32 v118, v128, v161
	v_dot4c_i32_i8_e32 v114, v150, v163
	v_dot4c_i32_i8_e32 v171, v145, v167
	v_dot4c_i32_i8_e32 v118, v129, v165
	v_dot4c_i32_i8_e32 v114, v151, v167
	v_cvt_f32_i32_e32 v134, v159
	v_cvt_f32_i32_e32 v135, v171
	v_dot4c_i32_i8_e32 v118, v136, v162
	v_cvt_f32_i32_e32 v125, v114
	v_mov_b32_e32 v114, 0
	v_dot4c_i32_i8_e32 v118, v137, v166
	v_dot4c_i32_i8_e32 v114, v130, v160
	;; [unrolled: 1-line block ×6, first 2 shown]
	v_pk_fma_f32 v[8:9], v[126:127], v[134:135], v[8:9]
	v_cvt_f32_i32_e32 v126, v168
	v_cvt_f32_i32_e32 v127, v118
	v_dot4c_i32_i8_e32 v114, v139, v165
	v_cvt_f32_i32_e32 v124, v169
	v_dot4c_i32_i8_e32 v114, v148, v162
	v_dot4c_i32_i8_e32 v114, v149, v166
	;; [unrolled: 1-line block ×3, first 2 shown]
	v_pk_fma_f32 v[6:7], v[120:121], v[126:127], v[6:7]
	v_pk_mul_f32 v[120:121], v[116:117], v[154:155] op_sel_hi:[0,1]
	v_dot4c_i32_i8_e32 v114, v153, v167
	v_pk_fma_f32 v[4:5], v[120:121], v[124:125], v[4:5]
	v_cvt_f32_i32_e32 v124, v170
	v_pk_mul_f32 v[120:121], v[122:123], v[154:155] op_sel_hi:[0,1]
	v_cvt_f32_i32_e32 v125, v114
	v_add_u32_e32 v123, 4, v123
	v_add_u32_e32 v119, 32, v119
	;; [unrolled: 1-line block ×3, first 2 shown]
	v_pk_fma_f32 v[2:3], v[120:121], v[124:125], v[2:3]
	v_add_u32_e32 v115, 4, v115
	s_cbranch_scc1 .LBB122_10
; %bb.11:                               ;   in Loop: Header=BB122_6 Depth=1
	s_barrier
	s_branch .LBB122_5
.LBB122_12:
	v_mov_b32_e32 v26, v29
.LBB122_13:
	v_cmp_gt_u32_e32 vcc, s10, v31
	s_and_saveexec_b64 s[0:1], vcc
	s_cbranch_execz .LBB122_64
; %bb.14:
	v_add_u32_e32 v0, s16, v1
	v_mul_lo_u32 v29, v31, s14
	v_cmp_gt_u32_e32 vcc, s14, v0
	s_and_saveexec_b64 s[0:1], vcc
	s_cbranch_execz .LBB122_16
; %bb.15:
	v_add_u32_e32 v30, v0, v29
	v_mov_b32_e32 v31, 0
	s_waitcnt lgkmcnt(0)
	v_lshl_add_u64 v[30:31], v[30:31], 2, s[12:13]
	global_store_dword v[30:31], v102, off
.LBB122_16:
	s_or_b64 exec, exec, s[0:1]
	v_add_u32_e32 v1, 32, v0
	v_cmp_gt_u32_e64 s[0:1], s14, v1
	s_and_saveexec_b64 s[2:3], s[0:1]
	s_cbranch_execz .LBB122_18
; %bb.17:
	v_add_u32_e32 v30, v1, v29
	v_mov_b32_e32 v31, 0
	s_waitcnt lgkmcnt(0)
	v_lshl_add_u64 v[30:31], v[30:31], 2, s[12:13]
	global_store_dword v[30:31], v98, off
.LBB122_18:
	s_or_b64 exec, exec, s[2:3]
	v_add_u32_e32 v27, 64, v0
	v_cmp_gt_u32_e64 s[2:3], s14, v27
	s_and_saveexec_b64 s[4:5], s[2:3]
	;; [unrolled: 12-line block ×3, first 2 shown]
	s_cbranch_execz .LBB122_22
; %bb.21:
	v_add_u32_e32 v30, v28, v29
	v_mov_b32_e32 v31, 0
	s_waitcnt lgkmcnt(0)
	v_lshl_add_u64 v[30:31], v[30:31], 2, s[12:13]
	global_store_dword v[30:31], v72, off
.LBB122_22:
	s_or_b64 exec, exec, s[6:7]
	v_add3_u32 v29, v26, s15, 8
	v_cmp_gt_u32_e64 s[6:7], s10, v29
	s_and_b64 exec, exec, s[6:7]
	s_cbranch_execz .LBB122_64
; %bb.23:
	v_mul_lo_u32 v29, v29, s14
	s_and_saveexec_b64 s[6:7], vcc
	s_cbranch_execnz .LBB122_65
; %bb.24:
	s_or_b64 exec, exec, s[6:7]
	s_and_saveexec_b64 s[6:7], s[0:1]
	s_cbranch_execnz .LBB122_66
.LBB122_25:
	s_or_b64 exec, exec, s[6:7]
	s_and_saveexec_b64 s[6:7], s[2:3]
	s_cbranch_execnz .LBB122_67
.LBB122_26:
	s_or_b64 exec, exec, s[6:7]
	s_and_saveexec_b64 s[6:7], s[4:5]
	s_cbranch_execz .LBB122_28
.LBB122_27:
	v_add_u32_e32 v30, v29, v28
	v_mov_b32_e32 v31, 0
	s_waitcnt lgkmcnt(0)
	v_lshl_add_u64 v[30:31], v[30:31], 2, s[12:13]
	global_store_dword v[30:31], v73, off
.LBB122_28:
	s_or_b64 exec, exec, s[6:7]
	v_add3_u32 v29, v26, s15, 16
	v_cmp_gt_u32_e64 s[6:7], s10, v29
	s_and_b64 exec, exec, s[6:7]
	s_cbranch_execz .LBB122_64
; %bb.29:
	v_mul_lo_u32 v29, v29, s14
	s_and_saveexec_b64 s[6:7], vcc
	s_cbranch_execnz .LBB122_68
; %bb.30:
	s_or_b64 exec, exec, s[6:7]
	s_and_saveexec_b64 s[6:7], s[0:1]
	s_cbranch_execnz .LBB122_69
.LBB122_31:
	s_or_b64 exec, exec, s[6:7]
	s_and_saveexec_b64 s[6:7], s[2:3]
	s_cbranch_execnz .LBB122_70
.LBB122_32:
	s_or_b64 exec, exec, s[6:7]
	s_and_saveexec_b64 s[6:7], s[4:5]
	s_cbranch_execz .LBB122_34
.LBB122_33:
	v_add_u32_e32 v30, v29, v28
	v_mov_b32_e32 v31, 0
	s_waitcnt lgkmcnt(0)
	v_lshl_add_u64 v[30:31], v[30:31], 2, s[12:13]
	global_store_dword v[30:31], v18, off
.LBB122_34:
	s_or_b64 exec, exec, s[6:7]
	v_add3_u32 v18, v26, s15, 24
	v_cmp_gt_u32_e64 s[6:7], s10, v18
	s_and_b64 exec, exec, s[6:7]
	s_cbranch_execz .LBB122_64
; %bb.35:
	v_mul_lo_u32 v18, v18, s14
	s_and_saveexec_b64 s[6:7], vcc
	s_cbranch_execnz .LBB122_71
; %bb.36:
	s_or_b64 exec, exec, s[6:7]
	s_and_saveexec_b64 s[6:7], s[0:1]
	s_cbranch_execnz .LBB122_72
.LBB122_37:
	s_or_b64 exec, exec, s[6:7]
	s_and_saveexec_b64 s[6:7], s[2:3]
	s_cbranch_execnz .LBB122_73
.LBB122_38:
	s_or_b64 exec, exec, s[6:7]
	s_and_saveexec_b64 s[6:7], s[4:5]
	s_cbranch_execz .LBB122_40
.LBB122_39:
	v_add_u32_e32 v20, v18, v28
	v_mov_b32_e32 v21, 0
	s_waitcnt lgkmcnt(0)
	v_lshl_add_u64 v[20:21], v[20:21], 2, s[12:13]
	global_store_dword v[20:21], v19, off
.LBB122_40:
	s_or_b64 exec, exec, s[6:7]
	v_add3_u32 v18, v26, s15, 32
	v_cmp_gt_u32_e64 s[6:7], s10, v18
	s_and_b64 exec, exec, s[6:7]
	s_cbranch_execz .LBB122_64
; %bb.41:
	v_mul_lo_u32 v18, v18, s14
	s_and_saveexec_b64 s[6:7], vcc
	s_cbranch_execnz .LBB122_74
; %bb.42:
	s_or_b64 exec, exec, s[6:7]
	s_and_saveexec_b64 s[6:7], s[0:1]
	s_cbranch_execnz .LBB122_75
.LBB122_43:
	s_or_b64 exec, exec, s[6:7]
	s_and_saveexec_b64 s[6:7], s[2:3]
	s_cbranch_execnz .LBB122_76
.LBB122_44:
	s_or_b64 exec, exec, s[6:7]
	s_and_saveexec_b64 s[6:7], s[4:5]
	s_cbranch_execz .LBB122_46
.LBB122_45:
	v_add_u32_e32 v18, v18, v28
	v_mov_b32_e32 v19, 0
	s_waitcnt lgkmcnt(0)
	v_lshl_add_u64 v[18:19], v[18:19], 2, s[12:13]
	global_store_dword v[18:19], v10, off
.LBB122_46:
	s_or_b64 exec, exec, s[6:7]
	v_add3_u32 v10, v26, s15, 40
	v_cmp_gt_u32_e64 s[6:7], s10, v10
	s_and_b64 exec, exec, s[6:7]
	s_cbranch_execz .LBB122_64
; %bb.47:
	v_mul_lo_u32 v10, v10, s14
	s_and_saveexec_b64 s[6:7], vcc
	s_cbranch_execnz .LBB122_77
; %bb.48:
	s_or_b64 exec, exec, s[6:7]
	s_and_saveexec_b64 s[6:7], s[0:1]
	s_cbranch_execnz .LBB122_78
.LBB122_49:
	s_or_b64 exec, exec, s[6:7]
	s_and_saveexec_b64 s[6:7], s[2:3]
	s_cbranch_execnz .LBB122_79
.LBB122_50:
	s_or_b64 exec, exec, s[6:7]
	s_and_saveexec_b64 s[6:7], s[4:5]
	s_cbranch_execz .LBB122_52
.LBB122_51:
	v_add_u32_e32 v12, v10, v28
	v_mov_b32_e32 v13, 0
	s_waitcnt lgkmcnt(0)
	v_lshl_add_u64 v[12:13], v[12:13], 2, s[12:13]
	global_store_dword v[12:13], v11, off
.LBB122_52:
	s_or_b64 exec, exec, s[6:7]
	v_add3_u32 v10, v26, s15, 48
	v_cmp_gt_u32_e64 s[6:7], s10, v10
	s_and_b64 exec, exec, s[6:7]
	s_cbranch_execz .LBB122_64
; %bb.53:
	v_mul_lo_u32 v10, v10, s14
	s_and_saveexec_b64 s[6:7], vcc
	s_cbranch_execnz .LBB122_80
; %bb.54:
	s_or_b64 exec, exec, s[6:7]
	s_and_saveexec_b64 s[6:7], s[0:1]
	s_cbranch_execnz .LBB122_81
.LBB122_55:
	s_or_b64 exec, exec, s[6:7]
	s_and_saveexec_b64 s[6:7], s[2:3]
	s_cbranch_execnz .LBB122_82
.LBB122_56:
	s_or_b64 exec, exec, s[6:7]
	s_and_saveexec_b64 s[6:7], s[4:5]
	s_cbranch_execz .LBB122_58
.LBB122_57:
	v_add_u32_e32 v10, v10, v28
	v_mov_b32_e32 v11, 0
	s_waitcnt lgkmcnt(0)
	v_lshl_add_u64 v[10:11], v[10:11], 2, s[12:13]
	global_store_dword v[10:11], v2, off
.LBB122_58:
	s_or_b64 exec, exec, s[6:7]
	v_add3_u32 v2, v26, s15, 56
	v_cmp_gt_u32_e64 s[6:7], s10, v2
	s_and_b64 exec, exec, s[6:7]
	s_cbranch_execz .LBB122_64
; %bb.59:
	v_mul_lo_u32 v2, v2, s14
	s_and_saveexec_b64 s[6:7], vcc
	s_cbranch_execnz .LBB122_83
; %bb.60:
	s_or_b64 exec, exec, s[6:7]
	s_and_saveexec_b64 s[6:7], s[0:1]
	s_cbranch_execnz .LBB122_84
.LBB122_61:
	s_or_b64 exec, exec, s[6:7]
	s_and_saveexec_b64 s[0:1], s[2:3]
	s_cbranch_execnz .LBB122_85
.LBB122_62:
	s_or_b64 exec, exec, s[0:1]
	s_and_b64 exec, exec, s[4:5]
	s_cbranch_execz .LBB122_64
.LBB122_63:
	v_add_u32_e32 v0, v2, v28
	v_mov_b32_e32 v1, 0
	s_waitcnt lgkmcnt(0)
	v_lshl_add_u64 v[0:1], v[0:1], 2, s[12:13]
	global_store_dword v[0:1], v3, off
.LBB122_64:
	s_endpgm
.LBB122_65:
	v_add_u32_e32 v30, v29, v0
	v_mov_b32_e32 v31, 0
	s_waitcnt lgkmcnt(0)
	v_lshl_add_u64 v[30:31], v[30:31], 2, s[12:13]
	global_store_dword v[30:31], v103, off
	s_or_b64 exec, exec, s[6:7]
	s_and_saveexec_b64 s[6:7], s[0:1]
	s_cbranch_execz .LBB122_25
.LBB122_66:
	v_add_u32_e32 v30, v29, v1
	v_mov_b32_e32 v31, 0
	s_waitcnt lgkmcnt(0)
	v_lshl_add_u64 v[30:31], v[30:31], 2, s[12:13]
	global_store_dword v[30:31], v99, off
	s_or_b64 exec, exec, s[6:7]
	s_and_saveexec_b64 s[6:7], s[2:3]
	s_cbranch_execz .LBB122_26
.LBB122_67:
	v_add_u32_e32 v30, v29, v27
	v_mov_b32_e32 v31, 0
	s_waitcnt lgkmcnt(0)
	v_lshl_add_u64 v[30:31], v[30:31], 2, s[12:13]
	global_store_dword v[30:31], v85, off
	s_or_b64 exec, exec, s[6:7]
	s_and_saveexec_b64 s[6:7], s[4:5]
	s_cbranch_execnz .LBB122_27
	s_branch .LBB122_28
.LBB122_68:
	v_add_u32_e32 v30, v29, v0
	v_mov_b32_e32 v31, 0
	s_waitcnt lgkmcnt(0)
	v_lshl_add_u64 v[30:31], v[30:31], 2, s[12:13]
	global_store_dword v[30:31], v24, off
	s_or_b64 exec, exec, s[6:7]
	s_and_saveexec_b64 s[6:7], s[0:1]
	s_cbranch_execz .LBB122_31
.LBB122_69:
	v_add_u32_e32 v30, v29, v1
	v_mov_b32_e32 v31, 0
	s_waitcnt lgkmcnt(0)
	v_lshl_add_u64 v[30:31], v[30:31], 2, s[12:13]
	global_store_dword v[30:31], v22, off
	s_or_b64 exec, exec, s[6:7]
	s_and_saveexec_b64 s[6:7], s[2:3]
	s_cbranch_execz .LBB122_32
.LBB122_70:
	v_add_u32_e32 v30, v29, v27
	v_mov_b32_e32 v31, 0
	s_waitcnt lgkmcnt(0)
	v_lshl_add_u64 v[30:31], v[30:31], 2, s[12:13]
	global_store_dword v[30:31], v20, off
	s_or_b64 exec, exec, s[6:7]
	s_and_saveexec_b64 s[6:7], s[4:5]
	s_cbranch_execnz .LBB122_33
	s_branch .LBB122_34
.LBB122_71:
	v_add_u32_e32 v30, v18, v0
	v_mov_b32_e32 v31, 0
	s_waitcnt lgkmcnt(0)
	v_lshl_add_u64 v[30:31], v[30:31], 2, s[12:13]
	global_store_dword v[30:31], v25, off
	s_or_b64 exec, exec, s[6:7]
	s_and_saveexec_b64 s[6:7], s[0:1]
	s_cbranch_execz .LBB122_37
.LBB122_72:
	v_add_u32_e32 v24, v18, v1
	v_mov_b32_e32 v25, 0
	s_waitcnt lgkmcnt(0)
	v_lshl_add_u64 v[24:25], v[24:25], 2, s[12:13]
	global_store_dword v[24:25], v23, off
	s_or_b64 exec, exec, s[6:7]
	s_and_saveexec_b64 s[6:7], s[2:3]
	s_cbranch_execz .LBB122_38
.LBB122_73:
	v_add_u32_e32 v22, v18, v27
	v_mov_b32_e32 v23, 0
	s_waitcnt lgkmcnt(0)
	v_lshl_add_u64 v[22:23], v[22:23], 2, s[12:13]
	global_store_dword v[22:23], v21, off
	s_or_b64 exec, exec, s[6:7]
	s_and_saveexec_b64 s[6:7], s[4:5]
	s_cbranch_execnz .LBB122_39
	s_branch .LBB122_40
.LBB122_74:
	v_add_u32_e32 v20, v18, v0
	v_mov_b32_e32 v21, 0
	s_waitcnt lgkmcnt(0)
	v_lshl_add_u64 v[20:21], v[20:21], 2, s[12:13]
	global_store_dword v[20:21], v16, off
	s_or_b64 exec, exec, s[6:7]
	s_and_saveexec_b64 s[6:7], s[0:1]
	s_cbranch_execz .LBB122_43
.LBB122_75:
	v_add_u32_e32 v20, v18, v1
	v_mov_b32_e32 v21, 0
	s_waitcnt lgkmcnt(0)
	v_lshl_add_u64 v[20:21], v[20:21], 2, s[12:13]
	global_store_dword v[20:21], v14, off
	s_or_b64 exec, exec, s[6:7]
	s_and_saveexec_b64 s[6:7], s[2:3]
	s_cbranch_execz .LBB122_44
.LBB122_76:
	v_add_u32_e32 v20, v18, v27
	v_mov_b32_e32 v21, 0
	s_waitcnt lgkmcnt(0)
	v_lshl_add_u64 v[20:21], v[20:21], 2, s[12:13]
	global_store_dword v[20:21], v12, off
	s_or_b64 exec, exec, s[6:7]
	s_and_saveexec_b64 s[6:7], s[4:5]
	s_cbranch_execnz .LBB122_45
	s_branch .LBB122_46
.LBB122_77:
	v_add_u32_e32 v18, v10, v0
	v_mov_b32_e32 v19, 0
	s_waitcnt lgkmcnt(0)
	v_lshl_add_u64 v[18:19], v[18:19], 2, s[12:13]
	global_store_dword v[18:19], v17, off
	s_or_b64 exec, exec, s[6:7]
	s_and_saveexec_b64 s[6:7], s[0:1]
	s_cbranch_execz .LBB122_49
.LBB122_78:
	v_add_u32_e32 v16, v10, v1
	v_mov_b32_e32 v17, 0
	s_waitcnt lgkmcnt(0)
	v_lshl_add_u64 v[16:17], v[16:17], 2, s[12:13]
	global_store_dword v[16:17], v15, off
	s_or_b64 exec, exec, s[6:7]
	s_and_saveexec_b64 s[6:7], s[2:3]
	s_cbranch_execz .LBB122_50
.LBB122_79:
	v_add_u32_e32 v14, v10, v27
	v_mov_b32_e32 v15, 0
	s_waitcnt lgkmcnt(0)
	v_lshl_add_u64 v[14:15], v[14:15], 2, s[12:13]
	global_store_dword v[14:15], v13, off
	s_or_b64 exec, exec, s[6:7]
	s_and_saveexec_b64 s[6:7], s[4:5]
	s_cbranch_execnz .LBB122_51
	s_branch .LBB122_52
.LBB122_80:
	v_add_u32_e32 v12, v10, v0
	v_mov_b32_e32 v13, 0
	s_waitcnt lgkmcnt(0)
	v_lshl_add_u64 v[12:13], v[12:13], 2, s[12:13]
	global_store_dword v[12:13], v8, off
	s_or_b64 exec, exec, s[6:7]
	s_and_saveexec_b64 s[6:7], s[0:1]
	s_cbranch_execz .LBB122_55
.LBB122_81:
	v_add_u32_e32 v12, v10, v1
	v_mov_b32_e32 v13, 0
	s_waitcnt lgkmcnt(0)
	v_lshl_add_u64 v[12:13], v[12:13], 2, s[12:13]
	global_store_dword v[12:13], v6, off
	s_or_b64 exec, exec, s[6:7]
	s_and_saveexec_b64 s[6:7], s[2:3]
	s_cbranch_execz .LBB122_56
.LBB122_82:
	v_add_u32_e32 v12, v10, v27
	v_mov_b32_e32 v13, 0
	s_waitcnt lgkmcnt(0)
	v_lshl_add_u64 v[12:13], v[12:13], 2, s[12:13]
	global_store_dword v[12:13], v4, off
	s_or_b64 exec, exec, s[6:7]
	s_and_saveexec_b64 s[6:7], s[4:5]
	s_cbranch_execnz .LBB122_57
	s_branch .LBB122_58
.LBB122_83:
	v_add_u32_e32 v10, v2, v0
	v_mov_b32_e32 v11, 0
	s_waitcnt lgkmcnt(0)
	v_lshl_add_u64 v[10:11], v[10:11], 2, s[12:13]
	global_store_dword v[10:11], v9, off
	s_or_b64 exec, exec, s[6:7]
	s_and_saveexec_b64 s[6:7], s[0:1]
	s_cbranch_execz .LBB122_61
.LBB122_84:
	v_add_u32_e32 v0, v2, v1
	v_mov_b32_e32 v1, 0
	s_waitcnt lgkmcnt(0)
	v_lshl_add_u64 v[0:1], v[0:1], 2, s[12:13]
	global_store_dword v[0:1], v7, off
	s_or_b64 exec, exec, s[6:7]
	s_and_saveexec_b64 s[0:1], s[2:3]
	s_cbranch_execz .LBB122_62
.LBB122_85:
	v_add_u32_e32 v0, v2, v27
	v_mov_b32_e32 v1, 0
	s_waitcnt lgkmcnt(0)
	v_lshl_add_u64 v[0:1], v[0:1], 2, s[12:13]
	global_store_dword v[0:1], v5, off
	s_or_b64 exec, exec, s[0:1]
	s_and_b64 exec, exec, s[4:5]
	s_cbranch_execnz .LBB122_63
	s_branch .LBB122_64
	.section	.rodata,"a",@progbits
	.p2align	6, 0x0
	.amdhsa_kernel _ZL12mul_mat_q5_0IfLb1EEvPKvS1_PT_iiiii
		.amdhsa_group_segment_fixed_size 46720
		.amdhsa_private_segment_fixed_size 0
		.amdhsa_kernarg_size 44
		.amdhsa_user_sgpr_count 2
		.amdhsa_user_sgpr_dispatch_ptr 0
		.amdhsa_user_sgpr_queue_ptr 0
		.amdhsa_user_sgpr_kernarg_segment_ptr 1
		.amdhsa_user_sgpr_dispatch_id 0
		.amdhsa_user_sgpr_kernarg_preload_length 0
		.amdhsa_user_sgpr_kernarg_preload_offset 0
		.amdhsa_user_sgpr_private_segment_size 0
		.amdhsa_uses_dynamic_stack 0
		.amdhsa_enable_private_segment 0
		.amdhsa_system_sgpr_workgroup_id_x 1
		.amdhsa_system_sgpr_workgroup_id_y 1
		.amdhsa_system_sgpr_workgroup_id_z 0
		.amdhsa_system_sgpr_workgroup_info 0
		.amdhsa_system_vgpr_workitem_id 1
		.amdhsa_next_free_vgpr 175
		.amdhsa_next_free_sgpr 20
		.amdhsa_accum_offset 176
		.amdhsa_reserve_vcc 1
		.amdhsa_float_round_mode_32 0
		.amdhsa_float_round_mode_16_64 0
		.amdhsa_float_denorm_mode_32 3
		.amdhsa_float_denorm_mode_16_64 3
		.amdhsa_dx10_clamp 1
		.amdhsa_ieee_mode 1
		.amdhsa_fp16_overflow 0
		.amdhsa_tg_split 0
		.amdhsa_exception_fp_ieee_invalid_op 0
		.amdhsa_exception_fp_denorm_src 0
		.amdhsa_exception_fp_ieee_div_zero 0
		.amdhsa_exception_fp_ieee_overflow 0
		.amdhsa_exception_fp_ieee_underflow 0
		.amdhsa_exception_fp_ieee_inexact 0
		.amdhsa_exception_int_div_zero 0
	.end_amdhsa_kernel
	.section	.text._ZL12mul_mat_q5_0IfLb1EEvPKvS1_PT_iiiii,"axG",@progbits,_ZL12mul_mat_q5_0IfLb1EEvPKvS1_PT_iiiii,comdat
.Lfunc_end122:
	.size	_ZL12mul_mat_q5_0IfLb1EEvPKvS1_PT_iiiii, .Lfunc_end122-_ZL12mul_mat_q5_0IfLb1EEvPKvS1_PT_iiiii
                                        ; -- End function
	.section	.AMDGPU.csdata,"",@progbits
; Kernel info:
; codeLenInByte = 14320
; NumSgprs: 26
; NumVgprs: 175
; NumAgprs: 0
; TotalNumVgprs: 175
; ScratchSize: 0
; MemoryBound: 0
; FloatMode: 240
; IeeeMode: 1
; LDSByteSize: 46720 bytes/workgroup (compile time only)
; SGPRBlocks: 3
; VGPRBlocks: 21
; NumSGPRsForWavesPerEU: 26
; NumVGPRsForWavesPerEU: 175
; AccumOffset: 176
; Occupancy: 1
; WaveLimiterHint : 0
; COMPUTE_PGM_RSRC2:SCRATCH_EN: 0
; COMPUTE_PGM_RSRC2:USER_SGPR: 2
; COMPUTE_PGM_RSRC2:TRAP_HANDLER: 0
; COMPUTE_PGM_RSRC2:TGID_X_EN: 1
; COMPUTE_PGM_RSRC2:TGID_Y_EN: 1
; COMPUTE_PGM_RSRC2:TGID_Z_EN: 0
; COMPUTE_PGM_RSRC2:TIDIG_COMP_CNT: 1
; COMPUTE_PGM_RSRC3_GFX90A:ACCUM_OFFSET: 43
; COMPUTE_PGM_RSRC3_GFX90A:TG_SPLIT: 0
	.section	.text._ZL12mul_mat_q5_1IfLb0EEvPKvS1_PT_iiiii,"axG",@progbits,_ZL12mul_mat_q5_1IfLb0EEvPKvS1_PT_iiiii,comdat
	.globl	_ZL12mul_mat_q5_1IfLb0EEvPKvS1_PT_iiiii ; -- Begin function _ZL12mul_mat_q5_1IfLb0EEvPKvS1_PT_iiiii
	.p2align	8
	.type	_ZL12mul_mat_q5_1IfLb0EEvPKvS1_PT_iiiii,@function
_ZL12mul_mat_q5_1IfLb0EEvPKvS1_PT_iiiii: ; @_ZL12mul_mat_q5_1IfLb0EEvPKvS1_PT_iiiii
; %bb.0:
	s_load_dword s7, s[0:1], 0x18
	s_load_dwordx4 s[8:11], s[0:1], 0x20
	s_waitcnt lgkmcnt(0)
	s_lshl_b32 s11, s3, 6
	v_bfe_u32 v43, v0, 10, 10
	s_cmp_gt_i32 s7, 31
	s_cbranch_scc1 .LBB123_2
; %bb.1:
	v_bfe_u32 v2, v0, 10, 10
	v_and_b32_e32 v39, 0x3ff, v0
	v_add_u32_e32 v87, s11, v2
	s_mov_b64 s[4:5], 0
	s_mov_b32 s3, 0
	s_branch .LBB123_3
.LBB123_2:
	s_mov_b64 s[4:5], -1
                                        ; implicit-def: $sgpr3
                                        ; implicit-def: $vgpr2
                                        ; implicit-def: $vgpr39
                                        ; implicit-def: $vgpr87
.LBB123_3:
	s_load_dwordx2 s[12:13], s[0:1], 0x10
	s_lshl_b32 s6, s2, 7
	s_andn2_b64 vcc, exec, s[4:5]
	v_mov_b32_e32 v1, s3
	v_mov_b32_e32 v11, s3
	;; [unrolled: 1-line block ×32, first 2 shown]
	s_cbranch_vccnz .LBB123_13
; %bb.4:
	s_ashr_i32 s4, s7, 31
	s_load_dwordx4 s[0:3], s[0:1], 0x0
	s_lshr_b32 s4, s4, 27
	s_ashr_i32 s5, s9, 31
	s_add_i32 s14, s7, s4
	s_lshr_b32 s5, s5, 27
	s_ashr_i32 s4, s14, 5
	s_add_i32 s5, s9, s5
	s_ashr_i32 s15, s5, 5
	s_mul_i32 s5, s4, s6
	s_mul_hi_i32 s7, s5, 24
	s_mul_i32 s5, s5, 24
	s_waitcnt lgkmcnt(0)
	s_add_u32 s5, s0, s5
	s_addc_u32 s7, s1, s7
	v_mul_lo_u32 v4, s4, v43
	s_lshl_b32 s0, s4, 3
	v_add_u32_e32 v6, s0, v4
	v_add_u32_e32 v8, s0, v6
	;; [unrolled: 1-line block ×10, first 2 shown]
	v_and_b32_e32 v39, 0x3ff, v0
	v_add_u32_e32 v26, s0, v24
	v_lshlrev_b32_e32 v1, 3, v39
	s_movk_i32 s16, 0x104
	v_add_u32_e32 v28, s0, v26
	v_lshrrev_b32_e32 v110, 3, v39
	v_lshrrev_b32_e32 v0, 2, v39
	v_mad_u32_u24 v91, v43, s16, v1
	v_add_u32_e32 v30, s0, v28
	v_lshl_add_u32 v1, v43, 2, v110
	v_lshlrev_b32_e32 v21, 2, v39
	v_add_u32_e32 v32, s0, v30
	v_and_b32_e32 v36, 7, v39
	v_mul_lo_u32 v38, s4, v1
	v_and_b32_e32 v5, 0x7fc, v1
	v_lshlrev_b32_e32 v9, 5, v1
	v_add_u32_e32 v11, 32, v1
	v_add_u32_e32 v15, 64, v1
	;; [unrolled: 1-line block ×3, first 2 shown]
	v_and_b32_e32 v46, 28, v21
	v_lshl_add_u32 v21, v43, 3, v0
	v_add_u32_e32 v34, s0, v32
	v_lshlrev_b32_e32 v7, 2, v36
	s_mov_b32 s0, 0xa200
	v_and_b32_e32 v13, 0xffc, v11
	v_and_b32_e32 v17, 0xffc, v15
	;; [unrolled: 1-line block ×5, first 2 shown]
	v_add3_u32 v5, v5, v7, s0
	v_add3_u32 v13, v13, v7, s0
	;; [unrolled: 1-line block ×4, first 2 shown]
	v_add_u32_e32 v87, s11, v43
	s_add_i32 s0, s8, -1
	v_or_b32_e32 v23, s11, v21
	v_lshlrev_b32_e32 v2, 2, v48
	v_cvt_f64_i32_e32 v[50:51], s0
	v_min_i32_e32 v23, s0, v23
	v_cvt_f64_u32_e32 v[52:53], v87
	v_mad_u64_u32 v[48:49], s[0:1], v23, s15, v[48:49]
	v_lshl_or_b32 v21, v21, 4, v2
	v_min_f64 v[52:53], v[52:53], v[50:51]
	v_add_u32_e32 v23, 8, v87
	v_add_u32_e32 v113, 0xb280, v21
	v_cvt_i32_f64_e32 v21, v[52:53]
	v_cvt_f64_u32_e32 v[52:53], v23
	v_min_f64 v[52:53], v[52:53], v[50:51]
	v_cvt_i32_f64_e32 v23, v[52:53]
	v_mul_lo_u32 v116, s15, v23
	v_add_u32_e32 v23, 16, v87
	v_cvt_f64_u32_e32 v[52:53], v23
	v_min_f64 v[52:53], v[52:53], v[50:51]
	v_cvt_i32_f64_e32 v23, v[52:53]
	v_mul_lo_u32 v118, s15, v23
	v_add_u32_e32 v23, 24, v87
	;; [unrolled: 5-line block ×6, first 2 shown]
	v_and_b32_e32 v19, 31, v39
	v_mul_lo_u32 v114, s15, v21
	v_lshlrev_b32_e32 v21, 7, v43
	v_cvt_f64_u32_e32 v[52:53], v23
	v_lshl_or_b32 v19, v19, 2, v21
	v_min_f64 v[50:51], v[52:53], v[50:51]
	v_add_u32_e32 v115, 0x8200, v19
	v_add_u32_e32 v117, 0x8600, v19
	;; [unrolled: 1-line block ×7, first 2 shown]
	v_cvt_i32_f64_e32 v23, v[50:51]
	v_add_u32_e32 v129, 0x9e00, v19
	v_add_u32_e32 v19, 32, v39
	s_andn2_b32 s14, s14, 31
	v_mul_lo_u32 v128, s15, v23
	v_add_u32_e32 v23, 64, v39
	v_add_u32_e32 v25, 0x60, v39
	v_lshlrev_b32_e32 v27, 5, v39
	v_lshrrev_b32_e32 v131, 3, v19
	v_and_b32_e32 v19, 0x1fc, v19
	v_mov_b32_e32 v3, 0
	v_add_u32_e32 v40, s14, v38
	v_and_b32_e32 v25, 0x1fc, v25
	v_and_b32_e32 v23, 0x1fc, v23
	v_add_u32_e32 v19, v27, v19
	v_and_b32_e32 v29, 0xfc, v39
	v_lshlrev_b32_e32 v11, 5, v11
	v_add_u32_e32 v42, s14, v40
	v_lshlrev_b32_e32 v15, 5, v15
	v_lshlrev_b32_e32 v1, 5, v1
	v_mov_b32_e32 v47, v3
	v_add_u32_e32 v25, v27, v25
	v_add_u32_e32 v23, v27, v23
	;; [unrolled: 1-line block ×5, first 2 shown]
	v_mov_b32_e32 v21, 0xb280
	v_add_u32_e32 v140, 0xa610, v19
	v_mov_b32_e32 v19, 0x80
	s_mov_b32 s9, 0
	v_add_u32_e32 v93, 0x820, v91
	v_add_u32_e32 v94, 0x1040, v91
	;; [unrolled: 1-line block ×16, first 2 shown]
	v_lshl_add_u64 v[46:47], s[2:3], 0, v[46:47]
	v_mul_u32_u24_e32 v130, 0x104, v39
	v_add_u32_e32 v132, 0xae00, v25
	v_add_u32_e32 v133, 0xaa00, v23
	;; [unrolled: 1-line block ×3, first 2 shown]
	v_lshl_add_u32 v137, v43, 4, v21
	v_add_u32_e32 v138, 0xae10, v25
	v_add_u32_e32 v139, 0xaa10, v23
	;; [unrolled: 1-line block ×3, first 2 shown]
	v_mad_u32_u24 v142, v39, s16, v19
	v_add_u32_e32 v143, v5, v9
	v_add_u32_e32 v144, v13, v11
	v_add_u32_e32 v145, v17, v15
	v_add_u32_e32 v146, v7, v1
	v_mov_b32_e32 v112, v3
	v_mov_b32_e32 v92, v3
	;; [unrolled: 1-line block ×32, first 2 shown]
	s_branch .LBB123_6
.LBB123_5:                              ;   in Loop: Header=BB123_6 Depth=1
	s_add_i32 s9, s9, 8
	s_cmp_ge_i32 s9, s4
	s_cbranch_scc1 .LBB123_12
.LBB123_6:                              ; =>This Loop Header: Depth=1
                                        ;     Child Loop BB123_7 Depth 2
                                        ;     Child Loop BB123_10 Depth 2
	s_mul_i32 s0, s9, 24
	s_mul_hi_u32 s1, s9, 24
	s_add_u32 s0, s5, s0
	s_addc_u32 s1, s7, s1
	v_mad_u64_u32 v[50:51], s[14:15], v0, 24, s[0:1]
	v_mad_u64_u32 v[52:53], s[14:15], v4, 24, v[50:51]
	;; [unrolled: 1-line block ×3, first 2 shown]
	v_lshl_add_u64 v[54:55], v[52:53], 0, v[2:3]
	v_mad_u64_u32 v[56:57], s[14:15], v6, 24, v[50:51]
	v_mad_u64_u32 v[58:59], s[14:15], v8, 24, v[50:51]
	global_load_dword v68, v[60:61], off offset:4
	global_load_dword v69, v[58:59], off offset:4
	;; [unrolled: 1-line block ×5, first 2 shown]
	v_lshl_add_u64 v[52:53], v[56:57], 0, v[2:3]
	global_load_dword v73, v[52:53], off offset:8
	v_lshl_add_u64 v[52:53], v[58:59], 0, v[2:3]
	global_load_dword v74, v[52:53], off offset:8
	;; [unrolled: 2-line block ×3, first 2 shown]
	v_mad_u64_u32 v[58:59], s[14:15], v18, 24, v[50:51]
	v_mad_u64_u32 v[52:53], s[14:15], v12, 24, v[50:51]
	;; [unrolled: 1-line block ×4, first 2 shown]
	v_lshl_add_u64 v[66:67], v[58:59], 0, v[2:3]
	v_lshl_add_u64 v[60:61], v[52:53], 0, v[2:3]
	;; [unrolled: 1-line block ×4, first 2 shown]
	global_load_dword v76, v[66:67], off offset:8
	global_load_dword v77, v[58:59], off offset:4
	;; [unrolled: 1-line block ×6, first 2 shown]
	s_nop 0
	global_load_dword v54, v[60:61], off offset:8
	s_nop 0
	global_load_dword v52, v[52:53], off offset:4
	v_add_u32_e32 v147, s9, v48
	v_mov_b32_e32 v148, v137
	v_mov_b32_e32 v149, v136
	;; [unrolled: 1-line block ×7, first 2 shown]
	s_waitcnt vmcnt(13)
	v_ashrrev_i32_e32 v57, v2, v70
	s_waitcnt vmcnt(12)
	v_ashrrev_i32_e32 v53, v2, v71
	s_waitcnt vmcnt(11)
	v_lshrrev_b32_e32 v55, 4, v72
	v_lshlrev_b32_e32 v60, 4, v53
	v_lshlrev_b32_e32 v61, 11, v53
	v_lshrrev_b32_e32 v62, 12, v53
	v_lshrrev_b32_e32 v63, 5, v53
	v_and_b32_e32 v56, 0xf0f0f0f, v72
	v_and_b32_e32 v55, 0xf0f0f0f, v55
	v_lshlrev_b32_e32 v64, 2, v53
	v_lshlrev_b32_e32 v65, 18, v53
	;; [unrolled: 1-line block ×4, first 2 shown]
	v_and_b32_e32 v62, 16, v62
	v_and_b32_e32 v60, 16, v60
	;; [unrolled: 1-line block ×4, first 2 shown]
	s_waitcnt vmcnt(10)
	v_lshrrev_b32_e32 v58, 4, v73
	v_lshlrev_b32_e32 v67, 4, v57
	v_lshlrev_b32_e32 v70, 11, v57
	v_lshrrev_b32_e32 v71, 12, v57
	v_lshrrev_b32_e32 v72, 5, v57
	v_and_b32_e32 v65, 0x100000, v65
	v_and_b32_e32 v64, 0x100000, v64
	;; [unrolled: 1-line block ×4, first 2 shown]
	v_or3_b32 v56, v60, v56, v61
	v_or3_b32 v55, v62, v55, v63
	v_and_b32_e32 v59, 0xf0f0f0f, v73
	v_and_b32_e32 v58, 0xf0f0f0f, v58
	v_lshlrev_b32_e32 v73, 2, v57
	v_lshlrev_b32_e32 v82, 18, v57
	;; [unrolled: 1-line block ×4, first 2 shown]
	v_and_b32_e32 v71, 16, v71
	v_and_b32_e32 v67, 16, v67
	;; [unrolled: 1-line block ×4, first 2 shown]
	v_or3_b32 v55, v55, v64, v66
	v_or3_b32 v53, v56, v65, v53
	v_and_b32_e32 v82, 0x100000, v82
	v_and_b32_e32 v73, 0x100000, v73
	;; [unrolled: 1-line block ×3, first 2 shown]
	v_or3_b32 v59, v67, v59, v70
	v_or3_b32 v58, v71, v58, v72
	ds_write2_b32 v91, v53, v55 offset1:1
	v_and_b32_e32 v53, 0x10000000, v83
	v_or3_b32 v53, v58, v73, v53
	v_or3_b32 v55, v59, v82, v57
	ds_write2_b32 v93, v55, v53 offset1:1
	v_ashrrev_i32_e32 v53, v2, v69
	v_lshlrev_b32_e32 v55, 4, v53
	v_lshlrev_b32_e32 v56, 11, v53
	s_waitcnt vmcnt(9)
	v_lshrrev_b32_e32 v57, 4, v74
	v_lshrrev_b32_e32 v58, 12, v53
	;; [unrolled: 1-line block ×3, first 2 shown]
	v_and_b32_e32 v57, 0xf0f0f0f, v57
	v_and_b32_e32 v60, 0xf0f0f0f, v74
	;; [unrolled: 1-line block ×6, first 2 shown]
	v_or3_b32 v55, v55, v60, v56
	v_or3_b32 v56, v58, v57, v59
	v_lshlrev_b32_e32 v57, 2, v53
	v_lshlrev_b32_e32 v58, 18, v53
	;; [unrolled: 1-line block ×4, first 2 shown]
	v_and_b32_e32 v58, 0x100000, v58
	v_and_b32_e32 v57, 0x100000, v57
	;; [unrolled: 1-line block ×4, first 2 shown]
	v_or3_b32 v56, v56, v57, v59
	v_or3_b32 v53, v55, v58, v53
	ds_write2_b32 v94, v53, v56 offset1:1
	v_ashrrev_i32_e32 v53, v2, v68
	v_lshlrev_b32_e32 v55, 4, v53
	v_lshlrev_b32_e32 v56, 11, v53
	s_waitcnt vmcnt(8)
	v_lshrrev_b32_e32 v57, 4, v75
	v_lshrrev_b32_e32 v58, 12, v53
	;; [unrolled: 1-line block ×3, first 2 shown]
	v_and_b32_e32 v57, 0xf0f0f0f, v57
	v_and_b32_e32 v60, 0xf0f0f0f, v75
	;; [unrolled: 1-line block ×6, first 2 shown]
	v_or3_b32 v55, v55, v60, v56
	v_or3_b32 v56, v58, v57, v59
	v_lshlrev_b32_e32 v57, 2, v53
	v_lshlrev_b32_e32 v58, 18, v53
	;; [unrolled: 1-line block ×4, first 2 shown]
	v_and_b32_e32 v58, 0x100000, v58
	v_and_b32_e32 v57, 0x100000, v57
	;; [unrolled: 1-line block ×4, first 2 shown]
	v_or3_b32 v56, v56, v57, v59
	v_or3_b32 v53, v55, v58, v53
	s_waitcnt vmcnt(0)
	v_ashrrev_i32_e32 v52, v2, v52
	ds_write2_b32 v95, v53, v56 offset1:1
	v_lshlrev_b32_e32 v53, 4, v52
	v_lshlrev_b32_e32 v55, 11, v52
	v_lshrrev_b32_e32 v56, 4, v54
	v_and_b32_e32 v54, 0xf0f0f0f, v54
	v_and_b32_e32 v53, 16, v53
	;; [unrolled: 1-line block ×3, first 2 shown]
	v_lshrrev_b32_e32 v57, 12, v52
	v_lshrrev_b32_e32 v58, 5, v52
	v_or3_b32 v68, v53, v54, v55
	v_lshlrev_b32_e32 v53, 2, v52
	v_lshlrev_b32_e32 v54, 18, v52
	;; [unrolled: 1-line block ×4, first 2 shown]
	v_and_b32_e32 v56, 0xf0f0f0f, v56
	v_and_b32_e32 v57, 16, v57
	;; [unrolled: 1-line block ×5, first 2 shown]
	v_mad_u64_u32 v[52:53], s[14:15], v20, 24, v[50:51]
	v_mad_u64_u32 v[64:65], s[14:15], v26, 24, v[50:51]
	v_or3_b32 v69, v57, v56, v58
	v_and_b32_e32 v70, 0x100000, v54
	v_lshl_add_u64 v[54:55], v[52:53], 0, v[2:3]
	v_mad_u64_u32 v[56:57], s[14:15], v22, 24, v[50:51]
	v_mad_u64_u32 v[60:61], s[14:15], v24, 24, v[50:51]
	v_lshl_add_u64 v[66:67], v[64:65], 0, v[2:3]
	v_lshl_add_u64 v[58:59], v[56:57], 0, v[2:3]
	;; [unrolled: 1-line block ×3, first 2 shown]
	global_load_dword v66, v[66:67], off offset:8
	s_nop 0
	global_load_dword v67, v[64:65], off offset:4
	global_load_dword v74, v[62:63], off offset:8
	;; [unrolled: 1-line block ×5, first 2 shown]
	s_nop 0
	global_load_dword v54, v[54:55], off offset:8
	s_nop 0
	global_load_dword v52, v[52:53], off offset:4
	v_and_b32_e32 v53, 0x10000000, v72
	v_or3_b32 v53, v69, v71, v53
	v_or3_b32 v55, v68, v70, v73
	ds_write2_b32 v96, v55, v53 offset1:1
	v_ashrrev_i32_e32 v53, v2, v81
	v_lshlrev_b32_e32 v55, 4, v53
	v_lshlrev_b32_e32 v56, 11, v53
	v_lshrrev_b32_e32 v57, 4, v80
	v_lshrrev_b32_e32 v58, 12, v53
	v_lshrrev_b32_e32 v59, 5, v53
	v_and_b32_e32 v57, 0xf0f0f0f, v57
	v_and_b32_e32 v60, 0xf0f0f0f, v80
	v_and_b32_e32 v58, 16, v58
	v_and_b32_e32 v55, 16, v55
	v_and_b32_e32 v59, 0x1000, v59
	v_and_b32_e32 v56, 0x1000, v56
	v_or3_b32 v55, v55, v60, v56
	v_or3_b32 v56, v58, v57, v59
	v_lshlrev_b32_e32 v57, 2, v53
	v_lshlrev_b32_e32 v58, 18, v53
	v_lshlrev_b32_e32 v59, 9, v53
	v_lshlrev_b32_e32 v53, 25, v53
	v_and_b32_e32 v58, 0x100000, v58
	v_and_b32_e32 v57, 0x100000, v57
	v_and_b32_e32 v53, 0x10000000, v53
	v_and_b32_e32 v59, 0x10000000, v59
	v_or3_b32 v56, v56, v57, v59
	v_or3_b32 v53, v55, v58, v53
	ds_write2_b32 v97, v53, v56 offset1:1
	v_ashrrev_i32_e32 v53, v2, v79
	v_lshlrev_b32_e32 v55, 4, v53
	v_lshlrev_b32_e32 v56, 11, v53
	v_lshrrev_b32_e32 v57, 4, v78
	v_lshrrev_b32_e32 v58, 12, v53
	v_lshrrev_b32_e32 v59, 5, v53
	v_and_b32_e32 v57, 0xf0f0f0f, v57
	v_and_b32_e32 v60, 0xf0f0f0f, v78
	v_and_b32_e32 v58, 16, v58
	v_and_b32_e32 v55, 16, v55
	v_and_b32_e32 v59, 0x1000, v59
	v_and_b32_e32 v56, 0x1000, v56
	v_or3_b32 v55, v55, v60, v56
	v_or3_b32 v56, v58, v57, v59
	v_lshlrev_b32_e32 v57, 2, v53
	v_lshlrev_b32_e32 v58, 18, v53
	v_lshlrev_b32_e32 v59, 9, v53
	v_lshlrev_b32_e32 v53, 25, v53
	v_and_b32_e32 v58, 0x100000, v58
	v_and_b32_e32 v57, 0x100000, v57
	v_and_b32_e32 v53, 0x10000000, v53
	;; [unrolled: 25-line block ×3, first 2 shown]
	v_and_b32_e32 v59, 0x10000000, v59
	v_or3_b32 v56, v56, v57, v59
	v_or3_b32 v53, v55, v58, v53
	ds_write2_b32 v99, v53, v56 offset1:1
	s_waitcnt vmcnt(0)
	v_ashrrev_i32_e32 v52, v2, v52
	v_lshlrev_b32_e32 v53, 4, v52
	v_lshlrev_b32_e32 v55, 11, v52
	v_lshrrev_b32_e32 v56, 4, v54
	v_lshrrev_b32_e32 v57, 12, v52
	;; [unrolled: 1-line block ×3, first 2 shown]
	v_and_b32_e32 v54, 0xf0f0f0f, v54
	v_and_b32_e32 v53, 16, v53
	;; [unrolled: 1-line block ×6, first 2 shown]
	v_or3_b32 v68, v53, v54, v55
	v_lshlrev_b32_e32 v53, 2, v52
	v_lshlrev_b32_e32 v54, 18, v52
	;; [unrolled: 1-line block ×4, first 2 shown]
	v_or3_b32 v69, v57, v56, v58
	v_and_b32_e32 v71, 0x100000, v53
	v_and_b32_e32 v73, 0x10000000, v52
	v_mad_u64_u32 v[52:53], s[14:15], v28, 24, v[50:51]
	v_mad_u64_u32 v[56:57], s[14:15], v30, 24, v[50:51]
	;; [unrolled: 1-line block ×4, first 2 shown]
	v_and_b32_e32 v70, 0x100000, v54
	v_lshl_add_u64 v[54:55], v[52:53], 0, v[2:3]
	v_lshl_add_u64 v[64:65], v[50:51], 0, v[2:3]
	;; [unrolled: 1-line block ×4, first 2 shown]
	global_load_dword v76, v[64:65], off offset:8
	global_load_dword v77, v[50:51], off offset:4
	;; [unrolled: 1-line block ×4, first 2 shown]
	s_nop 0
	global_load_dword v50, v[58:59], off offset:8
	global_load_dword v51, v[56:57], off offset:4
	s_nop 0
	global_load_dword v54, v[54:55], off offset:8
	s_nop 0
	global_load_dword v52, v[52:53], off offset:4
	v_and_b32_e32 v53, 0x10000000, v72
	v_or3_b32 v53, v69, v71, v53
	v_or3_b32 v55, v68, v70, v73
	ds_write2_b32 v101, v55, v53 offset1:1
	v_ashrrev_i32_e32 v53, v2, v83
	v_lshlrev_b32_e32 v55, 4, v53
	v_lshlrev_b32_e32 v56, 11, v53
	v_lshrrev_b32_e32 v57, 4, v82
	v_lshrrev_b32_e32 v58, 12, v53
	v_lshrrev_b32_e32 v59, 5, v53
	v_and_b32_e32 v57, 0xf0f0f0f, v57
	v_and_b32_e32 v60, 0xf0f0f0f, v82
	v_and_b32_e32 v58, 16, v58
	v_and_b32_e32 v55, 16, v55
	v_and_b32_e32 v59, 0x1000, v59
	v_and_b32_e32 v56, 0x1000, v56
	v_or3_b32 v55, v55, v60, v56
	v_or3_b32 v56, v58, v57, v59
	v_lshlrev_b32_e32 v57, 2, v53
	v_lshlrev_b32_e32 v58, 18, v53
	v_lshlrev_b32_e32 v59, 9, v53
	v_lshlrev_b32_e32 v53, 25, v53
	v_and_b32_e32 v58, 0x100000, v58
	v_and_b32_e32 v57, 0x100000, v57
	v_and_b32_e32 v53, 0x10000000, v53
	v_and_b32_e32 v59, 0x10000000, v59
	v_or3_b32 v56, v56, v57, v59
	v_or3_b32 v53, v55, v58, v53
	ds_write2_b32 v102, v53, v56 offset1:1
	v_ashrrev_i32_e32 v53, v2, v75
	v_lshlrev_b32_e32 v55, 4, v53
	v_lshlrev_b32_e32 v56, 11, v53
	v_lshrrev_b32_e32 v57, 4, v74
	v_lshrrev_b32_e32 v58, 12, v53
	v_lshrrev_b32_e32 v59, 5, v53
	v_and_b32_e32 v57, 0xf0f0f0f, v57
	v_and_b32_e32 v60, 0xf0f0f0f, v74
	v_and_b32_e32 v58, 16, v58
	v_and_b32_e32 v55, 16, v55
	v_and_b32_e32 v59, 0x1000, v59
	v_and_b32_e32 v56, 0x1000, v56
	v_or3_b32 v55, v55, v60, v56
	v_or3_b32 v56, v58, v57, v59
	v_lshlrev_b32_e32 v57, 2, v53
	v_lshlrev_b32_e32 v58, 18, v53
	v_lshlrev_b32_e32 v59, 9, v53
	v_lshlrev_b32_e32 v53, 25, v53
	v_and_b32_e32 v58, 0x100000, v58
	v_and_b32_e32 v57, 0x100000, v57
	v_and_b32_e32 v53, 0x10000000, v53
	;; [unrolled: 25-line block ×3, first 2 shown]
	v_and_b32_e32 v59, 0x10000000, v59
	v_or3_b32 v56, v56, v57, v59
	v_or3_b32 v53, v55, v58, v53
	ds_write2_b32 v104, v53, v56 offset1:1
	s_waitcnt vmcnt(0)
	v_ashrrev_i32_e32 v52, v2, v52
	v_lshlrev_b32_e32 v53, 4, v52
	v_lshlrev_b32_e32 v55, 11, v52
	v_lshrrev_b32_e32 v56, 4, v54
	v_lshrrev_b32_e32 v57, 12, v52
	;; [unrolled: 1-line block ×3, first 2 shown]
	v_and_b32_e32 v56, 0xf0f0f0f, v56
	v_and_b32_e32 v54, 0xf0f0f0f, v54
	;; [unrolled: 1-line block ×6, first 2 shown]
	v_or3_b32 v53, v53, v54, v55
	v_or3_b32 v54, v57, v56, v58
	v_lshlrev_b32_e32 v55, 2, v52
	v_lshlrev_b32_e32 v56, 18, v52
	v_lshlrev_b32_e32 v57, 9, v52
	v_lshlrev_b32_e32 v52, 25, v52
	v_and_b32_e32 v56, 0x100000, v56
	v_and_b32_e32 v55, 0x100000, v55
	;; [unrolled: 1-line block ×4, first 2 shown]
	v_ashrrev_i32_e32 v66, v2, v51
	v_lshrrev_b32_e32 v51, 4, v50
	v_or3_b32 v54, v54, v55, v57
	v_or3_b32 v52, v53, v56, v52
	v_and_b32_e32 v71, 0xf0f0f0f, v51
	v_and_b32_e32 v72, 0xf0f0f0f, v50
	v_mad_u64_u32 v[50:51], s[0:1], v36, 24, s[0:1]
	ds_write2_b32 v105, v52, v54 offset1:1
	v_mad_u64_u32 v[52:53], s[0:1], v38, 24, v[50:51]
	v_mad_u64_u32 v[54:55], s[0:1], v40, 24, v[50:51]
	;; [unrolled: 1-line block ×4, first 2 shown]
	v_add_u32_e32 v64, s9, v110
	global_load_dword v73, v[52:53], off
	global_load_dword v74, v[54:55], off
	;; [unrolled: 1-line block ×4, first 2 shown]
	v_add_u32_e32 v50, v64, v114
	v_add_u32_e32 v52, v64, v116
	;; [unrolled: 1-line block ×5, first 2 shown]
	v_mad_i64_i32 v[50:51], s[0:1], v50, 36, v[46:47]
	v_mad_i64_i32 v[52:53], s[0:1], v52, 36, v[46:47]
	;; [unrolled: 1-line block ×5, first 2 shown]
	v_add_u32_e32 v60, v64, v124
	v_add_u32_e32 v62, v64, v126
	;; [unrolled: 1-line block ×3, first 2 shown]
	v_mad_i64_i32 v[60:61], s[0:1], v60, 36, v[46:47]
	v_mad_i64_i32 v[62:63], s[0:1], v62, 36, v[46:47]
	;; [unrolled: 1-line block ×3, first 2 shown]
	global_load_dword v81, v[50:51], off offset:4
	s_nop 0
	global_load_dword v52, v[52:53], off offset:4
	s_nop 0
	;; [unrolled: 2-line block ×3, first 2 shown]
	global_load_dword v54, v[56:57], off offset:4
	global_load_dword v55, v[58:59], off offset:4
	s_nop 0
	global_load_dword v56, v[60:61], off offset:4
	global_load_dword v57, v[62:63], off offset:4
	;; [unrolled: 1-line block ×3, first 2 shown]
	v_mad_u64_u32 v[50:51], s[0:1], v147, 36, s[2:3]
	global_load_dword v50, v[50:51], off
	v_lshlrev_b32_e32 v67, 4, v66
	v_lshlrev_b32_e32 v68, 11, v66
	v_lshrrev_b32_e32 v69, 12, v66
	v_lshrrev_b32_e32 v70, 5, v66
	v_and_b32_e32 v51, 16, v69
	v_and_b32_e32 v59, 16, v67
	;; [unrolled: 1-line block ×4, first 2 shown]
	v_or3_b32 v59, v59, v72, v61
	v_or3_b32 v51, v51, v71, v60
	v_lshlrev_b32_e32 v60, 2, v66
	v_lshlrev_b32_e32 v61, 18, v66
	;; [unrolled: 1-line block ×4, first 2 shown]
	v_and_b32_e32 v61, 0x100000, v61
	v_and_b32_e32 v60, 0x100000, v60
	;; [unrolled: 1-line block ×4, first 2 shown]
	v_or3_b32 v51, v51, v60, v62
	v_or3_b32 v59, v59, v61, v63
	ds_write2_b32 v107, v59, v51 offset1:1
	v_ashrrev_i32_e32 v51, v2, v79
	v_lshlrev_b32_e32 v59, 4, v51
	v_lshlrev_b32_e32 v60, 11, v51
	v_lshrrev_b32_e32 v61, 4, v78
	v_lshrrev_b32_e32 v62, 12, v51
	;; [unrolled: 1-line block ×3, first 2 shown]
	v_and_b32_e32 v61, 0xf0f0f0f, v61
	v_and_b32_e32 v64, 0xf0f0f0f, v78
	;; [unrolled: 1-line block ×6, first 2 shown]
	v_or3_b32 v59, v59, v64, v60
	v_or3_b32 v60, v62, v61, v63
	v_lshlrev_b32_e32 v61, 2, v51
	v_lshlrev_b32_e32 v62, 18, v51
	;; [unrolled: 1-line block ×4, first 2 shown]
	v_and_b32_e32 v62, 0x100000, v62
	v_and_b32_e32 v61, 0x100000, v61
	;; [unrolled: 1-line block ×4, first 2 shown]
	v_or3_b32 v60, v60, v61, v63
	v_or3_b32 v51, v59, v62, v51
	ds_write2_b32 v108, v51, v60 offset1:1
	v_ashrrev_i32_e32 v51, v2, v77
	v_lshlrev_b32_e32 v59, 4, v51
	v_lshlrev_b32_e32 v60, 11, v51
	v_lshrrev_b32_e32 v61, 4, v76
	v_lshrrev_b32_e32 v62, 12, v51
	;; [unrolled: 1-line block ×3, first 2 shown]
	v_and_b32_e32 v61, 0xf0f0f0f, v61
	v_and_b32_e32 v64, 0xf0f0f0f, v76
	;; [unrolled: 1-line block ×6, first 2 shown]
	v_or3_b32 v59, v59, v64, v60
	v_or3_b32 v60, v62, v61, v63
	v_lshlrev_b32_e32 v61, 2, v51
	v_lshlrev_b32_e32 v62, 18, v51
	;; [unrolled: 1-line block ×4, first 2 shown]
	v_and_b32_e32 v62, 0x100000, v62
	v_and_b32_e32 v61, 0x100000, v61
	;; [unrolled: 1-line block ×4, first 2 shown]
	v_or3_b32 v60, v60, v61, v63
	v_or3_b32 v51, v59, v62, v51
	s_mov_b32 s0, -4
	ds_write2_b32 v109, v51, v60 offset1:1
	s_waitcnt vmcnt(12)
	ds_write_b32 v143, v73
	s_waitcnt vmcnt(11)
	ds_write_b32 v144, v74
	;; [unrolled: 2-line block ×13, first 2 shown]
	s_waitcnt lgkmcnt(0)
	s_barrier
.LBB123_7:                              ;   Parent Loop BB123_6 Depth=1
                                        ; =>  This Inner Loop Header: Depth=2
	ds_read_b128 v[160:163], v149
	ds_read_b128 v[164:167], v149 offset:16
	ds_read2_b32 v[82:83], v148 offset1:32
	ds_read_b32 v155, v151
	ds_read2_b32 v[50:51], v150 offset1:1
	ds_read2_b32 v[54:55], v150 offset0:2 offset1:3
	ds_read2_b32 v[56:57], v150 offset0:4 offset1:5
	;; [unrolled: 1-line block ×3, first 2 shown]
	v_mov_b32_e32 v52, 0
	s_waitcnt lgkmcnt(3)
	v_dot4c_i32_i8_e32 v52, v50, v160
	v_dot4c_i32_i8_e32 v52, v51, v164
	s_waitcnt lgkmcnt(2)
	v_dot4c_i32_i8_e32 v52, v54, v161
	v_dot4c_i32_i8_e32 v52, v55, v165
	;; [unrolled: 3-line block ×4, first 2 shown]
	v_pk_mul_f16 v53, v82, v155
	v_add_u32_e32 v58, 0x2088, v150
	v_add_u32_e32 v63, 0x2090, v150
	v_cvt_f32_i32_e32 v52, v52
	v_mov_b32_e32 v62, 0
	v_add_u32_e32 v66, 0x4108, v150
	v_add_u32_e32 v70, 0x4110, v150
	v_fma_mix_f32 v52, v53, v52, v53 op_sel:[0,0,1] op_sel_hi:[1,0,1]
	v_mov_b32_e32 v72, 0
	v_add_f32_e32 v112, v112, v52
	v_add_u32_e32 v52, 0x2080, v150
	ds_read_b32 v156, v152
	ds_read2_b32 v[52:53], v52 offset1:1
	ds_read2_b32 v[58:59], v58 offset1:1
	;; [unrolled: 1-line block ×3, first 2 shown]
	v_add_u32_e32 v63, 0x2098, v150
	ds_read2_b32 v[68:69], v63 offset1:1
	s_waitcnt lgkmcnt(3)
	v_dot4c_i32_i8_e32 v62, v52, v160
	v_dot4c_i32_i8_e32 v62, v53, v164
	s_waitcnt lgkmcnt(2)
	v_dot4c_i32_i8_e32 v62, v58, v161
	v_dot4c_i32_i8_e32 v62, v59, v165
	;; [unrolled: 3-line block ×4, first 2 shown]
	v_pk_mul_f16 v63, v82, v156
	v_add_u32_e32 v73, 0x4118, v150
	v_add_u32_e32 v76, 0x6188, v150
	v_cvt_f32_i32_e32 v62, v62
	v_add_u32_e32 v78, 0x6190, v150
	v_mov_b32_e32 v159, 0
	v_add_u32_e32 v80, 0x6198, v150
	v_fma_mix_f32 v62, v63, v62, v63 op_sel:[0,0,1] op_sel_hi:[1,0,1]
	s_add_i32 s0, s0, 4
	v_add_f32_e32 v111, v111, v62
	v_add_u32_e32 v62, 0x4100, v150
	ds_read_b32 v157, v153
	ds_read2_b32 v[62:63], v62 offset1:1
	ds_read2_b32 v[66:67], v66 offset1:1
	;; [unrolled: 1-line block ×4, first 2 shown]
	s_waitcnt lgkmcnt(4)
	v_pk_mul_f16 v73, v82, v157
	s_waitcnt lgkmcnt(3)
	v_dot4c_i32_i8_e32 v72, v62, v160
	v_dot4c_i32_i8_e32 v72, v63, v164
	s_waitcnt lgkmcnt(2)
	v_dot4c_i32_i8_e32 v72, v66, v161
	v_dot4c_i32_i8_e32 v72, v67, v165
	;; [unrolled: 3-line block ×4, first 2 shown]
	v_add_u32_e32 v153, 4, v153
	v_add_u32_e32 v152, 4, v152
	;; [unrolled: 1-line block ×3, first 2 shown]
	v_cvt_f32_i32_e32 v72, v72
	s_cmp_lt_u32 s0, 12
	v_fma_mix_f32 v72, v73, v72, v73 op_sel:[0,0,1] op_sel_hi:[1,0,1]
	s_nop 0
	v_add_f32_e32 v106, v106, v72
	v_add_u32_e32 v72, 0x6180, v150
	ds_read_b32 v158, v154
	ds_read2_b32 v[72:73], v72 offset1:1
	ds_read2_b32 v[76:77], v76 offset1:1
	ds_read2_b32 v[78:79], v78 offset1:1
	ds_read2_b32 v[80:81], v80 offset1:1
	s_waitcnt lgkmcnt(4)
	v_pk_mul_f16 v82, v82, v158
	s_waitcnt lgkmcnt(3)
	v_dot4c_i32_i8_e32 v159, v72, v160
	v_dot4c_i32_i8_e32 v159, v73, v164
	s_waitcnt lgkmcnt(2)
	v_dot4c_i32_i8_e32 v159, v76, v161
	v_dot4c_i32_i8_e32 v159, v77, v165
	;; [unrolled: 3-line block ×4, first 2 shown]
	ds_read_b128 v[160:163], v149 offset:1024
	ds_read_b128 v[164:167], v149 offset:1040
	v_add_u32_e32 v154, 4, v154
	v_cvt_f32_i32_e32 v159, v159
	v_add_u32_e32 v150, 32, v150
	v_fma_mix_f32 v82, v82, v159, v82 op_sel:[0,0,1] op_sel_hi:[1,0,1]
	s_nop 0
	v_add_f32_e32 v100, v100, v82
	v_mov_b32_e32 v82, 0
	s_waitcnt lgkmcnt(1)
	v_dot4c_i32_i8_e32 v82, v50, v160
	s_waitcnt lgkmcnt(0)
	v_dot4c_i32_i8_e32 v82, v51, v164
	v_dot4c_i32_i8_e32 v82, v54, v161
	;; [unrolled: 1-line block ×7, first 2 shown]
	v_pk_mul_f16 v159, v155, v83
	s_nop 1
	v_cvt_f32_i32_e32 v82, v82
	v_fma_mix_f32 v82, v82, v159, v159 op_sel:[0,0,1] op_sel_hi:[0,1,1]
	v_add_f32_e32 v92, v92, v82
	v_mov_b32_e32 v82, 0
	v_dot4c_i32_i8_e32 v82, v52, v160
	v_dot4c_i32_i8_e32 v82, v53, v164
	;; [unrolled: 1-line block ×8, first 2 shown]
	v_pk_mul_f16 v159, v156, v83
	s_nop 1
	v_cvt_f32_i32_e32 v82, v82
	v_fma_mix_f32 v82, v82, v159, v159 op_sel:[0,0,1] op_sel_hi:[0,1,1]
	v_add_f32_e32 v90, v90, v82
	v_mov_b32_e32 v82, 0
	v_dot4c_i32_i8_e32 v82, v62, v160
	v_dot4c_i32_i8_e32 v82, v63, v164
	;; [unrolled: 1-line block ×8, first 2 shown]
	v_pk_mul_f16 v159, v157, v83
	v_pk_mul_f16 v83, v158, v83
	s_nop 0
	v_cvt_f32_i32_e32 v82, v82
	v_fma_mix_f32 v82, v82, v159, v159 op_sel:[0,0,1] op_sel_hi:[0,1,1]
	v_add_f32_e32 v89, v89, v82
	v_mov_b32_e32 v82, 0
	v_dot4c_i32_i8_e32 v82, v72, v160
	v_dot4c_i32_i8_e32 v82, v73, v164
	;; [unrolled: 1-line block ×8, first 2 shown]
	v_mov_b32_e32 v159, 0
	s_nop 1
	v_cvt_f32_i32_e32 v82, v82
	v_fma_mix_f32 v82, v82, v83, v83 op_sel:[0,0,1] op_sel_hi:[0,1,1]
	v_add_f32_e32 v88, v88, v82
	ds_read_b128 v[160:163], v149 offset:2048
	ds_read_b128 v[164:167], v149 offset:2064
	ds_read2_b32 v[82:83], v148 offset0:64 offset1:96
	s_waitcnt lgkmcnt(2)
	v_dot4c_i32_i8_e32 v159, v50, v160
	s_waitcnt lgkmcnt(1)
	v_dot4c_i32_i8_e32 v159, v51, v164
	v_dot4c_i32_i8_e32 v159, v54, v161
	;; [unrolled: 1-line block ×7, first 2 shown]
	s_waitcnt lgkmcnt(0)
	v_pk_mul_f16 v168, v155, v82
	s_nop 0
	v_cvt_f32_i32_e32 v159, v159
	v_fma_mix_f32 v159, v159, v168, v168 op_sel:[0,0,1] op_sel_hi:[0,1,1]
	v_add_f32_e32 v86, v86, v159
	v_mov_b32_e32 v159, 0
	v_dot4c_i32_i8_e32 v159, v52, v160
	v_dot4c_i32_i8_e32 v159, v53, v164
	;; [unrolled: 1-line block ×8, first 2 shown]
	v_pk_mul_f16 v168, v156, v82
	s_nop 1
	v_cvt_f32_i32_e32 v159, v159
	v_fma_mix_f32 v159, v159, v168, v168 op_sel:[0,0,1] op_sel_hi:[0,1,1]
	v_add_f32_e32 v85, v85, v159
	v_mov_b32_e32 v159, 0
	v_dot4c_i32_i8_e32 v159, v62, v160
	v_dot4c_i32_i8_e32 v159, v63, v164
	;; [unrolled: 1-line block ×8, first 2 shown]
	v_pk_mul_f16 v168, v157, v82
	v_pk_mul_f16 v82, v158, v82
	s_nop 0
	v_cvt_f32_i32_e32 v159, v159
	v_fma_mix_f32 v159, v159, v168, v168 op_sel:[0,0,1] op_sel_hi:[0,1,1]
	v_add_f32_e32 v84, v84, v159
	v_mov_b32_e32 v159, 0
	v_dot4c_i32_i8_e32 v159, v72, v160
	v_dot4c_i32_i8_e32 v159, v73, v164
	;; [unrolled: 1-line block ×8, first 2 shown]
	ds_read_b128 v[160:163], v149 offset:3072
	ds_read_b128 v[164:167], v149 offset:3088
	s_nop 0
	v_cvt_f32_i32_e32 v159, v159
	v_fma_mix_f32 v82, v159, v82, v82 op_sel:[0,0,1] op_sel_hi:[0,1,1]
	v_add_f32_e32 v49, v49, v82
	v_mov_b32_e32 v82, 0
	s_waitcnt lgkmcnt(1)
	v_dot4c_i32_i8_e32 v82, v50, v160
	s_waitcnt lgkmcnt(0)
	v_dot4c_i32_i8_e32 v82, v51, v164
	v_dot4c_i32_i8_e32 v82, v54, v161
	;; [unrolled: 1-line block ×7, first 2 shown]
	v_pk_mul_f16 v159, v155, v83
	s_nop 1
	v_cvt_f32_i32_e32 v82, v82
	v_fma_mix_f32 v82, v82, v159, v159 op_sel:[0,0,1] op_sel_hi:[0,1,1]
	v_add_f32_e32 v45, v45, v82
	v_mov_b32_e32 v82, 0
	v_dot4c_i32_i8_e32 v82, v52, v160
	v_dot4c_i32_i8_e32 v82, v53, v164
	;; [unrolled: 1-line block ×8, first 2 shown]
	v_pk_mul_f16 v159, v156, v83
	s_nop 1
	v_cvt_f32_i32_e32 v82, v82
	v_fma_mix_f32 v82, v82, v159, v159 op_sel:[0,0,1] op_sel_hi:[0,1,1]
	v_add_f32_e32 v41, v41, v82
	v_mov_b32_e32 v82, 0
	v_dot4c_i32_i8_e32 v82, v62, v160
	v_dot4c_i32_i8_e32 v82, v63, v164
	;; [unrolled: 1-line block ×8, first 2 shown]
	v_pk_mul_f16 v159, v157, v83
	v_pk_mul_f16 v83, v158, v83
	s_nop 0
	v_cvt_f32_i32_e32 v82, v82
	v_fma_mix_f32 v82, v82, v159, v159 op_sel:[0,0,1] op_sel_hi:[0,1,1]
	v_add_f32_e32 v37, v37, v82
	v_mov_b32_e32 v82, 0
	v_dot4c_i32_i8_e32 v82, v72, v160
	v_dot4c_i32_i8_e32 v82, v73, v164
	;; [unrolled: 1-line block ×8, first 2 shown]
	v_mov_b32_e32 v159, 0
	s_nop 1
	v_cvt_f32_i32_e32 v82, v82
	v_fma_mix_f32 v82, v82, v83, v83 op_sel:[0,0,1] op_sel_hi:[0,1,1]
	v_add_f32_e32 v35, v35, v82
	ds_read_b128 v[160:163], v149 offset:4096
	ds_read_b128 v[164:167], v149 offset:4112
	ds_read2_b32 v[82:83], v148 offset0:128 offset1:160
	s_waitcnt lgkmcnt(2)
	v_dot4c_i32_i8_e32 v159, v50, v160
	s_waitcnt lgkmcnt(1)
	v_dot4c_i32_i8_e32 v159, v51, v164
	v_dot4c_i32_i8_e32 v159, v54, v161
	;; [unrolled: 1-line block ×7, first 2 shown]
	s_waitcnt lgkmcnt(0)
	v_pk_mul_f16 v168, v155, v82
	s_nop 0
	v_cvt_f32_i32_e32 v159, v159
	v_fma_mix_f32 v159, v159, v168, v168 op_sel:[0,0,1] op_sel_hi:[0,1,1]
	v_add_f32_e32 v33, v33, v159
	v_mov_b32_e32 v159, 0
	v_dot4c_i32_i8_e32 v159, v52, v160
	v_dot4c_i32_i8_e32 v159, v53, v164
	;; [unrolled: 1-line block ×8, first 2 shown]
	v_pk_mul_f16 v168, v156, v82
	s_nop 1
	v_cvt_f32_i32_e32 v159, v159
	v_fma_mix_f32 v159, v159, v168, v168 op_sel:[0,0,1] op_sel_hi:[0,1,1]
	v_add_f32_e32 v31, v31, v159
	v_mov_b32_e32 v159, 0
	v_dot4c_i32_i8_e32 v159, v62, v160
	v_dot4c_i32_i8_e32 v159, v63, v164
	;; [unrolled: 1-line block ×8, first 2 shown]
	v_pk_mul_f16 v168, v157, v82
	v_pk_mul_f16 v82, v158, v82
	s_nop 0
	v_cvt_f32_i32_e32 v159, v159
	v_fma_mix_f32 v159, v159, v168, v168 op_sel:[0,0,1] op_sel_hi:[0,1,1]
	v_add_f32_e32 v29, v29, v159
	v_mov_b32_e32 v159, 0
	v_dot4c_i32_i8_e32 v159, v72, v160
	v_dot4c_i32_i8_e32 v159, v73, v164
	;; [unrolled: 1-line block ×8, first 2 shown]
	ds_read_b128 v[160:163], v149 offset:5120
	ds_read_b128 v[164:167], v149 offset:5136
	s_nop 0
	v_cvt_f32_i32_e32 v159, v159
	v_fma_mix_f32 v82, v159, v82, v82 op_sel:[0,0,1] op_sel_hi:[0,1,1]
	v_add_f32_e32 v27, v27, v82
	v_mov_b32_e32 v82, 0
	s_waitcnt lgkmcnt(1)
	v_dot4c_i32_i8_e32 v82, v50, v160
	s_waitcnt lgkmcnt(0)
	v_dot4c_i32_i8_e32 v82, v51, v164
	v_dot4c_i32_i8_e32 v82, v54, v161
	;; [unrolled: 1-line block ×7, first 2 shown]
	v_pk_mul_f16 v159, v155, v83
	s_nop 1
	v_cvt_f32_i32_e32 v82, v82
	v_fma_mix_f32 v82, v82, v159, v159 op_sel:[0,0,1] op_sel_hi:[0,1,1]
	v_add_f32_e32 v25, v25, v82
	v_mov_b32_e32 v82, 0
	v_dot4c_i32_i8_e32 v82, v52, v160
	v_dot4c_i32_i8_e32 v82, v53, v164
	;; [unrolled: 1-line block ×8, first 2 shown]
	v_pk_mul_f16 v159, v156, v83
	s_nop 1
	v_cvt_f32_i32_e32 v82, v82
	v_fma_mix_f32 v82, v82, v159, v159 op_sel:[0,0,1] op_sel_hi:[0,1,1]
	v_add_f32_e32 v23, v23, v82
	v_mov_b32_e32 v82, 0
	v_dot4c_i32_i8_e32 v82, v62, v160
	v_dot4c_i32_i8_e32 v82, v63, v164
	;; [unrolled: 1-line block ×8, first 2 shown]
	v_pk_mul_f16 v159, v157, v83
	v_pk_mul_f16 v83, v158, v83
	s_nop 0
	v_cvt_f32_i32_e32 v82, v82
	v_fma_mix_f32 v82, v82, v159, v159 op_sel:[0,0,1] op_sel_hi:[0,1,1]
	v_add_f32_e32 v21, v21, v82
	v_mov_b32_e32 v82, 0
	v_dot4c_i32_i8_e32 v82, v72, v160
	v_dot4c_i32_i8_e32 v82, v73, v164
	;; [unrolled: 1-line block ×8, first 2 shown]
	v_mov_b32_e32 v159, 0
	s_nop 1
	v_cvt_f32_i32_e32 v82, v82
	v_fma_mix_f32 v82, v82, v83, v83 op_sel:[0,0,1] op_sel_hi:[0,1,1]
	v_add_f32_e32 v19, v19, v82
	ds_read_b128 v[160:163], v149 offset:6144
	ds_read_b128 v[164:167], v149 offset:6160
	ds_read2_b32 v[82:83], v148 offset0:192 offset1:224
	v_add_u32_e32 v148, 4, v148
	s_waitcnt lgkmcnt(2)
	v_dot4c_i32_i8_e32 v159, v50, v160
	s_waitcnt lgkmcnt(1)
	v_dot4c_i32_i8_e32 v159, v51, v164
	v_dot4c_i32_i8_e32 v159, v54, v161
	;; [unrolled: 1-line block ×7, first 2 shown]
	s_waitcnt lgkmcnt(0)
	v_pk_mul_f16 v168, v155, v82
	s_nop 0
	v_cvt_f32_i32_e32 v159, v159
	v_fma_mix_f32 v159, v159, v168, v168 op_sel:[0,0,1] op_sel_hi:[0,1,1]
	v_add_f32_e32 v17, v17, v159
	v_mov_b32_e32 v159, 0
	v_dot4c_i32_i8_e32 v159, v52, v160
	v_dot4c_i32_i8_e32 v159, v53, v164
	;; [unrolled: 1-line block ×8, first 2 shown]
	v_pk_mul_f16 v168, v156, v82
	s_nop 1
	v_cvt_f32_i32_e32 v159, v159
	v_fma_mix_f32 v159, v159, v168, v168 op_sel:[0,0,1] op_sel_hi:[0,1,1]
	v_add_f32_e32 v15, v15, v159
	v_mov_b32_e32 v159, 0
	v_dot4c_i32_i8_e32 v159, v62, v160
	v_dot4c_i32_i8_e32 v159, v63, v164
	;; [unrolled: 1-line block ×8, first 2 shown]
	v_pk_mul_f16 v168, v157, v82
	v_pk_mul_f16 v82, v158, v82
	s_nop 0
	v_cvt_f32_i32_e32 v159, v159
	v_fma_mix_f32 v159, v159, v168, v168 op_sel:[0,0,1] op_sel_hi:[0,1,1]
	v_add_f32_e32 v13, v13, v159
	v_mov_b32_e32 v159, 0
	v_dot4c_i32_i8_e32 v159, v72, v160
	v_dot4c_i32_i8_e32 v159, v73, v164
	v_dot4c_i32_i8_e32 v159, v76, v161
	v_dot4c_i32_i8_e32 v159, v77, v165
	v_dot4c_i32_i8_e32 v159, v78, v162
	v_dot4c_i32_i8_e32 v159, v79, v166
	v_dot4c_i32_i8_e32 v159, v80, v163
	v_dot4c_i32_i8_e32 v159, v81, v167
	ds_read_b128 v[160:163], v149 offset:7168
	ds_read_b128 v[164:167], v149 offset:7184
	v_add_u32_e32 v149, 32, v149
	v_cvt_f32_i32_e32 v159, v159
	v_fma_mix_f32 v82, v159, v82, v82 op_sel:[0,0,1] op_sel_hi:[0,1,1]
	v_add_f32_e32 v11, v11, v82
	v_mov_b32_e32 v82, 0
	s_waitcnt lgkmcnt(1)
	v_dot4c_i32_i8_e32 v82, v50, v160
	s_waitcnt lgkmcnt(0)
	v_dot4c_i32_i8_e32 v82, v51, v164
	v_dot4c_i32_i8_e32 v82, v54, v161
	v_dot4c_i32_i8_e32 v82, v55, v165
	v_dot4c_i32_i8_e32 v82, v56, v162
	v_dot4c_i32_i8_e32 v82, v57, v166
	v_dot4c_i32_i8_e32 v82, v60, v163
	v_dot4c_i32_i8_e32 v82, v61, v167
	v_pk_mul_f16 v50, v155, v83
	s_nop 1
	v_cvt_f32_i32_e32 v51, v82
	v_fma_mix_f32 v50, v51, v50, v50 op_sel:[0,0,1] op_sel_hi:[0,1,1]
	v_add_f32_e32 v9, v9, v50
	v_mov_b32_e32 v50, 0
	v_dot4c_i32_i8_e32 v50, v52, v160
	v_dot4c_i32_i8_e32 v50, v53, v164
	v_dot4c_i32_i8_e32 v50, v58, v161
	v_dot4c_i32_i8_e32 v50, v59, v165
	v_dot4c_i32_i8_e32 v50, v64, v162
	v_dot4c_i32_i8_e32 v50, v65, v166
	v_dot4c_i32_i8_e32 v50, v68, v163
	v_dot4c_i32_i8_e32 v50, v69, v167
	v_pk_mul_f16 v51, v156, v83
	s_nop 1
	v_cvt_f32_i32_e32 v50, v50
	v_fma_mix_f32 v50, v50, v51, v51 op_sel:[0,0,1] op_sel_hi:[0,1,1]
	v_add_f32_e32 v7, v7, v50
	v_mov_b32_e32 v50, 0
	v_dot4c_i32_i8_e32 v50, v62, v160
	;; [unrolled: 14-line block ×3, first 2 shown]
	v_dot4c_i32_i8_e32 v50, v73, v164
	v_dot4c_i32_i8_e32 v50, v76, v161
	;; [unrolled: 1-line block ×7, first 2 shown]
	v_pk_mul_f16 v51, v158, v83
	s_nop 1
	v_cvt_f32_i32_e32 v50, v50
	v_fma_mix_f32 v50, v50, v51, v51 op_sel:[0,0,1] op_sel_hi:[0,1,1]
	v_add_f32_e32 v1, v1, v50
	s_cbranch_scc1 .LBB123_7
; %bb.8:                                ;   in Loop: Header=BB123_6 Depth=1
	s_or_b32 s0, s9, 4
	s_cmp_ge_i32 s0, s4
	s_barrier
	s_cbranch_scc1 .LBB123_5
; %bb.9:                                ;   in Loop: Header=BB123_6 Depth=1
	v_add_u32_e32 v64, s9, v131
	v_add_u32_e32 v50, v64, v114
	;; [unrolled: 1-line block ×6, first 2 shown]
	v_mad_i64_i32 v[50:51], s[0:1], v50, 36, v[46:47]
	v_mad_i64_i32 v[52:53], s[0:1], v52, 36, v[46:47]
	;; [unrolled: 1-line block ×5, first 2 shown]
	v_add_u32_e32 v60, v64, v124
	v_add_u32_e32 v62, v64, v126
	;; [unrolled: 1-line block ×3, first 2 shown]
	v_mad_i64_i32 v[60:61], s[0:1], v60, 36, v[46:47]
	v_mad_i64_i32 v[62:63], s[0:1], v62, 36, v[46:47]
	;; [unrolled: 1-line block ×3, first 2 shown]
	global_load_dword v66, v[50:51], off offset:4
	s_nop 0
	global_load_dword v52, v[52:53], off offset:4
	s_nop 0
	;; [unrolled: 2-line block ×3, first 2 shown]
	global_load_dword v54, v[56:57], off offset:4
	global_load_dword v55, v[58:59], off offset:4
	s_nop 0
	global_load_dword v56, v[60:61], off offset:4
                                        ; kill: killed $vgpr58_vgpr59
                                        ; kill: killed $vgpr60_vgpr61
	global_load_dword v57, v[62:63], off offset:4
	global_load_dword v58, v[64:65], off offset:4
	v_add_u32_e32 v50, 4, v147
	v_mad_u64_u32 v[50:51], s[0:1], v50, 36, s[2:3]
	global_load_dword v50, v[50:51], off
	s_mov_b32 s0, 12
	v_mov_b32_e32 v147, v137
	v_mov_b32_e32 v148, v136
	;; [unrolled: 1-line block ×7, first 2 shown]
	s_waitcnt vmcnt(8)
	ds_write_b32 v115, v66
	s_waitcnt vmcnt(7)
	ds_write_b32 v117, v52
	;; [unrolled: 2-line block ×9, first 2 shown]
	s_waitcnt lgkmcnt(0)
	s_barrier
.LBB123_10:                             ;   Parent Loop BB123_6 Depth=1
                                        ; =>  This Inner Loop Header: Depth=2
	ds_read_b128 v[158:161], v148
	ds_read_b128 v[162:165], v148 offset:16
	ds_read2_b32 v[82:83], v147 offset1:32
	ds_read_b32 v154, v150
	ds_read2_b32 v[50:51], v149 offset1:1
	ds_read2_b32 v[54:55], v149 offset0:2 offset1:3
	ds_read2_b32 v[56:57], v149 offset0:4 offset1:5
	ds_read2_b32 v[60:61], v149 offset0:6 offset1:7
	v_mov_b32_e32 v52, 0
	s_waitcnt lgkmcnt(3)
	v_dot4c_i32_i8_e32 v52, v50, v158
	v_dot4c_i32_i8_e32 v52, v51, v162
	s_waitcnt lgkmcnt(2)
	v_dot4c_i32_i8_e32 v52, v54, v159
	v_dot4c_i32_i8_e32 v52, v55, v163
	;; [unrolled: 3-line block ×4, first 2 shown]
	v_pk_mul_f16 v53, v82, v154
	v_add_u32_e32 v58, 0x2088, v149
	v_add_u32_e32 v63, 0x2090, v149
	v_cvt_f32_i32_e32 v52, v52
	v_mov_b32_e32 v62, 0
	v_add_u32_e32 v66, 0x4108, v149
	v_add_u32_e32 v70, 0x4110, v149
	v_fma_mix_f32 v52, v53, v52, v53 op_sel:[0,0,1] op_sel_hi:[1,0,1]
	v_mov_b32_e32 v72, 0
	v_add_f32_e32 v112, v112, v52
	v_add_u32_e32 v52, 0x2080, v149
	ds_read_b32 v155, v151
	ds_read2_b32 v[52:53], v52 offset1:1
	ds_read2_b32 v[58:59], v58 offset1:1
	;; [unrolled: 1-line block ×3, first 2 shown]
	v_add_u32_e32 v63, 0x2098, v149
	ds_read2_b32 v[68:69], v63 offset1:1
	s_waitcnt lgkmcnt(3)
	v_dot4c_i32_i8_e32 v62, v52, v158
	v_dot4c_i32_i8_e32 v62, v53, v162
	s_waitcnt lgkmcnt(2)
	v_dot4c_i32_i8_e32 v62, v58, v159
	v_dot4c_i32_i8_e32 v62, v59, v163
	;; [unrolled: 3-line block ×4, first 2 shown]
	v_pk_mul_f16 v63, v82, v155
	v_add_u32_e32 v73, 0x4118, v149
	v_add_u32_e32 v76, 0x6188, v149
	v_cvt_f32_i32_e32 v62, v62
	v_add_u32_e32 v78, 0x6190, v149
	v_mov_b32_e32 v166, 0
	v_add_u32_e32 v80, 0x6198, v149
	v_fma_mix_f32 v62, v63, v62, v63 op_sel:[0,0,1] op_sel_hi:[1,0,1]
	s_add_i32 s0, s0, 4
	v_add_f32_e32 v111, v111, v62
	v_add_u32_e32 v62, 0x4100, v149
	ds_read_b32 v156, v152
	ds_read2_b32 v[62:63], v62 offset1:1
	ds_read2_b32 v[66:67], v66 offset1:1
	;; [unrolled: 1-line block ×4, first 2 shown]
	s_waitcnt lgkmcnt(4)
	v_pk_mul_f16 v73, v82, v156
	s_waitcnt lgkmcnt(3)
	v_dot4c_i32_i8_e32 v72, v62, v158
	v_dot4c_i32_i8_e32 v72, v63, v162
	s_waitcnt lgkmcnt(2)
	v_dot4c_i32_i8_e32 v72, v66, v159
	v_dot4c_i32_i8_e32 v72, v67, v163
	;; [unrolled: 3-line block ×4, first 2 shown]
	v_add_u32_e32 v152, 4, v152
	v_add_u32_e32 v151, 4, v151
	;; [unrolled: 1-line block ×3, first 2 shown]
	v_cvt_f32_i32_e32 v72, v72
	s_cmp_lt_u32 s0, 28
	v_fma_mix_f32 v72, v73, v72, v73 op_sel:[0,0,1] op_sel_hi:[1,0,1]
	s_nop 0
	v_add_f32_e32 v106, v106, v72
	v_add_u32_e32 v72, 0x6180, v149
	ds_read_b32 v157, v153
	ds_read2_b32 v[72:73], v72 offset1:1
	ds_read2_b32 v[76:77], v76 offset1:1
	;; [unrolled: 1-line block ×4, first 2 shown]
	s_waitcnt lgkmcnt(4)
	v_pk_mul_f16 v82, v82, v157
	s_waitcnt lgkmcnt(3)
	v_dot4c_i32_i8_e32 v166, v72, v158
	v_dot4c_i32_i8_e32 v166, v73, v162
	s_waitcnt lgkmcnt(2)
	v_dot4c_i32_i8_e32 v166, v76, v159
	v_dot4c_i32_i8_e32 v166, v77, v163
	;; [unrolled: 3-line block ×4, first 2 shown]
	v_add_u32_e32 v153, 4, v153
	v_add_u32_e32 v149, 32, v149
	s_nop 0
	v_cvt_f32_i32_e32 v158, v166
	v_pk_mul_f16 v166, v154, v83
	v_fma_mix_f32 v82, v82, v158, v82 op_sel:[0,0,1] op_sel_hi:[1,0,1]
	ds_read_b128 v[158:161], v148 offset:1024
	ds_read_b128 v[162:165], v148 offset:1040
	v_add_f32_e32 v100, v100, v82
	v_mov_b32_e32 v82, 0
	s_waitcnt lgkmcnt(1)
	v_dot4c_i32_i8_e32 v82, v50, v158
	s_waitcnt lgkmcnt(0)
	v_dot4c_i32_i8_e32 v82, v51, v162
	v_dot4c_i32_i8_e32 v82, v54, v159
	;; [unrolled: 1-line block ×7, first 2 shown]
	s_nop 2
	v_cvt_f32_i32_e32 v82, v82
	v_fma_mix_f32 v82, v82, v166, v166 op_sel:[0,0,1] op_sel_hi:[0,1,1]
	v_add_f32_e32 v92, v92, v82
	v_mov_b32_e32 v82, 0
	v_dot4c_i32_i8_e32 v82, v52, v158
	v_dot4c_i32_i8_e32 v82, v53, v162
	;; [unrolled: 1-line block ×8, first 2 shown]
	v_pk_mul_f16 v166, v155, v83
	s_nop 1
	v_cvt_f32_i32_e32 v82, v82
	v_fma_mix_f32 v82, v82, v166, v166 op_sel:[0,0,1] op_sel_hi:[0,1,1]
	v_add_f32_e32 v90, v90, v82
	v_mov_b32_e32 v82, 0
	v_dot4c_i32_i8_e32 v82, v62, v158
	v_dot4c_i32_i8_e32 v82, v63, v162
	v_dot4c_i32_i8_e32 v82, v66, v159
	v_dot4c_i32_i8_e32 v82, v67, v163
	v_dot4c_i32_i8_e32 v82, v70, v160
	v_dot4c_i32_i8_e32 v82, v71, v164
	v_dot4c_i32_i8_e32 v82, v74, v161
	v_dot4c_i32_i8_e32 v82, v75, v165
	v_pk_mul_f16 v166, v156, v83
	v_pk_mul_f16 v83, v157, v83
	s_nop 0
	v_cvt_f32_i32_e32 v82, v82
	v_fma_mix_f32 v82, v82, v166, v166 op_sel:[0,0,1] op_sel_hi:[0,1,1]
	v_add_f32_e32 v89, v89, v82
	v_mov_b32_e32 v82, 0
	v_dot4c_i32_i8_e32 v82, v72, v158
	v_dot4c_i32_i8_e32 v82, v73, v162
	;; [unrolled: 1-line block ×8, first 2 shown]
	v_mov_b32_e32 v166, 0
	s_nop 1
	v_cvt_f32_i32_e32 v82, v82
	v_fma_mix_f32 v82, v82, v83, v83 op_sel:[0,0,1] op_sel_hi:[0,1,1]
	v_add_f32_e32 v88, v88, v82
	ds_read_b128 v[158:161], v148 offset:2048
	ds_read_b128 v[162:165], v148 offset:2064
	ds_read2_b32 v[82:83], v147 offset0:64 offset1:96
	s_waitcnt lgkmcnt(2)
	v_dot4c_i32_i8_e32 v166, v50, v158
	s_waitcnt lgkmcnt(1)
	v_dot4c_i32_i8_e32 v166, v51, v162
	v_dot4c_i32_i8_e32 v166, v54, v159
	;; [unrolled: 1-line block ×7, first 2 shown]
	s_waitcnt lgkmcnt(0)
	v_pk_mul_f16 v167, v154, v82
	s_nop 0
	v_cvt_f32_i32_e32 v166, v166
	v_fma_mix_f32 v166, v166, v167, v167 op_sel:[0,0,1] op_sel_hi:[0,1,1]
	v_add_f32_e32 v86, v86, v166
	v_mov_b32_e32 v166, 0
	v_dot4c_i32_i8_e32 v166, v52, v158
	v_dot4c_i32_i8_e32 v166, v53, v162
	;; [unrolled: 1-line block ×8, first 2 shown]
	v_pk_mul_f16 v167, v155, v82
	s_nop 1
	v_cvt_f32_i32_e32 v166, v166
	v_fma_mix_f32 v166, v166, v167, v167 op_sel:[0,0,1] op_sel_hi:[0,1,1]
	v_add_f32_e32 v85, v85, v166
	v_mov_b32_e32 v166, 0
	v_dot4c_i32_i8_e32 v166, v62, v158
	v_dot4c_i32_i8_e32 v166, v63, v162
	v_dot4c_i32_i8_e32 v166, v66, v159
	v_dot4c_i32_i8_e32 v166, v67, v163
	v_dot4c_i32_i8_e32 v166, v70, v160
	v_dot4c_i32_i8_e32 v166, v71, v164
	v_dot4c_i32_i8_e32 v166, v74, v161
	v_dot4c_i32_i8_e32 v166, v75, v165
	v_pk_mul_f16 v167, v156, v82
	v_pk_mul_f16 v82, v157, v82
	s_nop 0
	v_cvt_f32_i32_e32 v166, v166
	v_fma_mix_f32 v166, v166, v167, v167 op_sel:[0,0,1] op_sel_hi:[0,1,1]
	v_add_f32_e32 v84, v84, v166
	v_mov_b32_e32 v166, 0
	v_dot4c_i32_i8_e32 v166, v72, v158
	v_dot4c_i32_i8_e32 v166, v73, v162
	;; [unrolled: 1-line block ×8, first 2 shown]
	s_nop 2
	v_cvt_f32_i32_e32 v158, v166
	v_pk_mul_f16 v166, v154, v83
	v_fma_mix_f32 v82, v158, v82, v82 op_sel:[0,0,1] op_sel_hi:[0,1,1]
	ds_read_b128 v[158:161], v148 offset:3072
	ds_read_b128 v[162:165], v148 offset:3088
	v_add_f32_e32 v49, v49, v82
	v_mov_b32_e32 v82, 0
	s_waitcnt lgkmcnt(1)
	v_dot4c_i32_i8_e32 v82, v50, v158
	s_waitcnt lgkmcnt(0)
	v_dot4c_i32_i8_e32 v82, v51, v162
	v_dot4c_i32_i8_e32 v82, v54, v159
	v_dot4c_i32_i8_e32 v82, v55, v163
	v_dot4c_i32_i8_e32 v82, v56, v160
	v_dot4c_i32_i8_e32 v82, v57, v164
	v_dot4c_i32_i8_e32 v82, v60, v161
	v_dot4c_i32_i8_e32 v82, v61, v165
	s_nop 2
	v_cvt_f32_i32_e32 v82, v82
	v_fma_mix_f32 v82, v82, v166, v166 op_sel:[0,0,1] op_sel_hi:[0,1,1]
	v_add_f32_e32 v45, v45, v82
	v_mov_b32_e32 v82, 0
	v_dot4c_i32_i8_e32 v82, v52, v158
	v_dot4c_i32_i8_e32 v82, v53, v162
	;; [unrolled: 1-line block ×8, first 2 shown]
	v_pk_mul_f16 v166, v155, v83
	s_nop 1
	v_cvt_f32_i32_e32 v82, v82
	v_fma_mix_f32 v82, v82, v166, v166 op_sel:[0,0,1] op_sel_hi:[0,1,1]
	v_add_f32_e32 v41, v41, v82
	v_mov_b32_e32 v82, 0
	v_dot4c_i32_i8_e32 v82, v62, v158
	v_dot4c_i32_i8_e32 v82, v63, v162
	;; [unrolled: 1-line block ×8, first 2 shown]
	v_pk_mul_f16 v166, v156, v83
	v_pk_mul_f16 v83, v157, v83
	s_nop 0
	v_cvt_f32_i32_e32 v82, v82
	v_fma_mix_f32 v82, v82, v166, v166 op_sel:[0,0,1] op_sel_hi:[0,1,1]
	v_add_f32_e32 v37, v37, v82
	v_mov_b32_e32 v82, 0
	v_dot4c_i32_i8_e32 v82, v72, v158
	v_dot4c_i32_i8_e32 v82, v73, v162
	;; [unrolled: 1-line block ×8, first 2 shown]
	v_mov_b32_e32 v166, 0
	s_nop 1
	v_cvt_f32_i32_e32 v82, v82
	v_fma_mix_f32 v82, v82, v83, v83 op_sel:[0,0,1] op_sel_hi:[0,1,1]
	v_add_f32_e32 v35, v35, v82
	ds_read_b128 v[158:161], v148 offset:4096
	ds_read_b128 v[162:165], v148 offset:4112
	ds_read2_b32 v[82:83], v147 offset0:128 offset1:160
	s_waitcnt lgkmcnt(2)
	v_dot4c_i32_i8_e32 v166, v50, v158
	s_waitcnt lgkmcnt(1)
	v_dot4c_i32_i8_e32 v166, v51, v162
	v_dot4c_i32_i8_e32 v166, v54, v159
	;; [unrolled: 1-line block ×7, first 2 shown]
	s_waitcnt lgkmcnt(0)
	v_pk_mul_f16 v167, v154, v82
	s_nop 0
	v_cvt_f32_i32_e32 v166, v166
	v_fma_mix_f32 v166, v166, v167, v167 op_sel:[0,0,1] op_sel_hi:[0,1,1]
	v_add_f32_e32 v33, v33, v166
	v_mov_b32_e32 v166, 0
	v_dot4c_i32_i8_e32 v166, v52, v158
	v_dot4c_i32_i8_e32 v166, v53, v162
	v_dot4c_i32_i8_e32 v166, v58, v159
	v_dot4c_i32_i8_e32 v166, v59, v163
	v_dot4c_i32_i8_e32 v166, v64, v160
	v_dot4c_i32_i8_e32 v166, v65, v164
	v_dot4c_i32_i8_e32 v166, v68, v161
	v_dot4c_i32_i8_e32 v166, v69, v165
	v_pk_mul_f16 v167, v155, v82
	s_nop 1
	v_cvt_f32_i32_e32 v166, v166
	v_fma_mix_f32 v166, v166, v167, v167 op_sel:[0,0,1] op_sel_hi:[0,1,1]
	v_add_f32_e32 v31, v31, v166
	v_mov_b32_e32 v166, 0
	v_dot4c_i32_i8_e32 v166, v62, v158
	v_dot4c_i32_i8_e32 v166, v63, v162
	;; [unrolled: 1-line block ×8, first 2 shown]
	v_pk_mul_f16 v167, v156, v82
	v_pk_mul_f16 v82, v157, v82
	s_nop 0
	v_cvt_f32_i32_e32 v166, v166
	v_fma_mix_f32 v166, v166, v167, v167 op_sel:[0,0,1] op_sel_hi:[0,1,1]
	v_add_f32_e32 v29, v29, v166
	v_mov_b32_e32 v166, 0
	v_dot4c_i32_i8_e32 v166, v72, v158
	v_dot4c_i32_i8_e32 v166, v73, v162
	v_dot4c_i32_i8_e32 v166, v76, v159
	v_dot4c_i32_i8_e32 v166, v77, v163
	v_dot4c_i32_i8_e32 v166, v78, v160
	v_dot4c_i32_i8_e32 v166, v79, v164
	v_dot4c_i32_i8_e32 v166, v80, v161
	v_dot4c_i32_i8_e32 v166, v81, v165
	s_nop 2
	v_cvt_f32_i32_e32 v158, v166
	v_pk_mul_f16 v166, v154, v83
	v_fma_mix_f32 v82, v158, v82, v82 op_sel:[0,0,1] op_sel_hi:[0,1,1]
	ds_read_b128 v[158:161], v148 offset:5120
	ds_read_b128 v[162:165], v148 offset:5136
	v_add_f32_e32 v27, v27, v82
	v_mov_b32_e32 v82, 0
	s_waitcnt lgkmcnt(1)
	v_dot4c_i32_i8_e32 v82, v50, v158
	s_waitcnt lgkmcnt(0)
	v_dot4c_i32_i8_e32 v82, v51, v162
	v_dot4c_i32_i8_e32 v82, v54, v159
	;; [unrolled: 1-line block ×7, first 2 shown]
	s_nop 2
	v_cvt_f32_i32_e32 v82, v82
	v_fma_mix_f32 v82, v82, v166, v166 op_sel:[0,0,1] op_sel_hi:[0,1,1]
	v_add_f32_e32 v25, v25, v82
	v_mov_b32_e32 v82, 0
	v_dot4c_i32_i8_e32 v82, v52, v158
	v_dot4c_i32_i8_e32 v82, v53, v162
	;; [unrolled: 1-line block ×8, first 2 shown]
	v_pk_mul_f16 v166, v155, v83
	s_nop 1
	v_cvt_f32_i32_e32 v82, v82
	v_fma_mix_f32 v82, v82, v166, v166 op_sel:[0,0,1] op_sel_hi:[0,1,1]
	v_add_f32_e32 v23, v23, v82
	v_mov_b32_e32 v82, 0
	v_dot4c_i32_i8_e32 v82, v62, v158
	v_dot4c_i32_i8_e32 v82, v63, v162
	;; [unrolled: 1-line block ×8, first 2 shown]
	v_pk_mul_f16 v166, v156, v83
	v_pk_mul_f16 v83, v157, v83
	s_nop 0
	v_cvt_f32_i32_e32 v82, v82
	v_fma_mix_f32 v82, v82, v166, v166 op_sel:[0,0,1] op_sel_hi:[0,1,1]
	v_add_f32_e32 v21, v21, v82
	v_mov_b32_e32 v82, 0
	v_dot4c_i32_i8_e32 v82, v72, v158
	v_dot4c_i32_i8_e32 v82, v73, v162
	;; [unrolled: 1-line block ×8, first 2 shown]
	v_mov_b32_e32 v166, 0
	s_nop 1
	v_cvt_f32_i32_e32 v82, v82
	v_fma_mix_f32 v82, v82, v83, v83 op_sel:[0,0,1] op_sel_hi:[0,1,1]
	v_add_f32_e32 v19, v19, v82
	ds_read_b128 v[158:161], v148 offset:6144
	ds_read_b128 v[162:165], v148 offset:6160
	ds_read2_b32 v[82:83], v147 offset0:192 offset1:224
	v_add_u32_e32 v147, 4, v147
	s_waitcnt lgkmcnt(2)
	v_dot4c_i32_i8_e32 v166, v50, v158
	s_waitcnt lgkmcnt(1)
	v_dot4c_i32_i8_e32 v166, v51, v162
	v_dot4c_i32_i8_e32 v166, v54, v159
	v_dot4c_i32_i8_e32 v166, v55, v163
	v_dot4c_i32_i8_e32 v166, v56, v160
	v_dot4c_i32_i8_e32 v166, v57, v164
	v_dot4c_i32_i8_e32 v166, v60, v161
	v_dot4c_i32_i8_e32 v166, v61, v165
	s_waitcnt lgkmcnt(0)
	v_pk_mul_f16 v167, v154, v82
	s_nop 0
	v_cvt_f32_i32_e32 v166, v166
	v_fma_mix_f32 v166, v166, v167, v167 op_sel:[0,0,1] op_sel_hi:[0,1,1]
	v_add_f32_e32 v17, v17, v166
	v_mov_b32_e32 v166, 0
	v_dot4c_i32_i8_e32 v166, v52, v158
	v_dot4c_i32_i8_e32 v166, v53, v162
	;; [unrolled: 1-line block ×8, first 2 shown]
	v_pk_mul_f16 v167, v155, v82
	s_nop 1
	v_cvt_f32_i32_e32 v166, v166
	v_fma_mix_f32 v166, v166, v167, v167 op_sel:[0,0,1] op_sel_hi:[0,1,1]
	v_add_f32_e32 v15, v15, v166
	v_mov_b32_e32 v166, 0
	v_dot4c_i32_i8_e32 v166, v62, v158
	v_dot4c_i32_i8_e32 v166, v63, v162
	;; [unrolled: 1-line block ×8, first 2 shown]
	v_pk_mul_f16 v167, v156, v82
	v_pk_mul_f16 v82, v157, v82
	s_nop 0
	v_cvt_f32_i32_e32 v166, v166
	v_fma_mix_f32 v166, v166, v167, v167 op_sel:[0,0,1] op_sel_hi:[0,1,1]
	v_add_f32_e32 v13, v13, v166
	v_mov_b32_e32 v166, 0
	v_dot4c_i32_i8_e32 v166, v72, v158
	v_dot4c_i32_i8_e32 v166, v73, v162
	;; [unrolled: 1-line block ×8, first 2 shown]
	s_nop 2
	v_cvt_f32_i32_e32 v158, v166
	v_fma_mix_f32 v82, v158, v82, v82 op_sel:[0,0,1] op_sel_hi:[0,1,1]
	ds_read_b128 v[158:161], v148 offset:7168
	ds_read_b128 v[162:165], v148 offset:7184
	v_add_f32_e32 v11, v11, v82
	v_mov_b32_e32 v82, 0
	v_add_u32_e32 v148, 32, v148
	s_waitcnt lgkmcnt(1)
	v_dot4c_i32_i8_e32 v82, v50, v158
	s_waitcnt lgkmcnt(0)
	v_dot4c_i32_i8_e32 v82, v51, v162
	v_dot4c_i32_i8_e32 v82, v54, v159
	v_dot4c_i32_i8_e32 v82, v55, v163
	v_dot4c_i32_i8_e32 v82, v56, v160
	v_dot4c_i32_i8_e32 v82, v57, v164
	v_dot4c_i32_i8_e32 v82, v60, v161
	v_dot4c_i32_i8_e32 v82, v61, v165
	v_pk_mul_f16 v50, v154, v83
	s_nop 1
	v_cvt_f32_i32_e32 v51, v82
	v_fma_mix_f32 v50, v51, v50, v50 op_sel:[0,0,1] op_sel_hi:[0,1,1]
	v_add_f32_e32 v9, v9, v50
	v_mov_b32_e32 v50, 0
	v_dot4c_i32_i8_e32 v50, v52, v158
	v_dot4c_i32_i8_e32 v50, v53, v162
	v_dot4c_i32_i8_e32 v50, v58, v159
	v_dot4c_i32_i8_e32 v50, v59, v163
	v_dot4c_i32_i8_e32 v50, v64, v160
	v_dot4c_i32_i8_e32 v50, v65, v164
	v_dot4c_i32_i8_e32 v50, v68, v161
	v_dot4c_i32_i8_e32 v50, v69, v165
	v_pk_mul_f16 v51, v155, v83
	s_nop 1
	v_cvt_f32_i32_e32 v50, v50
	v_fma_mix_f32 v50, v50, v51, v51 op_sel:[0,0,1] op_sel_hi:[0,1,1]
	v_add_f32_e32 v7, v7, v50
	v_mov_b32_e32 v50, 0
	v_dot4c_i32_i8_e32 v50, v62, v158
	;; [unrolled: 14-line block ×3, first 2 shown]
	v_dot4c_i32_i8_e32 v50, v73, v162
	v_dot4c_i32_i8_e32 v50, v76, v159
	;; [unrolled: 1-line block ×7, first 2 shown]
	v_pk_mul_f16 v51, v157, v83
	s_nop 1
	v_cvt_f32_i32_e32 v50, v50
	v_fma_mix_f32 v50, v50, v51, v51 op_sel:[0,0,1] op_sel_hi:[0,1,1]
	v_add_f32_e32 v1, v1, v50
	s_cbranch_scc1 .LBB123_10
; %bb.11:                               ;   in Loop: Header=BB123_6 Depth=1
	s_barrier
	s_branch .LBB123_5
.LBB123_12:
	v_mov_b32_e32 v2, v43
.LBB123_13:
	v_cmp_gt_u32_e32 vcc, s8, v87
	s_and_saveexec_b64 s[0:1], vcc
	s_cbranch_execz .LBB123_64
; %bb.14:
	v_add_u32_e32 v0, s6, v39
	v_mul_lo_u32 v8, v87, s10
	v_cmp_gt_u32_e32 vcc, s10, v0
	s_and_saveexec_b64 s[0:1], vcc
	s_cbranch_execz .LBB123_16
; %bb.15:
	v_add_u32_e32 v38, v0, v8
	v_mov_b32_e32 v39, 0
	s_waitcnt lgkmcnt(0)
	v_lshl_add_u64 v[38:39], v[38:39], 2, s[12:13]
	global_store_dword v[38:39], v112, off
.LBB123_16:
	s_or_b64 exec, exec, s[0:1]
	v_add_u32_e32 v3, 32, v0
	v_cmp_gt_u32_e64 s[0:1], s10, v3
	s_and_saveexec_b64 s[2:3], s[0:1]
	s_cbranch_execz .LBB123_18
; %bb.17:
	v_add_u32_e32 v38, v3, v8
	v_mov_b32_e32 v39, 0
	s_waitcnt lgkmcnt(0)
	v_lshl_add_u64 v[38:39], v[38:39], 2, s[12:13]
	global_store_dword v[38:39], v111, off
.LBB123_18:
	s_or_b64 exec, exec, s[2:3]
	v_add_u32_e32 v4, 64, v0
	v_cmp_gt_u32_e64 s[2:3], s10, v4
	s_and_saveexec_b64 s[4:5], s[2:3]
	;; [unrolled: 12-line block ×3, first 2 shown]
	s_cbranch_execz .LBB123_22
; %bb.21:
	v_add_u32_e32 v38, v6, v8
	v_mov_b32_e32 v39, 0
	s_waitcnt lgkmcnt(0)
	v_lshl_add_u64 v[38:39], v[38:39], 2, s[12:13]
	global_store_dword v[38:39], v100, off
.LBB123_22:
	s_or_b64 exec, exec, s[6:7]
	v_add3_u32 v8, v2, s11, 8
	v_cmp_gt_u32_e64 s[6:7], s8, v8
	s_and_b64 exec, exec, s[6:7]
	s_cbranch_execz .LBB123_64
; %bb.23:
	v_mul_lo_u32 v8, v8, s10
	s_and_saveexec_b64 s[6:7], vcc
	s_cbranch_execnz .LBB123_65
; %bb.24:
	s_or_b64 exec, exec, s[6:7]
	s_and_saveexec_b64 s[6:7], s[0:1]
	s_cbranch_execnz .LBB123_66
.LBB123_25:
	s_or_b64 exec, exec, s[6:7]
	s_and_saveexec_b64 s[6:7], s[2:3]
	s_cbranch_execnz .LBB123_67
.LBB123_26:
	s_or_b64 exec, exec, s[6:7]
	s_and_saveexec_b64 s[6:7], s[4:5]
	s_cbranch_execz .LBB123_28
.LBB123_27:
	v_add_u32_e32 v38, v8, v6
	v_mov_b32_e32 v39, 0
	s_waitcnt lgkmcnt(0)
	v_lshl_add_u64 v[38:39], v[38:39], 2, s[12:13]
	global_store_dword v[38:39], v88, off
.LBB123_28:
	s_or_b64 exec, exec, s[6:7]
	v_add3_u32 v8, v2, s11, 16
	v_cmp_gt_u32_e64 s[6:7], s8, v8
	s_and_b64 exec, exec, s[6:7]
	s_cbranch_execz .LBB123_64
; %bb.29:
	v_mul_lo_u32 v8, v8, s10
	s_and_saveexec_b64 s[6:7], vcc
	s_cbranch_execnz .LBB123_68
; %bb.30:
	s_or_b64 exec, exec, s[6:7]
	s_and_saveexec_b64 s[6:7], s[0:1]
	s_cbranch_execnz .LBB123_69
.LBB123_31:
	s_or_b64 exec, exec, s[6:7]
	s_and_saveexec_b64 s[6:7], s[2:3]
	s_cbranch_execnz .LBB123_70
.LBB123_32:
	s_or_b64 exec, exec, s[6:7]
	s_and_saveexec_b64 s[6:7], s[4:5]
	s_cbranch_execz .LBB123_34
.LBB123_33:
	v_add_u32_e32 v38, v8, v6
	v_mov_b32_e32 v39, 0
	s_waitcnt lgkmcnt(0)
	v_lshl_add_u64 v[38:39], v[38:39], 2, s[12:13]
	global_store_dword v[38:39], v49, off
.LBB123_34:
	s_or_b64 exec, exec, s[6:7]
	v_add3_u32 v8, v2, s11, 24
	v_cmp_gt_u32_e64 s[6:7], s8, v8
	s_and_b64 exec, exec, s[6:7]
	s_cbranch_execz .LBB123_64
; %bb.35:
	v_mul_lo_u32 v8, v8, s10
	s_and_saveexec_b64 s[6:7], vcc
	s_cbranch_execnz .LBB123_71
; %bb.36:
	s_or_b64 exec, exec, s[6:7]
	s_and_saveexec_b64 s[6:7], s[0:1]
	s_cbranch_execnz .LBB123_72
.LBB123_37:
	s_or_b64 exec, exec, s[6:7]
	s_and_saveexec_b64 s[6:7], s[2:3]
	s_cbranch_execnz .LBB123_73
.LBB123_38:
	s_or_b64 exec, exec, s[6:7]
	s_and_saveexec_b64 s[6:7], s[4:5]
	s_cbranch_execz .LBB123_40
.LBB123_39:
	v_add_u32_e32 v36, v8, v6
	v_mov_b32_e32 v37, 0
	s_waitcnt lgkmcnt(0)
	v_lshl_add_u64 v[36:37], v[36:37], 2, s[12:13]
	global_store_dword v[36:37], v35, off
.LBB123_40:
	s_or_b64 exec, exec, s[6:7]
	v_add3_u32 v8, v2, s11, 32
	v_cmp_gt_u32_e64 s[6:7], s8, v8
	s_and_b64 exec, exec, s[6:7]
	s_cbranch_execz .LBB123_64
; %bb.41:
	v_mul_lo_u32 v8, v8, s10
	s_and_saveexec_b64 s[6:7], vcc
	s_cbranch_execnz .LBB123_74
; %bb.42:
	s_or_b64 exec, exec, s[6:7]
	s_and_saveexec_b64 s[6:7], s[0:1]
	s_cbranch_execnz .LBB123_75
.LBB123_43:
	s_or_b64 exec, exec, s[6:7]
	s_and_saveexec_b64 s[6:7], s[2:3]
	s_cbranch_execnz .LBB123_76
.LBB123_44:
	s_or_b64 exec, exec, s[6:7]
	s_and_saveexec_b64 s[6:7], s[4:5]
	s_cbranch_execz .LBB123_46
.LBB123_45:
	v_add_u32_e32 v28, v8, v6
	v_mov_b32_e32 v29, 0
	s_waitcnt lgkmcnt(0)
	v_lshl_add_u64 v[28:29], v[28:29], 2, s[12:13]
	global_store_dword v[28:29], v27, off
.LBB123_46:
	s_or_b64 exec, exec, s[6:7]
	v_add3_u32 v8, v2, s11, 40
	v_cmp_gt_u32_e64 s[6:7], s8, v8
	s_and_b64 exec, exec, s[6:7]
	s_cbranch_execz .LBB123_64
; %bb.47:
	v_mul_lo_u32 v8, v8, s10
	s_and_saveexec_b64 s[6:7], vcc
	s_cbranch_execnz .LBB123_77
; %bb.48:
	s_or_b64 exec, exec, s[6:7]
	s_and_saveexec_b64 s[6:7], s[0:1]
	s_cbranch_execnz .LBB123_78
.LBB123_49:
	s_or_b64 exec, exec, s[6:7]
	s_and_saveexec_b64 s[6:7], s[2:3]
	s_cbranch_execnz .LBB123_79
.LBB123_50:
	s_or_b64 exec, exec, s[6:7]
	s_and_saveexec_b64 s[6:7], s[4:5]
	s_cbranch_execz .LBB123_52
.LBB123_51:
	v_add_u32_e32 v20, v8, v6
	v_mov_b32_e32 v21, 0
	s_waitcnt lgkmcnt(0)
	v_lshl_add_u64 v[20:21], v[20:21], 2, s[12:13]
	global_store_dword v[20:21], v19, off
.LBB123_52:
	s_or_b64 exec, exec, s[6:7]
	v_add3_u32 v8, v2, s11, 48
	v_cmp_gt_u32_e64 s[6:7], s8, v8
	s_and_b64 exec, exec, s[6:7]
	s_cbranch_execz .LBB123_64
; %bb.53:
	v_mul_lo_u32 v8, v8, s10
	s_and_saveexec_b64 s[6:7], vcc
	s_cbranch_execnz .LBB123_80
; %bb.54:
	s_or_b64 exec, exec, s[6:7]
	s_and_saveexec_b64 s[6:7], s[0:1]
	s_cbranch_execnz .LBB123_81
.LBB123_55:
	s_or_b64 exec, exec, s[6:7]
	s_and_saveexec_b64 s[6:7], s[2:3]
	s_cbranch_execnz .LBB123_82
.LBB123_56:
	s_or_b64 exec, exec, s[6:7]
	s_and_saveexec_b64 s[6:7], s[4:5]
	s_cbranch_execz .LBB123_58
.LBB123_57:
	v_add_u32_e32 v12, v8, v6
	v_mov_b32_e32 v13, 0
	s_waitcnt lgkmcnt(0)
	v_lshl_add_u64 v[12:13], v[12:13], 2, s[12:13]
	global_store_dword v[12:13], v11, off
.LBB123_58:
	s_or_b64 exec, exec, s[6:7]
	v_add3_u32 v2, v2, s11, 56
	v_cmp_gt_u32_e64 s[6:7], s8, v2
	s_and_b64 exec, exec, s[6:7]
	s_cbranch_execz .LBB123_64
; %bb.59:
	v_mul_lo_u32 v2, v2, s10
	s_and_saveexec_b64 s[6:7], vcc
	s_cbranch_execnz .LBB123_83
; %bb.60:
	s_or_b64 exec, exec, s[6:7]
	s_and_saveexec_b64 s[6:7], s[0:1]
	s_cbranch_execnz .LBB123_84
.LBB123_61:
	s_or_b64 exec, exec, s[6:7]
	s_and_saveexec_b64 s[0:1], s[2:3]
	s_cbranch_execnz .LBB123_85
.LBB123_62:
	s_or_b64 exec, exec, s[0:1]
	s_and_b64 exec, exec, s[4:5]
	s_cbranch_execz .LBB123_64
.LBB123_63:
	v_add_u32_e32 v2, v2, v6
	v_mov_b32_e32 v3, 0
	s_waitcnt lgkmcnt(0)
	v_lshl_add_u64 v[2:3], v[2:3], 2, s[12:13]
	global_store_dword v[2:3], v1, off
.LBB123_64:
	s_endpgm
.LBB123_65:
	v_add_u32_e32 v38, v8, v0
	v_mov_b32_e32 v39, 0
	s_waitcnt lgkmcnt(0)
	v_lshl_add_u64 v[38:39], v[38:39], 2, s[12:13]
	global_store_dword v[38:39], v92, off
	s_or_b64 exec, exec, s[6:7]
	s_and_saveexec_b64 s[6:7], s[0:1]
	s_cbranch_execz .LBB123_25
.LBB123_66:
	v_add_u32_e32 v38, v8, v3
	v_mov_b32_e32 v39, 0
	s_waitcnt lgkmcnt(0)
	v_lshl_add_u64 v[38:39], v[38:39], 2, s[12:13]
	global_store_dword v[38:39], v90, off
	s_or_b64 exec, exec, s[6:7]
	s_and_saveexec_b64 s[6:7], s[2:3]
	s_cbranch_execz .LBB123_26
.LBB123_67:
	v_add_u32_e32 v38, v8, v4
	v_mov_b32_e32 v39, 0
	s_waitcnt lgkmcnt(0)
	v_lshl_add_u64 v[38:39], v[38:39], 2, s[12:13]
	global_store_dword v[38:39], v89, off
	s_or_b64 exec, exec, s[6:7]
	s_and_saveexec_b64 s[6:7], s[4:5]
	s_cbranch_execnz .LBB123_27
	s_branch .LBB123_28
.LBB123_68:
	v_add_u32_e32 v38, v8, v0
	v_mov_b32_e32 v39, 0
	s_waitcnt lgkmcnt(0)
	v_lshl_add_u64 v[38:39], v[38:39], 2, s[12:13]
	global_store_dword v[38:39], v86, off
	s_or_b64 exec, exec, s[6:7]
	s_and_saveexec_b64 s[6:7], s[0:1]
	s_cbranch_execz .LBB123_31
.LBB123_69:
	v_add_u32_e32 v38, v8, v3
	v_mov_b32_e32 v39, 0
	s_waitcnt lgkmcnt(0)
	v_lshl_add_u64 v[38:39], v[38:39], 2, s[12:13]
	global_store_dword v[38:39], v85, off
	s_or_b64 exec, exec, s[6:7]
	s_and_saveexec_b64 s[6:7], s[2:3]
	s_cbranch_execz .LBB123_32
.LBB123_70:
	v_add_u32_e32 v38, v8, v4
	v_mov_b32_e32 v39, 0
	s_waitcnt lgkmcnt(0)
	v_lshl_add_u64 v[38:39], v[38:39], 2, s[12:13]
	global_store_dword v[38:39], v84, off
	s_or_b64 exec, exec, s[6:7]
	s_and_saveexec_b64 s[6:7], s[4:5]
	s_cbranch_execnz .LBB123_33
	s_branch .LBB123_34
.LBB123_71:
	v_add_u32_e32 v38, v8, v0
	v_mov_b32_e32 v39, 0
	s_waitcnt lgkmcnt(0)
	v_lshl_add_u64 v[38:39], v[38:39], 2, s[12:13]
	global_store_dword v[38:39], v45, off
	s_or_b64 exec, exec, s[6:7]
	s_and_saveexec_b64 s[6:7], s[0:1]
	s_cbranch_execz .LBB123_37
.LBB123_72:
	v_add_u32_e32 v38, v8, v3
	v_mov_b32_e32 v39, 0
	s_waitcnt lgkmcnt(0)
	v_lshl_add_u64 v[38:39], v[38:39], 2, s[12:13]
	global_store_dword v[38:39], v41, off
	s_or_b64 exec, exec, s[6:7]
	s_and_saveexec_b64 s[6:7], s[2:3]
	s_cbranch_execz .LBB123_38
.LBB123_73:
	v_add_u32_e32 v38, v8, v4
	v_mov_b32_e32 v39, 0
	s_waitcnt lgkmcnt(0)
	v_lshl_add_u64 v[38:39], v[38:39], 2, s[12:13]
	global_store_dword v[38:39], v37, off
	s_or_b64 exec, exec, s[6:7]
	s_and_saveexec_b64 s[6:7], s[4:5]
	s_cbranch_execnz .LBB123_39
	s_branch .LBB123_40
.LBB123_74:
	v_add_u32_e32 v34, v8, v0
	v_mov_b32_e32 v35, 0
	s_waitcnt lgkmcnt(0)
	v_lshl_add_u64 v[34:35], v[34:35], 2, s[12:13]
	global_store_dword v[34:35], v33, off
	s_or_b64 exec, exec, s[6:7]
	s_and_saveexec_b64 s[6:7], s[0:1]
	s_cbranch_execz .LBB123_43
.LBB123_75:
	v_add_u32_e32 v32, v8, v3
	v_mov_b32_e32 v33, 0
	s_waitcnt lgkmcnt(0)
	v_lshl_add_u64 v[32:33], v[32:33], 2, s[12:13]
	global_store_dword v[32:33], v31, off
	s_or_b64 exec, exec, s[6:7]
	s_and_saveexec_b64 s[6:7], s[2:3]
	s_cbranch_execz .LBB123_44
.LBB123_76:
	v_add_u32_e32 v30, v8, v4
	v_mov_b32_e32 v31, 0
	s_waitcnt lgkmcnt(0)
	v_lshl_add_u64 v[30:31], v[30:31], 2, s[12:13]
	global_store_dword v[30:31], v29, off
	s_or_b64 exec, exec, s[6:7]
	s_and_saveexec_b64 s[6:7], s[4:5]
	s_cbranch_execnz .LBB123_45
	s_branch .LBB123_46
.LBB123_77:
	v_add_u32_e32 v26, v8, v0
	v_mov_b32_e32 v27, 0
	s_waitcnt lgkmcnt(0)
	v_lshl_add_u64 v[26:27], v[26:27], 2, s[12:13]
	global_store_dword v[26:27], v25, off
	s_or_b64 exec, exec, s[6:7]
	s_and_saveexec_b64 s[6:7], s[0:1]
	s_cbranch_execz .LBB123_49
.LBB123_78:
	v_add_u32_e32 v24, v8, v3
	v_mov_b32_e32 v25, 0
	s_waitcnt lgkmcnt(0)
	v_lshl_add_u64 v[24:25], v[24:25], 2, s[12:13]
	global_store_dword v[24:25], v23, off
	s_or_b64 exec, exec, s[6:7]
	s_and_saveexec_b64 s[6:7], s[2:3]
	s_cbranch_execz .LBB123_50
.LBB123_79:
	v_add_u32_e32 v22, v8, v4
	v_mov_b32_e32 v23, 0
	s_waitcnt lgkmcnt(0)
	v_lshl_add_u64 v[22:23], v[22:23], 2, s[12:13]
	global_store_dword v[22:23], v21, off
	s_or_b64 exec, exec, s[6:7]
	s_and_saveexec_b64 s[6:7], s[4:5]
	s_cbranch_execnz .LBB123_51
	s_branch .LBB123_52
.LBB123_80:
	v_add_u32_e32 v18, v8, v0
	v_mov_b32_e32 v19, 0
	s_waitcnt lgkmcnt(0)
	v_lshl_add_u64 v[18:19], v[18:19], 2, s[12:13]
	global_store_dword v[18:19], v17, off
	s_or_b64 exec, exec, s[6:7]
	s_and_saveexec_b64 s[6:7], s[0:1]
	s_cbranch_execz .LBB123_55
.LBB123_81:
	v_add_u32_e32 v16, v8, v3
	v_mov_b32_e32 v17, 0
	s_waitcnt lgkmcnt(0)
	v_lshl_add_u64 v[16:17], v[16:17], 2, s[12:13]
	global_store_dword v[16:17], v15, off
	s_or_b64 exec, exec, s[6:7]
	s_and_saveexec_b64 s[6:7], s[2:3]
	s_cbranch_execz .LBB123_56
.LBB123_82:
	v_add_u32_e32 v14, v8, v4
	v_mov_b32_e32 v15, 0
	s_waitcnt lgkmcnt(0)
	v_lshl_add_u64 v[14:15], v[14:15], 2, s[12:13]
	global_store_dword v[14:15], v13, off
	s_or_b64 exec, exec, s[6:7]
	s_and_saveexec_b64 s[6:7], s[4:5]
	s_cbranch_execnz .LBB123_57
	s_branch .LBB123_58
.LBB123_83:
	v_add_u32_e32 v10, v2, v0
	v_mov_b32_e32 v11, 0
	s_waitcnt lgkmcnt(0)
	v_lshl_add_u64 v[10:11], v[10:11], 2, s[12:13]
	global_store_dword v[10:11], v9, off
	s_or_b64 exec, exec, s[6:7]
	s_and_saveexec_b64 s[6:7], s[0:1]
	s_cbranch_execz .LBB123_61
.LBB123_84:
	v_add_u32_e32 v8, v2, v3
	v_mov_b32_e32 v9, 0
	s_waitcnt lgkmcnt(0)
	v_lshl_add_u64 v[8:9], v[8:9], 2, s[12:13]
	global_store_dword v[8:9], v7, off
	s_or_b64 exec, exec, s[6:7]
	s_and_saveexec_b64 s[0:1], s[2:3]
	s_cbranch_execz .LBB123_62
.LBB123_85:
	v_add_u32_e32 v8, v2, v4
	v_mov_b32_e32 v9, 0
	s_waitcnt lgkmcnt(0)
	v_lshl_add_u64 v[8:9], v[8:9], 2, s[12:13]
	global_store_dword v[8:9], v5, off
	s_or_b64 exec, exec, s[0:1]
	s_and_b64 exec, exec, s[4:5]
	s_cbranch_execnz .LBB123_63
	s_branch .LBB123_64
	.section	.rodata,"a",@progbits
	.p2align	6, 0x0
	.amdhsa_kernel _ZL12mul_mat_q5_1IfLb0EEvPKvS1_PT_iiiii
		.amdhsa_group_segment_fixed_size 46720
		.amdhsa_private_segment_fixed_size 0
		.amdhsa_kernarg_size 44
		.amdhsa_user_sgpr_count 2
		.amdhsa_user_sgpr_dispatch_ptr 0
		.amdhsa_user_sgpr_queue_ptr 0
		.amdhsa_user_sgpr_kernarg_segment_ptr 1
		.amdhsa_user_sgpr_dispatch_id 0
		.amdhsa_user_sgpr_kernarg_preload_length 0
		.amdhsa_user_sgpr_kernarg_preload_offset 0
		.amdhsa_user_sgpr_private_segment_size 0
		.amdhsa_uses_dynamic_stack 0
		.amdhsa_enable_private_segment 0
		.amdhsa_system_sgpr_workgroup_id_x 1
		.amdhsa_system_sgpr_workgroup_id_y 1
		.amdhsa_system_sgpr_workgroup_id_z 0
		.amdhsa_system_sgpr_workgroup_info 0
		.amdhsa_system_vgpr_workitem_id 1
		.amdhsa_next_free_vgpr 169
		.amdhsa_next_free_sgpr 17
		.amdhsa_accum_offset 172
		.amdhsa_reserve_vcc 1
		.amdhsa_float_round_mode_32 0
		.amdhsa_float_round_mode_16_64 0
		.amdhsa_float_denorm_mode_32 3
		.amdhsa_float_denorm_mode_16_64 3
		.amdhsa_dx10_clamp 1
		.amdhsa_ieee_mode 1
		.amdhsa_fp16_overflow 0
		.amdhsa_tg_split 0
		.amdhsa_exception_fp_ieee_invalid_op 0
		.amdhsa_exception_fp_denorm_src 0
		.amdhsa_exception_fp_ieee_div_zero 0
		.amdhsa_exception_fp_ieee_overflow 0
		.amdhsa_exception_fp_ieee_underflow 0
		.amdhsa_exception_fp_ieee_inexact 0
		.amdhsa_exception_int_div_zero 0
	.end_amdhsa_kernel
	.section	.text._ZL12mul_mat_q5_1IfLb0EEvPKvS1_PT_iiiii,"axG",@progbits,_ZL12mul_mat_q5_1IfLb0EEvPKvS1_PT_iiiii,comdat
.Lfunc_end123:
	.size	_ZL12mul_mat_q5_1IfLb0EEvPKvS1_PT_iiiii, .Lfunc_end123-_ZL12mul_mat_q5_1IfLb0EEvPKvS1_PT_iiiii
                                        ; -- End function
	.section	.AMDGPU.csdata,"",@progbits
; Kernel info:
; codeLenInByte = 12392
; NumSgprs: 23
; NumVgprs: 169
; NumAgprs: 0
; TotalNumVgprs: 169
; ScratchSize: 0
; MemoryBound: 0
; FloatMode: 240
; IeeeMode: 1
; LDSByteSize: 46720 bytes/workgroup (compile time only)
; SGPRBlocks: 2
; VGPRBlocks: 21
; NumSGPRsForWavesPerEU: 23
; NumVGPRsForWavesPerEU: 169
; AccumOffset: 172
; Occupancy: 1
; WaveLimiterHint : 0
; COMPUTE_PGM_RSRC2:SCRATCH_EN: 0
; COMPUTE_PGM_RSRC2:USER_SGPR: 2
; COMPUTE_PGM_RSRC2:TRAP_HANDLER: 0
; COMPUTE_PGM_RSRC2:TGID_X_EN: 1
; COMPUTE_PGM_RSRC2:TGID_Y_EN: 1
; COMPUTE_PGM_RSRC2:TGID_Z_EN: 0
; COMPUTE_PGM_RSRC2:TIDIG_COMP_CNT: 1
; COMPUTE_PGM_RSRC3_GFX90A:ACCUM_OFFSET: 42
; COMPUTE_PGM_RSRC3_GFX90A:TG_SPLIT: 0
	.section	.text._ZL12mul_mat_q5_1IfLb1EEvPKvS1_PT_iiiii,"axG",@progbits,_ZL12mul_mat_q5_1IfLb1EEvPKvS1_PT_iiiii,comdat
	.globl	_ZL12mul_mat_q5_1IfLb1EEvPKvS1_PT_iiiii ; -- Begin function _ZL12mul_mat_q5_1IfLb1EEvPKvS1_PT_iiiii
	.p2align	8
	.type	_ZL12mul_mat_q5_1IfLb1EEvPKvS1_PT_iiiii,@function
_ZL12mul_mat_q5_1IfLb1EEvPKvS1_PT_iiiii: ; @_ZL12mul_mat_q5_1IfLb1EEvPKvS1_PT_iiiii
; %bb.0:
	s_load_dwordx4 s[8:11], s[0:1], 0x18
	s_load_dword s14, s[0:1], 0x28
	s_lshl_b32 s15, s3, 6
	v_bfe_u32 v37, v0, 10, 10
	s_waitcnt lgkmcnt(0)
	s_cmp_gt_i32 s8, 31
	s_cbranch_scc1 .LBB124_2
; %bb.1:
	v_bfe_u32 v2, v0, 10, 10
	v_and_b32_e32 v33, 0x3ff, v0
	v_add_u32_e32 v53, s15, v2
	s_mov_b64 s[4:5], 0
	s_mov_b32 s3, 0
	s_branch .LBB124_3
.LBB124_2:
	s_mov_b64 s[4:5], -1
                                        ; implicit-def: $sgpr3
                                        ; implicit-def: $vgpr2
                                        ; implicit-def: $vgpr33
                                        ; implicit-def: $vgpr53
.LBB124_3:
	s_load_dwordx2 s[12:13], s[0:1], 0x10
	s_lshl_b32 s6, s2, 7
	s_andn2_b64 vcc, exec, s[4:5]
	v_mov_b32_e32 v1, s3
	v_mov_b32_e32 v11, s3
	;; [unrolled: 1-line block ×32, first 2 shown]
	s_cbranch_vccnz .LBB124_13
; %bb.4:
	s_ashr_i32 s4, s8, 31
	s_load_dwordx4 s[0:3], s[0:1], 0x0
	s_lshr_b32 s4, s4, 27
	s_ashr_i32 s5, s11, 31
	s_add_i32 s4, s8, s4
	s_lshr_b32 s5, s5, 27
	s_ashr_i32 s4, s4, 5
	s_add_i32 s5, s11, s5
	s_ashr_i32 s11, s5, 5
	s_mul_i32 s5, s4, s6
	s_mul_hi_i32 s7, s5, 24
	s_mul_i32 s5, s5, 24
	s_waitcnt lgkmcnt(0)
	s_add_u32 s5, s0, s5
	s_addc_u32 s7, s1, s7
	s_not_b32 s0, s6
	s_add_i32 s1, s0, s9
	v_and_b32_e32 v33, 0x3ff, v0
	v_min_i32_e32 v1, s1, v37
	v_lshlrev_b32_e32 v66, 3, v33
	s_movk_i32 s0, 0x104
	v_mul_lo_u32 v4, v1, s4
	v_mad_u64_u32 v[6:7], s[16:17], v1, s0, v[66:67]
	v_add_u32_e32 v1, 8, v37
	v_min_i32_e32 v5, s1, v1
	v_mul_lo_u32 v8, v5, s4
	v_mad_u64_u32 v[10:11], s[16:17], v5, s0, v[66:67]
	v_add_u32_e32 v5, 16, v37
	v_min_i32_e32 v7, s1, v5
	v_mul_lo_u32 v12, v7, s4
	v_mad_u64_u32 v[14:15], s[16:17], v7, s0, v[66:67]
	v_add_u32_e32 v7, 24, v37
	v_min_i32_e32 v9, s1, v7
	v_mul_lo_u32 v16, v9, s4
	v_mad_u64_u32 v[18:19], s[16:17], v9, s0, v[66:67]
	v_add_u32_e32 v9, 32, v37
	v_min_i32_e32 v11, s1, v9
	v_mul_lo_u32 v20, v11, s4
	v_mad_u64_u32 v[22:23], s[16:17], v11, s0, v[66:67]
	v_add_u32_e32 v11, 40, v37
	v_min_i32_e32 v13, s1, v11
	v_mul_lo_u32 v24, v13, s4
	v_mad_u64_u32 v[26:27], s[16:17], v13, s0, v[66:67]
	v_add_u32_e32 v13, 48, v37
	v_min_i32_e32 v15, s1, v13
	v_mul_lo_u32 v28, v15, s4
	v_mad_u64_u32 v[30:31], s[16:17], v15, s0, v[66:67]
	v_add_u32_e32 v15, 56, v37
	v_min_i32_e32 v17, s1, v15
	v_mul_lo_u32 v32, v17, s4
	v_mad_u64_u32 v[34:35], s[16:17], v17, s0, v[66:67]
	v_add_u32_e32 v17, 64, v37
	v_min_i32_e32 v17, s1, v17
	v_mul_lo_u32 v36, v17, s4
	v_mad_u64_u32 v[38:39], s[16:17], v17, s0, v[66:67]
	v_add_u32_e32 v17, 0x48, v37
	v_min_i32_e32 v17, s1, v17
	v_mul_lo_u32 v40, v17, s4
	v_mad_u64_u32 v[42:43], s[16:17], v17, s0, v[66:67]
	v_add_u32_e32 v17, 0x50, v37
	v_min_i32_e32 v17, s1, v17
	v_mul_lo_u32 v44, v17, s4
	v_mad_u64_u32 v[46:47], s[16:17], v17, s0, v[66:67]
	v_add_u32_e32 v17, 0x58, v37
	v_min_i32_e32 v17, s1, v17
	v_mul_lo_u32 v48, v17, s4
	v_mad_u64_u32 v[50:51], s[16:17], v17, s0, v[66:67]
	v_add_u32_e32 v17, 0x60, v37
	v_min_i32_e32 v17, s1, v17
	v_mul_lo_u32 v52, v17, s4
	v_mad_u64_u32 v[54:55], s[16:17], v17, s0, v[66:67]
	v_add_u32_e32 v17, 0x68, v37
	v_min_i32_e32 v17, s1, v17
	v_mul_lo_u32 v56, v17, s4
	v_mad_u64_u32 v[58:59], s[16:17], v17, s0, v[66:67]
	v_add_u32_e32 v17, 0x70, v37
	v_min_i32_e32 v17, s1, v17
	v_mul_lo_u32 v60, v17, s4
	v_mad_u64_u32 v[62:63], s[16:17], v17, s0, v[66:67]
	v_add_u32_e32 v17, 0x78, v37
	v_min_i32_e32 v17, s1, v17
	v_mad_u64_u32 v[66:67], s[16:17], v17, s0, v[66:67]
	v_lshrrev_b32_e32 v67, 3, v33
	v_mul_lo_u32 v64, v17, s4
	v_lshl_add_u32 v17, v37, 2, v67
	v_min_i32_e32 v19, s1, v17
	v_add_u32_e32 v25, 32, v17
	v_add_u32_e32 v29, 64, v17
	;; [unrolled: 1-line block ×3, first 2 shown]
	v_min_i32_e32 v25, s1, v25
	v_min_i32_e32 v29, s1, v29
	;; [unrolled: 1-line block ×3, first 2 shown]
	v_lshrrev_b32_e32 v0, 2, v33
	v_ashrrev_i32_e32 v21, 31, v19
	v_ashrrev_i32_e32 v27, 31, v25
	;; [unrolled: 1-line block ×4, first 2 shown]
	v_lshlrev_b32_e32 v39, 2, v33
	v_and_b32_e32 v80, 3, v33
	v_lshrrev_b32_e32 v21, 30, v21
	v_lshrrev_b32_e32 v27, 30, v27
	;; [unrolled: 1-line block ×4, first 2 shown]
	v_add_u32_e32 v53, s15, v37
	s_add_i32 s1, s10, -1
	v_and_b32_e32 v78, 28, v39
	v_lshl_add_u32 v39, v37, 3, v0
	v_lshlrev_b32_e32 v2, 2, v80
	v_and_b32_e32 v68, 7, v33
	v_add_u32_e32 v21, v19, v21
	v_add_u32_e32 v27, v25, v27
	;; [unrolled: 1-line block ×4, first 2 shown]
	v_cvt_f64_i32_e32 v[82:83], s1
	v_and_b32_e32 v39, 63, v39
	v_cvt_f64_u32_e32 v[84:85], v53
	v_and_b32_e32 v21, -4, v21
	v_lshlrev_b32_e32 v23, 2, v68
	s_mov_b32 s9, 0xa200
	v_and_b32_e32 v27, -4, v27
	v_and_b32_e32 v31, -4, v31
	v_and_b32_e32 v35, -4, v35
	v_or_b32_e32 v41, s15, v39
	v_lshl_or_b32 v39, v39, 4, v2
	v_min_f64 v[84:85], v[84:85], v[82:83]
	v_add3_u32 v21, v21, v23, s9
	v_add3_u32 v27, v27, v23, s9
	;; [unrolled: 1-line block ×4, first 2 shown]
	v_and_b32_e32 v35, 31, v33
	v_add_u32_e32 v75, 0xb280, v39
	v_cvt_i32_f64_e32 v39, v[84:85]
	v_min_i32_e32 v41, s1, v41
	v_mul_lo_u32 v77, s11, v39
	v_lshlrev_b32_e32 v35, 2, v35
	v_lshlrev_b32_e32 v39, 7, v37
	v_mad_u64_u32 v[80:81], s[16:17], v41, s11, v[80:81]
	v_or_b32_e32 v41, v39, v35
	v_add_u32_e32 v81, 0x8200, v41
	v_add_u32_e32 v41, 8, v53
	v_cvt_f64_u32_e32 v[84:85], v41
	v_lshl_or_b32 v1, v1, 7, v35
	v_min_f64 v[84:85], v[84:85], v[82:83]
	v_add_u32_e32 v117, 0x8200, v1
	v_add_u32_e32 v1, 16, v53
	v_cvt_i32_f64_e32 v41, v[84:85]
	v_cvt_f64_u32_e32 v[84:85], v1
	v_min_f64 v[84:85], v[84:85], v[82:83]
	v_cvt_i32_f64_e32 v1, v[84:85]
	v_mul_lo_u32 v118, s11, v1
	v_lshl_or_b32 v1, v5, 7, v35
	v_add_u32_e32 v119, 0x8200, v1
	v_add_u32_e32 v1, 24, v53
	v_cvt_f64_u32_e32 v[84:85], v1
	v_min_f64 v[84:85], v[84:85], v[82:83]
	v_cvt_i32_f64_e32 v1, v[84:85]
	v_mul_lo_u32 v120, s11, v1
	v_lshl_or_b32 v1, v7, 7, v35
	v_add_u32_e32 v121, 0x8200, v1
	v_add_u32_e32 v1, 32, v53
	;; [unrolled: 7-line block ×6, first 2 shown]
	v_add_u32_e32 v5, 64, v33
	v_add_u32_e32 v7, 0x60, v33
	v_lshlrev_b32_e32 v9, 5, v33
	v_lshrrev_b32_e32 v131, 3, v1
	v_and_b32_e32 v1, 0x1fc, v1
	v_mov_b32_e32 v3, 0
	v_and_b32_e32 v7, 0x1fc, v7
	v_and_b32_e32 v5, 0x1fc, v5
	v_add_u32_e32 v1, v9, v1
	v_and_b32_e32 v11, 0xfc, v33
	v_mul_lo_u32 v70, v19, s4
	v_lshlrev_b32_e32 v19, 5, v19
	v_mul_lo_u32 v72, v25, s4
	v_lshlrev_b32_e32 v25, 5, v25
	;; [unrolled: 2-line block ×4, first 2 shown]
	v_mov_b32_e32 v79, v3
	v_add_u32_e32 v7, v9, v7
	v_add_u32_e32 v5, v9, v5
	;; [unrolled: 1-line block ×4, first 2 shown]
	v_mov_b32_e32 v11, 0xb280
	v_add_u32_e32 v140, 0xa610, v1
	v_mov_b32_e32 v1, 0x80
	s_mov_b32 s8, 0
	v_lshl_add_u64 v[78:79], s[2:3], 0, v[78:79]
	v_mul_lo_u32 v116, s11, v41
	v_mul_u32_u24_e32 v130, 0x104, v33
	v_add_u32_e32 v132, 0xae00, v7
	v_add_u32_e32 v133, 0xaa00, v5
	;; [unrolled: 1-line block ×4, first 2 shown]
	v_lshl_add_u32 v137, v37, 4, v11
	v_add_u32_e32 v138, 0xae10, v7
	v_add_u32_e32 v139, 0xaa10, v5
	;; [unrolled: 1-line block ×3, first 2 shown]
	v_mad_u32_u24 v142, v33, s0, v1
	v_add_u32_e32 v143, v21, v19
	v_add_u32_e32 v144, v27, v25
	;; [unrolled: 1-line block ×4, first 2 shown]
	v_mov_b32_e32 v73, v3
	v_mov_b32_e32 v63, v3
	;; [unrolled: 1-line block ×32, first 2 shown]
	s_branch .LBB124_6
.LBB124_5:                              ;   in Loop: Header=BB124_6 Depth=1
	s_add_i32 s8, s8, 8
	s_cmp_ge_i32 s8, s4
	s_cbranch_scc1 .LBB124_12
.LBB124_6:                              ; =>This Loop Header: Depth=1
                                        ;     Child Loop BB124_7 Depth 2
                                        ;     Child Loop BB124_10 Depth 2
	s_mul_i32 s0, s8, 24
	s_mul_hi_u32 s1, s8, 24
	s_add_u32 s0, s5, s0
	s_addc_u32 s1, s7, s1
	v_mad_u64_u32 v[82:83], s[16:17], v0, 24, s[0:1]
	v_mad_i64_i32 v[84:85], s[16:17], v4, 24, v[82:83]
	v_mad_i64_i32 v[92:93], s[16:17], v16, 24, v[82:83]
	v_lshl_add_u64 v[86:87], v[84:85], 0, v[2:3]
	v_mad_i64_i32 v[88:89], s[16:17], v8, 24, v[82:83]
	v_mad_i64_i32 v[90:91], s[16:17], v12, 24, v[82:83]
	global_load_dword v100, v[92:93], off offset:4
	global_load_dword v101, v[90:91], off offset:4
	global_load_dword v102, v[88:89], off offset:4
	global_load_dword v103, v[84:85], off offset:4
	global_load_dword v104, v[86:87], off offset:8
	v_lshl_add_u64 v[84:85], v[88:89], 0, v[2:3]
	global_load_dword v105, v[84:85], off offset:8
	v_lshl_add_u64 v[84:85], v[90:91], 0, v[2:3]
	global_load_dword v106, v[84:85], off offset:8
	;; [unrolled: 2-line block ×3, first 2 shown]
	v_mad_i64_i32 v[90:91], s[16:17], v32, 24, v[82:83]
	v_mad_i64_i32 v[84:85], s[16:17], v20, 24, v[82:83]
	v_mad_i64_i32 v[86:87], s[16:17], v24, 24, v[82:83]
	v_mad_i64_i32 v[88:89], s[16:17], v28, 24, v[82:83]
	v_lshl_add_u64 v[98:99], v[90:91], 0, v[2:3]
	v_lshl_add_u64 v[92:93], v[84:85], 0, v[2:3]
	;; [unrolled: 1-line block ×4, first 2 shown]
	global_load_dword v108, v[98:99], off offset:8
	global_load_dword v109, v[90:91], off offset:4
	;; [unrolled: 1-line block ×6, first 2 shown]
	s_nop 0
	global_load_dword v86, v[92:93], off offset:8
	s_nop 0
	global_load_dword v84, v[84:85], off offset:4
	v_add_u32_e32 v147, s8, v80
	v_mov_b32_e32 v148, v137
	v_mov_b32_e32 v149, v136
	;; [unrolled: 1-line block ×7, first 2 shown]
	s_waitcnt vmcnt(13)
	v_ashrrev_i32_e32 v89, v2, v102
	s_waitcnt vmcnt(12)
	v_ashrrev_i32_e32 v85, v2, v103
	s_waitcnt vmcnt(11)
	v_lshrrev_b32_e32 v87, 4, v104
	v_lshlrev_b32_e32 v92, 4, v85
	v_lshlrev_b32_e32 v93, 11, v85
	v_lshrrev_b32_e32 v94, 12, v85
	v_lshrrev_b32_e32 v95, 5, v85
	v_and_b32_e32 v88, 0xf0f0f0f, v104
	v_and_b32_e32 v87, 0xf0f0f0f, v87
	v_lshlrev_b32_e32 v96, 2, v85
	v_lshlrev_b32_e32 v97, 18, v85
	;; [unrolled: 1-line block ×4, first 2 shown]
	v_and_b32_e32 v94, 16, v94
	v_and_b32_e32 v92, 16, v92
	;; [unrolled: 1-line block ×4, first 2 shown]
	s_waitcnt vmcnt(10)
	v_lshrrev_b32_e32 v90, 4, v105
	v_lshlrev_b32_e32 v99, 4, v89
	v_lshlrev_b32_e32 v102, 11, v89
	v_lshrrev_b32_e32 v103, 12, v89
	v_lshrrev_b32_e32 v104, 5, v89
	v_and_b32_e32 v97, 0x100000, v97
	v_and_b32_e32 v96, 0x100000, v96
	;; [unrolled: 1-line block ×4, first 2 shown]
	v_or3_b32 v88, v92, v88, v93
	v_or3_b32 v87, v94, v87, v95
	v_and_b32_e32 v91, 0xf0f0f0f, v105
	v_and_b32_e32 v90, 0xf0f0f0f, v90
	v_lshlrev_b32_e32 v105, 2, v89
	v_lshlrev_b32_e32 v114, 18, v89
	;; [unrolled: 1-line block ×4, first 2 shown]
	v_and_b32_e32 v103, 16, v103
	v_and_b32_e32 v99, 16, v99
	;; [unrolled: 1-line block ×4, first 2 shown]
	v_or3_b32 v87, v87, v96, v98
	v_or3_b32 v85, v88, v97, v85
	v_and_b32_e32 v114, 0x100000, v114
	v_and_b32_e32 v105, 0x100000, v105
	;; [unrolled: 1-line block ×3, first 2 shown]
	v_or3_b32 v91, v99, v91, v102
	v_or3_b32 v90, v103, v90, v104
	ds_write2_b32 v6, v85, v87 offset1:1
	v_and_b32_e32 v85, 0x10000000, v115
	v_or3_b32 v85, v90, v105, v85
	v_or3_b32 v87, v91, v114, v89
	ds_write2_b32 v10, v87, v85 offset1:1
	v_ashrrev_i32_e32 v85, v2, v101
	v_lshlrev_b32_e32 v87, 4, v85
	v_lshlrev_b32_e32 v88, 11, v85
	s_waitcnt vmcnt(9)
	v_lshrrev_b32_e32 v89, 4, v106
	v_lshrrev_b32_e32 v90, 12, v85
	v_lshrrev_b32_e32 v91, 5, v85
	v_and_b32_e32 v89, 0xf0f0f0f, v89
	v_and_b32_e32 v92, 0xf0f0f0f, v106
	;; [unrolled: 1-line block ×6, first 2 shown]
	v_or3_b32 v87, v87, v92, v88
	v_or3_b32 v88, v90, v89, v91
	v_lshlrev_b32_e32 v89, 2, v85
	v_lshlrev_b32_e32 v90, 18, v85
	v_lshlrev_b32_e32 v91, 9, v85
	v_lshlrev_b32_e32 v85, 25, v85
	v_and_b32_e32 v90, 0x100000, v90
	v_and_b32_e32 v89, 0x100000, v89
	v_and_b32_e32 v85, 0x10000000, v85
	v_and_b32_e32 v91, 0x10000000, v91
	v_or3_b32 v88, v88, v89, v91
	v_or3_b32 v85, v87, v90, v85
	ds_write2_b32 v14, v85, v88 offset1:1
	v_ashrrev_i32_e32 v85, v2, v100
	v_lshlrev_b32_e32 v87, 4, v85
	v_lshlrev_b32_e32 v88, 11, v85
	s_waitcnt vmcnt(8)
	v_lshrrev_b32_e32 v89, 4, v107
	v_lshrrev_b32_e32 v90, 12, v85
	;; [unrolled: 1-line block ×3, first 2 shown]
	v_and_b32_e32 v89, 0xf0f0f0f, v89
	v_and_b32_e32 v92, 0xf0f0f0f, v107
	;; [unrolled: 1-line block ×6, first 2 shown]
	v_or3_b32 v87, v87, v92, v88
	v_or3_b32 v88, v90, v89, v91
	v_lshlrev_b32_e32 v89, 2, v85
	v_lshlrev_b32_e32 v90, 18, v85
	;; [unrolled: 1-line block ×4, first 2 shown]
	v_and_b32_e32 v90, 0x100000, v90
	v_and_b32_e32 v89, 0x100000, v89
	;; [unrolled: 1-line block ×4, first 2 shown]
	v_or3_b32 v88, v88, v89, v91
	v_or3_b32 v85, v87, v90, v85
	s_waitcnt vmcnt(0)
	v_ashrrev_i32_e32 v84, v2, v84
	ds_write2_b32 v18, v85, v88 offset1:1
	v_lshlrev_b32_e32 v85, 4, v84
	v_lshlrev_b32_e32 v87, 11, v84
	v_lshrrev_b32_e32 v88, 4, v86
	v_and_b32_e32 v86, 0xf0f0f0f, v86
	v_and_b32_e32 v85, 16, v85
	;; [unrolled: 1-line block ×3, first 2 shown]
	v_lshrrev_b32_e32 v89, 12, v84
	v_lshrrev_b32_e32 v90, 5, v84
	v_or3_b32 v100, v85, v86, v87
	v_lshlrev_b32_e32 v85, 2, v84
	v_lshlrev_b32_e32 v86, 18, v84
	;; [unrolled: 1-line block ×4, first 2 shown]
	v_and_b32_e32 v88, 0xf0f0f0f, v88
	v_and_b32_e32 v89, 16, v89
	;; [unrolled: 1-line block ×5, first 2 shown]
	v_mad_i64_i32 v[84:85], s[16:17], v36, 24, v[82:83]
	v_mad_i64_i32 v[96:97], s[16:17], v48, 24, v[82:83]
	v_or3_b32 v101, v89, v88, v90
	v_and_b32_e32 v102, 0x100000, v86
	v_lshl_add_u64 v[86:87], v[84:85], 0, v[2:3]
	v_mad_i64_i32 v[88:89], s[16:17], v40, 24, v[82:83]
	v_mad_i64_i32 v[92:93], s[16:17], v44, 24, v[82:83]
	v_lshl_add_u64 v[98:99], v[96:97], 0, v[2:3]
	v_lshl_add_u64 v[90:91], v[88:89], 0, v[2:3]
	;; [unrolled: 1-line block ×3, first 2 shown]
	global_load_dword v98, v[98:99], off offset:8
	s_nop 0
	global_load_dword v99, v[96:97], off offset:4
	global_load_dword v106, v[94:95], off offset:8
	;; [unrolled: 1-line block ×5, first 2 shown]
	s_nop 0
	global_load_dword v86, v[86:87], off offset:8
	s_nop 0
	global_load_dword v84, v[84:85], off offset:4
	v_and_b32_e32 v85, 0x10000000, v104
	v_or3_b32 v85, v101, v103, v85
	v_or3_b32 v87, v100, v102, v105
	ds_write2_b32 v22, v87, v85 offset1:1
	v_ashrrev_i32_e32 v85, v2, v113
	v_lshlrev_b32_e32 v87, 4, v85
	v_lshlrev_b32_e32 v88, 11, v85
	v_lshrrev_b32_e32 v89, 4, v112
	v_lshrrev_b32_e32 v90, 12, v85
	v_lshrrev_b32_e32 v91, 5, v85
	v_and_b32_e32 v89, 0xf0f0f0f, v89
	v_and_b32_e32 v92, 0xf0f0f0f, v112
	v_and_b32_e32 v90, 16, v90
	v_and_b32_e32 v87, 16, v87
	v_and_b32_e32 v91, 0x1000, v91
	v_and_b32_e32 v88, 0x1000, v88
	v_or3_b32 v87, v87, v92, v88
	v_or3_b32 v88, v90, v89, v91
	v_lshlrev_b32_e32 v89, 2, v85
	v_lshlrev_b32_e32 v90, 18, v85
	v_lshlrev_b32_e32 v91, 9, v85
	v_lshlrev_b32_e32 v85, 25, v85
	v_and_b32_e32 v90, 0x100000, v90
	v_and_b32_e32 v89, 0x100000, v89
	v_and_b32_e32 v85, 0x10000000, v85
	v_and_b32_e32 v91, 0x10000000, v91
	v_or3_b32 v88, v88, v89, v91
	v_or3_b32 v85, v87, v90, v85
	ds_write2_b32 v26, v85, v88 offset1:1
	v_ashrrev_i32_e32 v85, v2, v111
	v_lshlrev_b32_e32 v87, 4, v85
	v_lshlrev_b32_e32 v88, 11, v85
	v_lshrrev_b32_e32 v89, 4, v110
	v_lshrrev_b32_e32 v90, 12, v85
	v_lshrrev_b32_e32 v91, 5, v85
	v_and_b32_e32 v89, 0xf0f0f0f, v89
	v_and_b32_e32 v92, 0xf0f0f0f, v110
	v_and_b32_e32 v90, 16, v90
	v_and_b32_e32 v87, 16, v87
	v_and_b32_e32 v91, 0x1000, v91
	v_and_b32_e32 v88, 0x1000, v88
	v_or3_b32 v87, v87, v92, v88
	v_or3_b32 v88, v90, v89, v91
	v_lshlrev_b32_e32 v89, 2, v85
	v_lshlrev_b32_e32 v90, 18, v85
	v_lshlrev_b32_e32 v91, 9, v85
	v_lshlrev_b32_e32 v85, 25, v85
	v_and_b32_e32 v90, 0x100000, v90
	v_and_b32_e32 v89, 0x100000, v89
	v_and_b32_e32 v85, 0x10000000, v85
	;; [unrolled: 25-line block ×3, first 2 shown]
	v_and_b32_e32 v91, 0x10000000, v91
	v_or3_b32 v88, v88, v89, v91
	v_or3_b32 v85, v87, v90, v85
	ds_write2_b32 v34, v85, v88 offset1:1
	s_waitcnt vmcnt(0)
	v_ashrrev_i32_e32 v84, v2, v84
	v_lshlrev_b32_e32 v85, 4, v84
	v_lshlrev_b32_e32 v87, 11, v84
	v_lshrrev_b32_e32 v88, 4, v86
	v_lshrrev_b32_e32 v89, 12, v84
	;; [unrolled: 1-line block ×3, first 2 shown]
	v_and_b32_e32 v86, 0xf0f0f0f, v86
	v_and_b32_e32 v85, 16, v85
	;; [unrolled: 1-line block ×6, first 2 shown]
	v_or3_b32 v100, v85, v86, v87
	v_lshlrev_b32_e32 v85, 2, v84
	v_lshlrev_b32_e32 v86, 18, v84
	;; [unrolled: 1-line block ×4, first 2 shown]
	v_or3_b32 v101, v89, v88, v90
	v_and_b32_e32 v103, 0x100000, v85
	v_and_b32_e32 v105, 0x10000000, v84
	v_mad_i64_i32 v[84:85], s[16:17], v52, 24, v[82:83]
	v_mad_i64_i32 v[88:89], s[16:17], v56, 24, v[82:83]
	;; [unrolled: 1-line block ×4, first 2 shown]
	v_and_b32_e32 v102, 0x100000, v86
	v_lshl_add_u64 v[86:87], v[84:85], 0, v[2:3]
	v_lshl_add_u64 v[96:97], v[82:83], 0, v[2:3]
	;; [unrolled: 1-line block ×4, first 2 shown]
	global_load_dword v108, v[96:97], off offset:8
	global_load_dword v109, v[82:83], off offset:4
	;; [unrolled: 1-line block ×4, first 2 shown]
	s_nop 0
	global_load_dword v82, v[90:91], off offset:8
	global_load_dword v83, v[88:89], off offset:4
	s_nop 0
	global_load_dword v86, v[86:87], off offset:8
	s_nop 0
	global_load_dword v84, v[84:85], off offset:4
	v_and_b32_e32 v85, 0x10000000, v104
	v_or3_b32 v85, v101, v103, v85
	v_or3_b32 v87, v100, v102, v105
	ds_write2_b32 v38, v87, v85 offset1:1
	v_ashrrev_i32_e32 v85, v2, v115
	v_lshlrev_b32_e32 v87, 4, v85
	v_lshlrev_b32_e32 v88, 11, v85
	v_lshrrev_b32_e32 v89, 4, v114
	v_lshrrev_b32_e32 v90, 12, v85
	v_lshrrev_b32_e32 v91, 5, v85
	v_and_b32_e32 v89, 0xf0f0f0f, v89
	v_and_b32_e32 v92, 0xf0f0f0f, v114
	v_and_b32_e32 v90, 16, v90
	v_and_b32_e32 v87, 16, v87
	v_and_b32_e32 v91, 0x1000, v91
	v_and_b32_e32 v88, 0x1000, v88
	v_or3_b32 v87, v87, v92, v88
	v_or3_b32 v88, v90, v89, v91
	v_lshlrev_b32_e32 v89, 2, v85
	v_lshlrev_b32_e32 v90, 18, v85
	v_lshlrev_b32_e32 v91, 9, v85
	v_lshlrev_b32_e32 v85, 25, v85
	v_and_b32_e32 v90, 0x100000, v90
	v_and_b32_e32 v89, 0x100000, v89
	v_and_b32_e32 v85, 0x10000000, v85
	v_and_b32_e32 v91, 0x10000000, v91
	v_or3_b32 v88, v88, v89, v91
	v_or3_b32 v85, v87, v90, v85
	ds_write2_b32 v42, v85, v88 offset1:1
	v_ashrrev_i32_e32 v85, v2, v107
	v_lshlrev_b32_e32 v87, 4, v85
	v_lshlrev_b32_e32 v88, 11, v85
	v_lshrrev_b32_e32 v89, 4, v106
	v_lshrrev_b32_e32 v90, 12, v85
	v_lshrrev_b32_e32 v91, 5, v85
	v_and_b32_e32 v89, 0xf0f0f0f, v89
	v_and_b32_e32 v92, 0xf0f0f0f, v106
	v_and_b32_e32 v90, 16, v90
	v_and_b32_e32 v87, 16, v87
	v_and_b32_e32 v91, 0x1000, v91
	v_and_b32_e32 v88, 0x1000, v88
	v_or3_b32 v87, v87, v92, v88
	v_or3_b32 v88, v90, v89, v91
	v_lshlrev_b32_e32 v89, 2, v85
	v_lshlrev_b32_e32 v90, 18, v85
	v_lshlrev_b32_e32 v91, 9, v85
	v_lshlrev_b32_e32 v85, 25, v85
	v_and_b32_e32 v90, 0x100000, v90
	v_and_b32_e32 v89, 0x100000, v89
	v_and_b32_e32 v85, 0x10000000, v85
	;; [unrolled: 25-line block ×3, first 2 shown]
	v_and_b32_e32 v91, 0x10000000, v91
	v_or3_b32 v88, v88, v89, v91
	v_or3_b32 v85, v87, v90, v85
	ds_write2_b32 v50, v85, v88 offset1:1
	s_waitcnt vmcnt(0)
	v_ashrrev_i32_e32 v84, v2, v84
	v_lshlrev_b32_e32 v85, 4, v84
	v_lshlrev_b32_e32 v87, 11, v84
	v_lshrrev_b32_e32 v88, 4, v86
	v_lshrrev_b32_e32 v89, 12, v84
	;; [unrolled: 1-line block ×3, first 2 shown]
	v_and_b32_e32 v88, 0xf0f0f0f, v88
	v_and_b32_e32 v86, 0xf0f0f0f, v86
	;; [unrolled: 1-line block ×6, first 2 shown]
	v_or3_b32 v85, v85, v86, v87
	v_or3_b32 v86, v89, v88, v90
	v_lshlrev_b32_e32 v87, 2, v84
	v_lshlrev_b32_e32 v88, 18, v84
	;; [unrolled: 1-line block ×4, first 2 shown]
	v_and_b32_e32 v88, 0x100000, v88
	v_and_b32_e32 v87, 0x100000, v87
	v_and_b32_e32 v84, 0x10000000, v84
	v_and_b32_e32 v89, 0x10000000, v89
	v_ashrrev_i32_e32 v98, v2, v83
	v_lshrrev_b32_e32 v83, 4, v82
	v_or3_b32 v86, v86, v87, v89
	v_or3_b32 v84, v85, v88, v84
	v_and_b32_e32 v103, 0xf0f0f0f, v83
	v_and_b32_e32 v104, 0xf0f0f0f, v82
	v_mad_u64_u32 v[82:83], s[0:1], v68, 24, s[0:1]
	ds_write2_b32 v54, v84, v86 offset1:1
	v_mad_i64_i32 v[84:85], s[0:1], v70, 24, v[82:83]
	v_mad_i64_i32 v[86:87], s[0:1], v72, 24, v[82:83]
	;; [unrolled: 1-line block ×4, first 2 shown]
	v_add_u32_e32 v96, s8, v67
	global_load_dword v105, v[84:85], off
	global_load_dword v106, v[86:87], off
	global_load_dword v107, v[88:89], off
	global_load_dword v112, v[82:83], off
	v_add_u32_e32 v82, v96, v77
	v_add_u32_e32 v84, v96, v116
	;; [unrolled: 1-line block ×5, first 2 shown]
	v_mad_i64_i32 v[82:83], s[0:1], v82, 36, v[78:79]
	v_mad_i64_i32 v[84:85], s[0:1], v84, 36, v[78:79]
	;; [unrolled: 1-line block ×5, first 2 shown]
	v_add_u32_e32 v92, v96, v124
	v_add_u32_e32 v94, v96, v126
	;; [unrolled: 1-line block ×3, first 2 shown]
	v_mad_i64_i32 v[92:93], s[0:1], v92, 36, v[78:79]
	v_mad_i64_i32 v[94:95], s[0:1], v94, 36, v[78:79]
	;; [unrolled: 1-line block ×3, first 2 shown]
	global_load_dword v113, v[82:83], off offset:4
	s_nop 0
	global_load_dword v84, v[84:85], off offset:4
	s_nop 0
	;; [unrolled: 2-line block ×3, first 2 shown]
	global_load_dword v86, v[88:89], off offset:4
	global_load_dword v87, v[90:91], off offset:4
	s_nop 0
	global_load_dword v88, v[92:93], off offset:4
	global_load_dword v89, v[94:95], off offset:4
	;; [unrolled: 1-line block ×3, first 2 shown]
	v_mad_u64_u32 v[82:83], s[0:1], v147, 36, s[2:3]
	global_load_dword v82, v[82:83], off
	v_lshlrev_b32_e32 v99, 4, v98
	v_lshlrev_b32_e32 v100, 11, v98
	v_lshrrev_b32_e32 v101, 12, v98
	v_lshrrev_b32_e32 v102, 5, v98
	v_and_b32_e32 v83, 16, v101
	v_and_b32_e32 v91, 16, v99
	;; [unrolled: 1-line block ×4, first 2 shown]
	v_or3_b32 v91, v91, v104, v93
	v_or3_b32 v83, v83, v103, v92
	v_lshlrev_b32_e32 v92, 2, v98
	v_lshlrev_b32_e32 v93, 18, v98
	;; [unrolled: 1-line block ×4, first 2 shown]
	v_and_b32_e32 v93, 0x100000, v93
	v_and_b32_e32 v92, 0x100000, v92
	;; [unrolled: 1-line block ×4, first 2 shown]
	v_or3_b32 v83, v83, v92, v94
	v_or3_b32 v91, v91, v93, v95
	ds_write2_b32 v58, v91, v83 offset1:1
	v_ashrrev_i32_e32 v83, v2, v111
	v_lshlrev_b32_e32 v91, 4, v83
	v_lshlrev_b32_e32 v92, 11, v83
	v_lshrrev_b32_e32 v93, 4, v110
	v_lshrrev_b32_e32 v94, 12, v83
	v_lshrrev_b32_e32 v95, 5, v83
	v_and_b32_e32 v93, 0xf0f0f0f, v93
	v_and_b32_e32 v96, 0xf0f0f0f, v110
	;; [unrolled: 1-line block ×6, first 2 shown]
	v_or3_b32 v91, v91, v96, v92
	v_or3_b32 v92, v94, v93, v95
	v_lshlrev_b32_e32 v93, 2, v83
	v_lshlrev_b32_e32 v94, 18, v83
	;; [unrolled: 1-line block ×4, first 2 shown]
	v_and_b32_e32 v94, 0x100000, v94
	v_and_b32_e32 v93, 0x100000, v93
	;; [unrolled: 1-line block ×4, first 2 shown]
	v_or3_b32 v92, v92, v93, v95
	v_or3_b32 v83, v91, v94, v83
	ds_write2_b32 v62, v83, v92 offset1:1
	v_ashrrev_i32_e32 v83, v2, v109
	v_lshlrev_b32_e32 v91, 4, v83
	v_lshlrev_b32_e32 v92, 11, v83
	v_lshrrev_b32_e32 v93, 4, v108
	v_lshrrev_b32_e32 v94, 12, v83
	;; [unrolled: 1-line block ×3, first 2 shown]
	v_and_b32_e32 v93, 0xf0f0f0f, v93
	v_and_b32_e32 v96, 0xf0f0f0f, v108
	;; [unrolled: 1-line block ×6, first 2 shown]
	v_or3_b32 v91, v91, v96, v92
	v_or3_b32 v92, v94, v93, v95
	v_lshlrev_b32_e32 v93, 2, v83
	v_lshlrev_b32_e32 v94, 18, v83
	;; [unrolled: 1-line block ×4, first 2 shown]
	v_and_b32_e32 v94, 0x100000, v94
	v_and_b32_e32 v93, 0x100000, v93
	;; [unrolled: 1-line block ×4, first 2 shown]
	v_or3_b32 v92, v92, v93, v95
	v_or3_b32 v83, v91, v94, v83
	s_mov_b32 s0, -4
	ds_write2_b32 v66, v83, v92 offset1:1
	s_waitcnt vmcnt(12)
	ds_write_b32 v143, v105
	s_waitcnt vmcnt(11)
	ds_write_b32 v144, v106
	;; [unrolled: 2-line block ×13, first 2 shown]
	s_waitcnt lgkmcnt(0)
	s_barrier
.LBB124_7:                              ;   Parent Loop BB124_6 Depth=1
                                        ; =>  This Inner Loop Header: Depth=2
	ds_read_b128 v[160:163], v149
	ds_read_b128 v[164:167], v149 offset:16
	ds_read2_b32 v[114:115], v148 offset1:32
	ds_read_b32 v155, v151
	ds_read2_b32 v[82:83], v150 offset1:1
	ds_read2_b32 v[86:87], v150 offset0:2 offset1:3
	ds_read2_b32 v[88:89], v150 offset0:4 offset1:5
	;; [unrolled: 1-line block ×3, first 2 shown]
	v_mov_b32_e32 v84, 0
	s_waitcnt lgkmcnt(3)
	v_dot4c_i32_i8_e32 v84, v82, v160
	v_dot4c_i32_i8_e32 v84, v83, v164
	s_waitcnt lgkmcnt(2)
	v_dot4c_i32_i8_e32 v84, v86, v161
	v_dot4c_i32_i8_e32 v84, v87, v165
	;; [unrolled: 3-line block ×4, first 2 shown]
	v_pk_mul_f16 v85, v114, v155
	v_add_u32_e32 v90, 0x2088, v150
	v_add_u32_e32 v95, 0x2090, v150
	v_cvt_f32_i32_e32 v84, v84
	v_mov_b32_e32 v94, 0
	v_add_u32_e32 v98, 0x4108, v150
	v_add_u32_e32 v102, 0x4110, v150
	v_fma_mix_f32 v84, v85, v84, v85 op_sel:[0,0,1] op_sel_hi:[1,0,1]
	v_mov_b32_e32 v104, 0
	v_add_f32_e32 v73, v73, v84
	v_add_u32_e32 v84, 0x2080, v150
	ds_read_b32 v156, v152
	ds_read2_b32 v[84:85], v84 offset1:1
	ds_read2_b32 v[90:91], v90 offset1:1
	;; [unrolled: 1-line block ×3, first 2 shown]
	v_add_u32_e32 v95, 0x2098, v150
	ds_read2_b32 v[100:101], v95 offset1:1
	s_waitcnt lgkmcnt(3)
	v_dot4c_i32_i8_e32 v94, v84, v160
	v_dot4c_i32_i8_e32 v94, v85, v164
	s_waitcnt lgkmcnt(2)
	v_dot4c_i32_i8_e32 v94, v90, v161
	v_dot4c_i32_i8_e32 v94, v91, v165
	;; [unrolled: 3-line block ×4, first 2 shown]
	v_pk_mul_f16 v95, v114, v156
	v_add_u32_e32 v105, 0x4118, v150
	v_add_u32_e32 v108, 0x6188, v150
	v_cvt_f32_i32_e32 v94, v94
	v_add_u32_e32 v110, 0x6190, v150
	v_mov_b32_e32 v159, 0
	v_add_u32_e32 v112, 0x6198, v150
	v_fma_mix_f32 v94, v95, v94, v95 op_sel:[0,0,1] op_sel_hi:[1,0,1]
	s_add_i32 s0, s0, 4
	v_add_f32_e32 v71, v71, v94
	v_add_u32_e32 v94, 0x4100, v150
	ds_read_b32 v157, v153
	ds_read2_b32 v[94:95], v94 offset1:1
	ds_read2_b32 v[98:99], v98 offset1:1
	;; [unrolled: 1-line block ×4, first 2 shown]
	s_waitcnt lgkmcnt(4)
	v_pk_mul_f16 v105, v114, v157
	s_waitcnt lgkmcnt(3)
	v_dot4c_i32_i8_e32 v104, v94, v160
	v_dot4c_i32_i8_e32 v104, v95, v164
	s_waitcnt lgkmcnt(2)
	v_dot4c_i32_i8_e32 v104, v98, v161
	v_dot4c_i32_i8_e32 v104, v99, v165
	;; [unrolled: 3-line block ×4, first 2 shown]
	v_add_u32_e32 v153, 4, v153
	v_add_u32_e32 v152, 4, v152
	;; [unrolled: 1-line block ×3, first 2 shown]
	v_cvt_f32_i32_e32 v104, v104
	s_cmp_lt_u32 s0, 12
	v_fma_mix_f32 v104, v105, v104, v105 op_sel:[0,0,1] op_sel_hi:[1,0,1]
	s_nop 0
	v_add_f32_e32 v69, v69, v104
	v_add_u32_e32 v104, 0x6180, v150
	ds_read_b32 v158, v154
	ds_read2_b32 v[104:105], v104 offset1:1
	ds_read2_b32 v[108:109], v108 offset1:1
	;; [unrolled: 1-line block ×4, first 2 shown]
	s_waitcnt lgkmcnt(4)
	v_pk_mul_f16 v114, v114, v158
	s_waitcnt lgkmcnt(3)
	v_dot4c_i32_i8_e32 v159, v104, v160
	v_dot4c_i32_i8_e32 v159, v105, v164
	s_waitcnt lgkmcnt(2)
	v_dot4c_i32_i8_e32 v159, v108, v161
	v_dot4c_i32_i8_e32 v159, v109, v165
	;; [unrolled: 3-line block ×4, first 2 shown]
	ds_read_b128 v[160:163], v149 offset:1024
	ds_read_b128 v[164:167], v149 offset:1040
	v_add_u32_e32 v154, 4, v154
	v_cvt_f32_i32_e32 v159, v159
	v_add_u32_e32 v150, 32, v150
	v_fma_mix_f32 v114, v114, v159, v114 op_sel:[0,0,1] op_sel_hi:[1,0,1]
	s_nop 0
	v_add_f32_e32 v65, v65, v114
	v_mov_b32_e32 v114, 0
	s_waitcnt lgkmcnt(1)
	v_dot4c_i32_i8_e32 v114, v82, v160
	s_waitcnt lgkmcnt(0)
	v_dot4c_i32_i8_e32 v114, v83, v164
	v_dot4c_i32_i8_e32 v114, v86, v161
	;; [unrolled: 1-line block ×7, first 2 shown]
	v_pk_mul_f16 v159, v155, v115
	s_nop 1
	v_cvt_f32_i32_e32 v114, v114
	v_fma_mix_f32 v114, v114, v159, v159 op_sel:[0,0,1] op_sel_hi:[0,1,1]
	v_add_f32_e32 v63, v63, v114
	v_mov_b32_e32 v114, 0
	v_dot4c_i32_i8_e32 v114, v84, v160
	v_dot4c_i32_i8_e32 v114, v85, v164
	;; [unrolled: 1-line block ×8, first 2 shown]
	v_pk_mul_f16 v159, v156, v115
	s_nop 1
	v_cvt_f32_i32_e32 v114, v114
	v_fma_mix_f32 v114, v114, v159, v159 op_sel:[0,0,1] op_sel_hi:[0,1,1]
	v_add_f32_e32 v61, v61, v114
	v_mov_b32_e32 v114, 0
	v_dot4c_i32_i8_e32 v114, v94, v160
	v_dot4c_i32_i8_e32 v114, v95, v164
	;; [unrolled: 1-line block ×8, first 2 shown]
	v_pk_mul_f16 v159, v157, v115
	v_pk_mul_f16 v115, v158, v115
	s_nop 0
	v_cvt_f32_i32_e32 v114, v114
	v_fma_mix_f32 v114, v114, v159, v159 op_sel:[0,0,1] op_sel_hi:[0,1,1]
	v_add_f32_e32 v59, v59, v114
	v_mov_b32_e32 v114, 0
	v_dot4c_i32_i8_e32 v114, v104, v160
	v_dot4c_i32_i8_e32 v114, v105, v164
	;; [unrolled: 1-line block ×8, first 2 shown]
	v_mov_b32_e32 v159, 0
	s_nop 1
	v_cvt_f32_i32_e32 v114, v114
	v_fma_mix_f32 v114, v114, v115, v115 op_sel:[0,0,1] op_sel_hi:[0,1,1]
	v_add_f32_e32 v57, v57, v114
	ds_read_b128 v[160:163], v149 offset:2048
	ds_read_b128 v[164:167], v149 offset:2064
	ds_read2_b32 v[114:115], v148 offset0:64 offset1:96
	s_waitcnt lgkmcnt(2)
	v_dot4c_i32_i8_e32 v159, v82, v160
	s_waitcnt lgkmcnt(1)
	v_dot4c_i32_i8_e32 v159, v83, v164
	v_dot4c_i32_i8_e32 v159, v86, v161
	;; [unrolled: 1-line block ×7, first 2 shown]
	s_waitcnt lgkmcnt(0)
	v_pk_mul_f16 v168, v155, v114
	s_nop 0
	v_cvt_f32_i32_e32 v159, v159
	v_fma_mix_f32 v159, v159, v168, v168 op_sel:[0,0,1] op_sel_hi:[0,1,1]
	v_add_f32_e32 v55, v55, v159
	v_mov_b32_e32 v159, 0
	v_dot4c_i32_i8_e32 v159, v84, v160
	v_dot4c_i32_i8_e32 v159, v85, v164
	;; [unrolled: 1-line block ×8, first 2 shown]
	v_pk_mul_f16 v168, v156, v114
	s_nop 1
	v_cvt_f32_i32_e32 v159, v159
	v_fma_mix_f32 v159, v159, v168, v168 op_sel:[0,0,1] op_sel_hi:[0,1,1]
	v_add_f32_e32 v51, v51, v159
	v_mov_b32_e32 v159, 0
	v_dot4c_i32_i8_e32 v159, v94, v160
	v_dot4c_i32_i8_e32 v159, v95, v164
	v_dot4c_i32_i8_e32 v159, v98, v161
	v_dot4c_i32_i8_e32 v159, v99, v165
	v_dot4c_i32_i8_e32 v159, v102, v162
	v_dot4c_i32_i8_e32 v159, v103, v166
	v_dot4c_i32_i8_e32 v159, v106, v163
	v_dot4c_i32_i8_e32 v159, v107, v167
	v_pk_mul_f16 v168, v157, v114
	v_pk_mul_f16 v114, v158, v114
	s_nop 0
	v_cvt_f32_i32_e32 v159, v159
	v_fma_mix_f32 v159, v159, v168, v168 op_sel:[0,0,1] op_sel_hi:[0,1,1]
	v_add_f32_e32 v49, v49, v159
	v_mov_b32_e32 v159, 0
	v_dot4c_i32_i8_e32 v159, v104, v160
	v_dot4c_i32_i8_e32 v159, v105, v164
	;; [unrolled: 1-line block ×8, first 2 shown]
	ds_read_b128 v[160:163], v149 offset:3072
	ds_read_b128 v[164:167], v149 offset:3088
	s_nop 0
	v_cvt_f32_i32_e32 v159, v159
	v_fma_mix_f32 v114, v159, v114, v114 op_sel:[0,0,1] op_sel_hi:[0,1,1]
	v_add_f32_e32 v47, v47, v114
	v_mov_b32_e32 v114, 0
	s_waitcnt lgkmcnt(1)
	v_dot4c_i32_i8_e32 v114, v82, v160
	s_waitcnt lgkmcnt(0)
	v_dot4c_i32_i8_e32 v114, v83, v164
	v_dot4c_i32_i8_e32 v114, v86, v161
	;; [unrolled: 1-line block ×7, first 2 shown]
	v_pk_mul_f16 v159, v155, v115
	s_nop 1
	v_cvt_f32_i32_e32 v114, v114
	v_fma_mix_f32 v114, v114, v159, v159 op_sel:[0,0,1] op_sel_hi:[0,1,1]
	v_add_f32_e32 v45, v45, v114
	v_mov_b32_e32 v114, 0
	v_dot4c_i32_i8_e32 v114, v84, v160
	v_dot4c_i32_i8_e32 v114, v85, v164
	;; [unrolled: 1-line block ×8, first 2 shown]
	v_pk_mul_f16 v159, v156, v115
	s_nop 1
	v_cvt_f32_i32_e32 v114, v114
	v_fma_mix_f32 v114, v114, v159, v159 op_sel:[0,0,1] op_sel_hi:[0,1,1]
	v_add_f32_e32 v43, v43, v114
	v_mov_b32_e32 v114, 0
	v_dot4c_i32_i8_e32 v114, v94, v160
	v_dot4c_i32_i8_e32 v114, v95, v164
	v_dot4c_i32_i8_e32 v114, v98, v161
	v_dot4c_i32_i8_e32 v114, v99, v165
	v_dot4c_i32_i8_e32 v114, v102, v162
	v_dot4c_i32_i8_e32 v114, v103, v166
	v_dot4c_i32_i8_e32 v114, v106, v163
	v_dot4c_i32_i8_e32 v114, v107, v167
	v_pk_mul_f16 v159, v157, v115
	v_pk_mul_f16 v115, v158, v115
	s_nop 0
	v_cvt_f32_i32_e32 v114, v114
	v_fma_mix_f32 v114, v114, v159, v159 op_sel:[0,0,1] op_sel_hi:[0,1,1]
	v_add_f32_e32 v41, v41, v114
	v_mov_b32_e32 v114, 0
	v_dot4c_i32_i8_e32 v114, v104, v160
	v_dot4c_i32_i8_e32 v114, v105, v164
	v_dot4c_i32_i8_e32 v114, v108, v161
	v_dot4c_i32_i8_e32 v114, v109, v165
	v_dot4c_i32_i8_e32 v114, v110, v162
	v_dot4c_i32_i8_e32 v114, v111, v166
	v_dot4c_i32_i8_e32 v114, v112, v163
	v_dot4c_i32_i8_e32 v114, v113, v167
	v_mov_b32_e32 v159, 0
	s_nop 1
	v_cvt_f32_i32_e32 v114, v114
	v_fma_mix_f32 v114, v114, v115, v115 op_sel:[0,0,1] op_sel_hi:[0,1,1]
	v_add_f32_e32 v39, v39, v114
	ds_read_b128 v[160:163], v149 offset:4096
	ds_read_b128 v[164:167], v149 offset:4112
	ds_read2_b32 v[114:115], v148 offset0:128 offset1:160
	s_waitcnt lgkmcnt(2)
	v_dot4c_i32_i8_e32 v159, v82, v160
	s_waitcnt lgkmcnt(1)
	v_dot4c_i32_i8_e32 v159, v83, v164
	v_dot4c_i32_i8_e32 v159, v86, v161
	;; [unrolled: 1-line block ×7, first 2 shown]
	s_waitcnt lgkmcnt(0)
	v_pk_mul_f16 v168, v155, v114
	s_nop 0
	v_cvt_f32_i32_e32 v159, v159
	v_fma_mix_f32 v159, v159, v168, v168 op_sel:[0,0,1] op_sel_hi:[0,1,1]
	v_add_f32_e32 v35, v35, v159
	v_mov_b32_e32 v159, 0
	v_dot4c_i32_i8_e32 v159, v84, v160
	v_dot4c_i32_i8_e32 v159, v85, v164
	;; [unrolled: 1-line block ×8, first 2 shown]
	v_pk_mul_f16 v168, v156, v114
	s_nop 1
	v_cvt_f32_i32_e32 v159, v159
	v_fma_mix_f32 v159, v159, v168, v168 op_sel:[0,0,1] op_sel_hi:[0,1,1]
	v_add_f32_e32 v31, v31, v159
	v_mov_b32_e32 v159, 0
	v_dot4c_i32_i8_e32 v159, v94, v160
	v_dot4c_i32_i8_e32 v159, v95, v164
	;; [unrolled: 1-line block ×8, first 2 shown]
	v_pk_mul_f16 v168, v157, v114
	v_pk_mul_f16 v114, v158, v114
	s_nop 0
	v_cvt_f32_i32_e32 v159, v159
	v_fma_mix_f32 v159, v159, v168, v168 op_sel:[0,0,1] op_sel_hi:[0,1,1]
	v_add_f32_e32 v29, v29, v159
	v_mov_b32_e32 v159, 0
	v_dot4c_i32_i8_e32 v159, v104, v160
	v_dot4c_i32_i8_e32 v159, v105, v164
	;; [unrolled: 1-line block ×8, first 2 shown]
	ds_read_b128 v[160:163], v149 offset:5120
	ds_read_b128 v[164:167], v149 offset:5136
	s_nop 0
	v_cvt_f32_i32_e32 v159, v159
	v_fma_mix_f32 v114, v159, v114, v114 op_sel:[0,0,1] op_sel_hi:[0,1,1]
	v_add_f32_e32 v27, v27, v114
	v_mov_b32_e32 v114, 0
	s_waitcnt lgkmcnt(1)
	v_dot4c_i32_i8_e32 v114, v82, v160
	s_waitcnt lgkmcnt(0)
	v_dot4c_i32_i8_e32 v114, v83, v164
	v_dot4c_i32_i8_e32 v114, v86, v161
	;; [unrolled: 1-line block ×7, first 2 shown]
	v_pk_mul_f16 v159, v155, v115
	s_nop 1
	v_cvt_f32_i32_e32 v114, v114
	v_fma_mix_f32 v114, v114, v159, v159 op_sel:[0,0,1] op_sel_hi:[0,1,1]
	v_add_f32_e32 v25, v25, v114
	v_mov_b32_e32 v114, 0
	v_dot4c_i32_i8_e32 v114, v84, v160
	v_dot4c_i32_i8_e32 v114, v85, v164
	;; [unrolled: 1-line block ×8, first 2 shown]
	v_pk_mul_f16 v159, v156, v115
	s_nop 1
	v_cvt_f32_i32_e32 v114, v114
	v_fma_mix_f32 v114, v114, v159, v159 op_sel:[0,0,1] op_sel_hi:[0,1,1]
	v_add_f32_e32 v23, v23, v114
	v_mov_b32_e32 v114, 0
	v_dot4c_i32_i8_e32 v114, v94, v160
	v_dot4c_i32_i8_e32 v114, v95, v164
	;; [unrolled: 1-line block ×8, first 2 shown]
	v_pk_mul_f16 v159, v157, v115
	v_pk_mul_f16 v115, v158, v115
	s_nop 0
	v_cvt_f32_i32_e32 v114, v114
	v_fma_mix_f32 v114, v114, v159, v159 op_sel:[0,0,1] op_sel_hi:[0,1,1]
	v_add_f32_e32 v21, v21, v114
	v_mov_b32_e32 v114, 0
	v_dot4c_i32_i8_e32 v114, v104, v160
	v_dot4c_i32_i8_e32 v114, v105, v164
	;; [unrolled: 1-line block ×8, first 2 shown]
	v_mov_b32_e32 v159, 0
	s_nop 1
	v_cvt_f32_i32_e32 v114, v114
	v_fma_mix_f32 v114, v114, v115, v115 op_sel:[0,0,1] op_sel_hi:[0,1,1]
	v_add_f32_e32 v19, v19, v114
	ds_read_b128 v[160:163], v149 offset:6144
	ds_read_b128 v[164:167], v149 offset:6160
	ds_read2_b32 v[114:115], v148 offset0:192 offset1:224
	v_add_u32_e32 v148, 4, v148
	s_waitcnt lgkmcnt(2)
	v_dot4c_i32_i8_e32 v159, v82, v160
	s_waitcnt lgkmcnt(1)
	v_dot4c_i32_i8_e32 v159, v83, v164
	v_dot4c_i32_i8_e32 v159, v86, v161
	;; [unrolled: 1-line block ×7, first 2 shown]
	s_waitcnt lgkmcnt(0)
	v_pk_mul_f16 v168, v155, v114
	s_nop 0
	v_cvt_f32_i32_e32 v159, v159
	v_fma_mix_f32 v159, v159, v168, v168 op_sel:[0,0,1] op_sel_hi:[0,1,1]
	v_add_f32_e32 v17, v17, v159
	v_mov_b32_e32 v159, 0
	v_dot4c_i32_i8_e32 v159, v84, v160
	v_dot4c_i32_i8_e32 v159, v85, v164
	;; [unrolled: 1-line block ×8, first 2 shown]
	v_pk_mul_f16 v168, v156, v114
	s_nop 1
	v_cvt_f32_i32_e32 v159, v159
	v_fma_mix_f32 v159, v159, v168, v168 op_sel:[0,0,1] op_sel_hi:[0,1,1]
	v_add_f32_e32 v15, v15, v159
	v_mov_b32_e32 v159, 0
	v_dot4c_i32_i8_e32 v159, v94, v160
	v_dot4c_i32_i8_e32 v159, v95, v164
	;; [unrolled: 1-line block ×8, first 2 shown]
	v_pk_mul_f16 v168, v157, v114
	v_pk_mul_f16 v114, v158, v114
	s_nop 0
	v_cvt_f32_i32_e32 v159, v159
	v_fma_mix_f32 v159, v159, v168, v168 op_sel:[0,0,1] op_sel_hi:[0,1,1]
	v_add_f32_e32 v13, v13, v159
	v_mov_b32_e32 v159, 0
	v_dot4c_i32_i8_e32 v159, v104, v160
	v_dot4c_i32_i8_e32 v159, v105, v164
	;; [unrolled: 1-line block ×8, first 2 shown]
	ds_read_b128 v[160:163], v149 offset:7168
	ds_read_b128 v[164:167], v149 offset:7184
	v_add_u32_e32 v149, 32, v149
	v_cvt_f32_i32_e32 v159, v159
	v_fma_mix_f32 v114, v159, v114, v114 op_sel:[0,0,1] op_sel_hi:[0,1,1]
	v_add_f32_e32 v11, v11, v114
	v_mov_b32_e32 v114, 0
	s_waitcnt lgkmcnt(1)
	v_dot4c_i32_i8_e32 v114, v82, v160
	s_waitcnt lgkmcnt(0)
	v_dot4c_i32_i8_e32 v114, v83, v164
	v_dot4c_i32_i8_e32 v114, v86, v161
	v_dot4c_i32_i8_e32 v114, v87, v165
	v_dot4c_i32_i8_e32 v114, v88, v162
	v_dot4c_i32_i8_e32 v114, v89, v166
	v_dot4c_i32_i8_e32 v114, v92, v163
	v_dot4c_i32_i8_e32 v114, v93, v167
	v_pk_mul_f16 v82, v155, v115
	s_nop 1
	v_cvt_f32_i32_e32 v83, v114
	v_fma_mix_f32 v82, v83, v82, v82 op_sel:[0,0,1] op_sel_hi:[0,1,1]
	v_add_f32_e32 v9, v9, v82
	v_mov_b32_e32 v82, 0
	v_dot4c_i32_i8_e32 v82, v84, v160
	v_dot4c_i32_i8_e32 v82, v85, v164
	v_dot4c_i32_i8_e32 v82, v90, v161
	v_dot4c_i32_i8_e32 v82, v91, v165
	v_dot4c_i32_i8_e32 v82, v96, v162
	v_dot4c_i32_i8_e32 v82, v97, v166
	v_dot4c_i32_i8_e32 v82, v100, v163
	v_dot4c_i32_i8_e32 v82, v101, v167
	v_pk_mul_f16 v83, v156, v115
	s_nop 1
	v_cvt_f32_i32_e32 v82, v82
	v_fma_mix_f32 v82, v82, v83, v83 op_sel:[0,0,1] op_sel_hi:[0,1,1]
	v_add_f32_e32 v7, v7, v82
	v_mov_b32_e32 v82, 0
	v_dot4c_i32_i8_e32 v82, v94, v160
	;; [unrolled: 14-line block ×3, first 2 shown]
	v_dot4c_i32_i8_e32 v82, v105, v164
	v_dot4c_i32_i8_e32 v82, v108, v161
	;; [unrolled: 1-line block ×7, first 2 shown]
	v_pk_mul_f16 v83, v158, v115
	s_nop 1
	v_cvt_f32_i32_e32 v82, v82
	v_fma_mix_f32 v82, v82, v83, v83 op_sel:[0,0,1] op_sel_hi:[0,1,1]
	v_add_f32_e32 v1, v1, v82
	s_cbranch_scc1 .LBB124_7
; %bb.8:                                ;   in Loop: Header=BB124_6 Depth=1
	s_or_b32 s0, s8, 4
	s_cmp_ge_i32 s0, s4
	s_barrier
	s_cbranch_scc1 .LBB124_5
; %bb.9:                                ;   in Loop: Header=BB124_6 Depth=1
	v_add_u32_e32 v96, s8, v131
	v_add_u32_e32 v82, v96, v77
	;; [unrolled: 1-line block ×6, first 2 shown]
	v_mad_i64_i32 v[82:83], s[0:1], v82, 36, v[78:79]
	v_mad_i64_i32 v[84:85], s[0:1], v84, 36, v[78:79]
	;; [unrolled: 1-line block ×5, first 2 shown]
	v_add_u32_e32 v92, v96, v124
	v_add_u32_e32 v94, v96, v126
	;; [unrolled: 1-line block ×3, first 2 shown]
	v_mad_i64_i32 v[92:93], s[0:1], v92, 36, v[78:79]
	v_mad_i64_i32 v[94:95], s[0:1], v94, 36, v[78:79]
	;; [unrolled: 1-line block ×3, first 2 shown]
	global_load_dword v98, v[82:83], off offset:4
	s_nop 0
	global_load_dword v84, v[84:85], off offset:4
	s_nop 0
	;; [unrolled: 2-line block ×3, first 2 shown]
	global_load_dword v86, v[88:89], off offset:4
	global_load_dword v87, v[90:91], off offset:4
	s_nop 0
	global_load_dword v88, v[92:93], off offset:4
                                        ; kill: killed $vgpr92_vgpr93
                                        ; kill: killed $vgpr90_vgpr91
	global_load_dword v89, v[94:95], off offset:4
	global_load_dword v90, v[96:97], off offset:4
	v_add_u32_e32 v82, 4, v147
	v_mad_u64_u32 v[82:83], s[0:1], v82, 36, s[2:3]
	global_load_dword v82, v[82:83], off
	s_mov_b32 s0, 12
	v_mov_b32_e32 v147, v137
	v_mov_b32_e32 v148, v136
	;; [unrolled: 1-line block ×7, first 2 shown]
	s_waitcnt vmcnt(8)
	ds_write_b32 v81, v98
	s_waitcnt vmcnt(7)
	ds_write_b32 v117, v84
	;; [unrolled: 2-line block ×9, first 2 shown]
	s_waitcnt lgkmcnt(0)
	s_barrier
.LBB124_10:                             ;   Parent Loop BB124_6 Depth=1
                                        ; =>  This Inner Loop Header: Depth=2
	ds_read_b128 v[158:161], v148
	ds_read_b128 v[162:165], v148 offset:16
	ds_read2_b32 v[114:115], v147 offset1:32
	ds_read_b32 v154, v150
	ds_read2_b32 v[82:83], v149 offset1:1
	ds_read2_b32 v[86:87], v149 offset0:2 offset1:3
	ds_read2_b32 v[88:89], v149 offset0:4 offset1:5
	;; [unrolled: 1-line block ×3, first 2 shown]
	v_mov_b32_e32 v84, 0
	s_waitcnt lgkmcnt(3)
	v_dot4c_i32_i8_e32 v84, v82, v158
	v_dot4c_i32_i8_e32 v84, v83, v162
	s_waitcnt lgkmcnt(2)
	v_dot4c_i32_i8_e32 v84, v86, v159
	v_dot4c_i32_i8_e32 v84, v87, v163
	;; [unrolled: 3-line block ×4, first 2 shown]
	v_pk_mul_f16 v85, v114, v154
	v_add_u32_e32 v90, 0x2088, v149
	v_add_u32_e32 v95, 0x2090, v149
	v_cvt_f32_i32_e32 v84, v84
	v_mov_b32_e32 v94, 0
	v_add_u32_e32 v98, 0x4108, v149
	v_add_u32_e32 v102, 0x4110, v149
	v_fma_mix_f32 v84, v85, v84, v85 op_sel:[0,0,1] op_sel_hi:[1,0,1]
	v_mov_b32_e32 v104, 0
	v_add_f32_e32 v73, v73, v84
	v_add_u32_e32 v84, 0x2080, v149
	ds_read_b32 v155, v151
	ds_read2_b32 v[84:85], v84 offset1:1
	ds_read2_b32 v[90:91], v90 offset1:1
	;; [unrolled: 1-line block ×3, first 2 shown]
	v_add_u32_e32 v95, 0x2098, v149
	ds_read2_b32 v[100:101], v95 offset1:1
	s_waitcnt lgkmcnt(3)
	v_dot4c_i32_i8_e32 v94, v84, v158
	v_dot4c_i32_i8_e32 v94, v85, v162
	s_waitcnt lgkmcnt(2)
	v_dot4c_i32_i8_e32 v94, v90, v159
	v_dot4c_i32_i8_e32 v94, v91, v163
	;; [unrolled: 3-line block ×4, first 2 shown]
	v_pk_mul_f16 v95, v114, v155
	v_add_u32_e32 v105, 0x4118, v149
	v_add_u32_e32 v108, 0x6188, v149
	v_cvt_f32_i32_e32 v94, v94
	v_add_u32_e32 v110, 0x6190, v149
	v_mov_b32_e32 v166, 0
	v_add_u32_e32 v112, 0x6198, v149
	v_fma_mix_f32 v94, v95, v94, v95 op_sel:[0,0,1] op_sel_hi:[1,0,1]
	s_add_i32 s0, s0, 4
	v_add_f32_e32 v71, v71, v94
	v_add_u32_e32 v94, 0x4100, v149
	ds_read_b32 v156, v152
	ds_read2_b32 v[94:95], v94 offset1:1
	ds_read2_b32 v[98:99], v98 offset1:1
	;; [unrolled: 1-line block ×4, first 2 shown]
	s_waitcnt lgkmcnt(4)
	v_pk_mul_f16 v105, v114, v156
	s_waitcnt lgkmcnt(3)
	v_dot4c_i32_i8_e32 v104, v94, v158
	v_dot4c_i32_i8_e32 v104, v95, v162
	s_waitcnt lgkmcnt(2)
	v_dot4c_i32_i8_e32 v104, v98, v159
	v_dot4c_i32_i8_e32 v104, v99, v163
	;; [unrolled: 3-line block ×4, first 2 shown]
	v_add_u32_e32 v152, 4, v152
	v_add_u32_e32 v151, 4, v151
	;; [unrolled: 1-line block ×3, first 2 shown]
	v_cvt_f32_i32_e32 v104, v104
	s_cmp_lt_u32 s0, 28
	v_fma_mix_f32 v104, v105, v104, v105 op_sel:[0,0,1] op_sel_hi:[1,0,1]
	s_nop 0
	v_add_f32_e32 v69, v69, v104
	v_add_u32_e32 v104, 0x6180, v149
	ds_read_b32 v157, v153
	ds_read2_b32 v[104:105], v104 offset1:1
	ds_read2_b32 v[108:109], v108 offset1:1
	;; [unrolled: 1-line block ×4, first 2 shown]
	s_waitcnt lgkmcnt(4)
	v_pk_mul_f16 v114, v114, v157
	s_waitcnt lgkmcnt(3)
	v_dot4c_i32_i8_e32 v166, v104, v158
	v_dot4c_i32_i8_e32 v166, v105, v162
	s_waitcnt lgkmcnt(2)
	v_dot4c_i32_i8_e32 v166, v108, v159
	v_dot4c_i32_i8_e32 v166, v109, v163
	;; [unrolled: 3-line block ×4, first 2 shown]
	v_add_u32_e32 v153, 4, v153
	v_add_u32_e32 v149, 32, v149
	s_nop 0
	v_cvt_f32_i32_e32 v158, v166
	v_pk_mul_f16 v166, v154, v115
	v_fma_mix_f32 v114, v114, v158, v114 op_sel:[0,0,1] op_sel_hi:[1,0,1]
	ds_read_b128 v[158:161], v148 offset:1024
	ds_read_b128 v[162:165], v148 offset:1040
	v_add_f32_e32 v65, v65, v114
	v_mov_b32_e32 v114, 0
	s_waitcnt lgkmcnt(1)
	v_dot4c_i32_i8_e32 v114, v82, v158
	s_waitcnt lgkmcnt(0)
	v_dot4c_i32_i8_e32 v114, v83, v162
	v_dot4c_i32_i8_e32 v114, v86, v159
	;; [unrolled: 1-line block ×7, first 2 shown]
	s_nop 2
	v_cvt_f32_i32_e32 v114, v114
	v_fma_mix_f32 v114, v114, v166, v166 op_sel:[0,0,1] op_sel_hi:[0,1,1]
	v_add_f32_e32 v63, v63, v114
	v_mov_b32_e32 v114, 0
	v_dot4c_i32_i8_e32 v114, v84, v158
	v_dot4c_i32_i8_e32 v114, v85, v162
	;; [unrolled: 1-line block ×8, first 2 shown]
	v_pk_mul_f16 v166, v155, v115
	s_nop 1
	v_cvt_f32_i32_e32 v114, v114
	v_fma_mix_f32 v114, v114, v166, v166 op_sel:[0,0,1] op_sel_hi:[0,1,1]
	v_add_f32_e32 v61, v61, v114
	v_mov_b32_e32 v114, 0
	v_dot4c_i32_i8_e32 v114, v94, v158
	v_dot4c_i32_i8_e32 v114, v95, v162
	;; [unrolled: 1-line block ×8, first 2 shown]
	v_pk_mul_f16 v166, v156, v115
	v_pk_mul_f16 v115, v157, v115
	s_nop 0
	v_cvt_f32_i32_e32 v114, v114
	v_fma_mix_f32 v114, v114, v166, v166 op_sel:[0,0,1] op_sel_hi:[0,1,1]
	v_add_f32_e32 v59, v59, v114
	v_mov_b32_e32 v114, 0
	v_dot4c_i32_i8_e32 v114, v104, v158
	v_dot4c_i32_i8_e32 v114, v105, v162
	;; [unrolled: 1-line block ×8, first 2 shown]
	v_mov_b32_e32 v166, 0
	s_nop 1
	v_cvt_f32_i32_e32 v114, v114
	v_fma_mix_f32 v114, v114, v115, v115 op_sel:[0,0,1] op_sel_hi:[0,1,1]
	v_add_f32_e32 v57, v57, v114
	ds_read_b128 v[158:161], v148 offset:2048
	ds_read_b128 v[162:165], v148 offset:2064
	ds_read2_b32 v[114:115], v147 offset0:64 offset1:96
	s_waitcnt lgkmcnt(2)
	v_dot4c_i32_i8_e32 v166, v82, v158
	s_waitcnt lgkmcnt(1)
	v_dot4c_i32_i8_e32 v166, v83, v162
	v_dot4c_i32_i8_e32 v166, v86, v159
	;; [unrolled: 1-line block ×7, first 2 shown]
	s_waitcnt lgkmcnt(0)
	v_pk_mul_f16 v167, v154, v114
	s_nop 0
	v_cvt_f32_i32_e32 v166, v166
	v_fma_mix_f32 v166, v166, v167, v167 op_sel:[0,0,1] op_sel_hi:[0,1,1]
	v_add_f32_e32 v55, v55, v166
	v_mov_b32_e32 v166, 0
	v_dot4c_i32_i8_e32 v166, v84, v158
	v_dot4c_i32_i8_e32 v166, v85, v162
	;; [unrolled: 1-line block ×8, first 2 shown]
	v_pk_mul_f16 v167, v155, v114
	s_nop 1
	v_cvt_f32_i32_e32 v166, v166
	v_fma_mix_f32 v166, v166, v167, v167 op_sel:[0,0,1] op_sel_hi:[0,1,1]
	v_add_f32_e32 v51, v51, v166
	v_mov_b32_e32 v166, 0
	v_dot4c_i32_i8_e32 v166, v94, v158
	v_dot4c_i32_i8_e32 v166, v95, v162
	;; [unrolled: 1-line block ×8, first 2 shown]
	v_pk_mul_f16 v167, v156, v114
	v_pk_mul_f16 v114, v157, v114
	s_nop 0
	v_cvt_f32_i32_e32 v166, v166
	v_fma_mix_f32 v166, v166, v167, v167 op_sel:[0,0,1] op_sel_hi:[0,1,1]
	v_add_f32_e32 v49, v49, v166
	v_mov_b32_e32 v166, 0
	v_dot4c_i32_i8_e32 v166, v104, v158
	v_dot4c_i32_i8_e32 v166, v105, v162
	;; [unrolled: 1-line block ×8, first 2 shown]
	s_nop 2
	v_cvt_f32_i32_e32 v158, v166
	v_pk_mul_f16 v166, v154, v115
	v_fma_mix_f32 v114, v158, v114, v114 op_sel:[0,0,1] op_sel_hi:[0,1,1]
	ds_read_b128 v[158:161], v148 offset:3072
	ds_read_b128 v[162:165], v148 offset:3088
	v_add_f32_e32 v47, v47, v114
	v_mov_b32_e32 v114, 0
	s_waitcnt lgkmcnt(1)
	v_dot4c_i32_i8_e32 v114, v82, v158
	s_waitcnt lgkmcnt(0)
	v_dot4c_i32_i8_e32 v114, v83, v162
	v_dot4c_i32_i8_e32 v114, v86, v159
	;; [unrolled: 1-line block ×7, first 2 shown]
	s_nop 2
	v_cvt_f32_i32_e32 v114, v114
	v_fma_mix_f32 v114, v114, v166, v166 op_sel:[0,0,1] op_sel_hi:[0,1,1]
	v_add_f32_e32 v45, v45, v114
	v_mov_b32_e32 v114, 0
	v_dot4c_i32_i8_e32 v114, v84, v158
	v_dot4c_i32_i8_e32 v114, v85, v162
	;; [unrolled: 1-line block ×8, first 2 shown]
	v_pk_mul_f16 v166, v155, v115
	s_nop 1
	v_cvt_f32_i32_e32 v114, v114
	v_fma_mix_f32 v114, v114, v166, v166 op_sel:[0,0,1] op_sel_hi:[0,1,1]
	v_add_f32_e32 v43, v43, v114
	v_mov_b32_e32 v114, 0
	v_dot4c_i32_i8_e32 v114, v94, v158
	v_dot4c_i32_i8_e32 v114, v95, v162
	;; [unrolled: 1-line block ×8, first 2 shown]
	v_pk_mul_f16 v166, v156, v115
	v_pk_mul_f16 v115, v157, v115
	s_nop 0
	v_cvt_f32_i32_e32 v114, v114
	v_fma_mix_f32 v114, v114, v166, v166 op_sel:[0,0,1] op_sel_hi:[0,1,1]
	v_add_f32_e32 v41, v41, v114
	v_mov_b32_e32 v114, 0
	v_dot4c_i32_i8_e32 v114, v104, v158
	v_dot4c_i32_i8_e32 v114, v105, v162
	;; [unrolled: 1-line block ×8, first 2 shown]
	v_mov_b32_e32 v166, 0
	s_nop 1
	v_cvt_f32_i32_e32 v114, v114
	v_fma_mix_f32 v114, v114, v115, v115 op_sel:[0,0,1] op_sel_hi:[0,1,1]
	v_add_f32_e32 v39, v39, v114
	ds_read_b128 v[158:161], v148 offset:4096
	ds_read_b128 v[162:165], v148 offset:4112
	ds_read2_b32 v[114:115], v147 offset0:128 offset1:160
	s_waitcnt lgkmcnt(2)
	v_dot4c_i32_i8_e32 v166, v82, v158
	s_waitcnt lgkmcnt(1)
	v_dot4c_i32_i8_e32 v166, v83, v162
	v_dot4c_i32_i8_e32 v166, v86, v159
	;; [unrolled: 1-line block ×7, first 2 shown]
	s_waitcnt lgkmcnt(0)
	v_pk_mul_f16 v167, v154, v114
	s_nop 0
	v_cvt_f32_i32_e32 v166, v166
	v_fma_mix_f32 v166, v166, v167, v167 op_sel:[0,0,1] op_sel_hi:[0,1,1]
	v_add_f32_e32 v35, v35, v166
	v_mov_b32_e32 v166, 0
	v_dot4c_i32_i8_e32 v166, v84, v158
	v_dot4c_i32_i8_e32 v166, v85, v162
	;; [unrolled: 1-line block ×8, first 2 shown]
	v_pk_mul_f16 v167, v155, v114
	s_nop 1
	v_cvt_f32_i32_e32 v166, v166
	v_fma_mix_f32 v166, v166, v167, v167 op_sel:[0,0,1] op_sel_hi:[0,1,1]
	v_add_f32_e32 v31, v31, v166
	v_mov_b32_e32 v166, 0
	v_dot4c_i32_i8_e32 v166, v94, v158
	v_dot4c_i32_i8_e32 v166, v95, v162
	;; [unrolled: 1-line block ×8, first 2 shown]
	v_pk_mul_f16 v167, v156, v114
	v_pk_mul_f16 v114, v157, v114
	s_nop 0
	v_cvt_f32_i32_e32 v166, v166
	v_fma_mix_f32 v166, v166, v167, v167 op_sel:[0,0,1] op_sel_hi:[0,1,1]
	v_add_f32_e32 v29, v29, v166
	v_mov_b32_e32 v166, 0
	v_dot4c_i32_i8_e32 v166, v104, v158
	v_dot4c_i32_i8_e32 v166, v105, v162
	;; [unrolled: 1-line block ×8, first 2 shown]
	s_nop 2
	v_cvt_f32_i32_e32 v158, v166
	v_pk_mul_f16 v166, v154, v115
	v_fma_mix_f32 v114, v158, v114, v114 op_sel:[0,0,1] op_sel_hi:[0,1,1]
	ds_read_b128 v[158:161], v148 offset:5120
	ds_read_b128 v[162:165], v148 offset:5136
	v_add_f32_e32 v27, v27, v114
	v_mov_b32_e32 v114, 0
	s_waitcnt lgkmcnt(1)
	v_dot4c_i32_i8_e32 v114, v82, v158
	s_waitcnt lgkmcnt(0)
	v_dot4c_i32_i8_e32 v114, v83, v162
	v_dot4c_i32_i8_e32 v114, v86, v159
	;; [unrolled: 1-line block ×7, first 2 shown]
	s_nop 2
	v_cvt_f32_i32_e32 v114, v114
	v_fma_mix_f32 v114, v114, v166, v166 op_sel:[0,0,1] op_sel_hi:[0,1,1]
	v_add_f32_e32 v25, v25, v114
	v_mov_b32_e32 v114, 0
	v_dot4c_i32_i8_e32 v114, v84, v158
	v_dot4c_i32_i8_e32 v114, v85, v162
	;; [unrolled: 1-line block ×8, first 2 shown]
	v_pk_mul_f16 v166, v155, v115
	s_nop 1
	v_cvt_f32_i32_e32 v114, v114
	v_fma_mix_f32 v114, v114, v166, v166 op_sel:[0,0,1] op_sel_hi:[0,1,1]
	v_add_f32_e32 v23, v23, v114
	v_mov_b32_e32 v114, 0
	v_dot4c_i32_i8_e32 v114, v94, v158
	v_dot4c_i32_i8_e32 v114, v95, v162
	;; [unrolled: 1-line block ×8, first 2 shown]
	v_pk_mul_f16 v166, v156, v115
	v_pk_mul_f16 v115, v157, v115
	s_nop 0
	v_cvt_f32_i32_e32 v114, v114
	v_fma_mix_f32 v114, v114, v166, v166 op_sel:[0,0,1] op_sel_hi:[0,1,1]
	v_add_f32_e32 v21, v21, v114
	v_mov_b32_e32 v114, 0
	v_dot4c_i32_i8_e32 v114, v104, v158
	v_dot4c_i32_i8_e32 v114, v105, v162
	;; [unrolled: 1-line block ×8, first 2 shown]
	v_mov_b32_e32 v166, 0
	s_nop 1
	v_cvt_f32_i32_e32 v114, v114
	v_fma_mix_f32 v114, v114, v115, v115 op_sel:[0,0,1] op_sel_hi:[0,1,1]
	v_add_f32_e32 v19, v19, v114
	ds_read_b128 v[158:161], v148 offset:6144
	ds_read_b128 v[162:165], v148 offset:6160
	ds_read2_b32 v[114:115], v147 offset0:192 offset1:224
	v_add_u32_e32 v147, 4, v147
	s_waitcnt lgkmcnt(2)
	v_dot4c_i32_i8_e32 v166, v82, v158
	s_waitcnt lgkmcnt(1)
	v_dot4c_i32_i8_e32 v166, v83, v162
	v_dot4c_i32_i8_e32 v166, v86, v159
	;; [unrolled: 1-line block ×7, first 2 shown]
	s_waitcnt lgkmcnt(0)
	v_pk_mul_f16 v167, v154, v114
	s_nop 0
	v_cvt_f32_i32_e32 v166, v166
	v_fma_mix_f32 v166, v166, v167, v167 op_sel:[0,0,1] op_sel_hi:[0,1,1]
	v_add_f32_e32 v17, v17, v166
	v_mov_b32_e32 v166, 0
	v_dot4c_i32_i8_e32 v166, v84, v158
	v_dot4c_i32_i8_e32 v166, v85, v162
	;; [unrolled: 1-line block ×8, first 2 shown]
	v_pk_mul_f16 v167, v155, v114
	s_nop 1
	v_cvt_f32_i32_e32 v166, v166
	v_fma_mix_f32 v166, v166, v167, v167 op_sel:[0,0,1] op_sel_hi:[0,1,1]
	v_add_f32_e32 v15, v15, v166
	v_mov_b32_e32 v166, 0
	v_dot4c_i32_i8_e32 v166, v94, v158
	v_dot4c_i32_i8_e32 v166, v95, v162
	;; [unrolled: 1-line block ×8, first 2 shown]
	v_pk_mul_f16 v167, v156, v114
	v_pk_mul_f16 v114, v157, v114
	s_nop 0
	v_cvt_f32_i32_e32 v166, v166
	v_fma_mix_f32 v166, v166, v167, v167 op_sel:[0,0,1] op_sel_hi:[0,1,1]
	v_add_f32_e32 v13, v13, v166
	v_mov_b32_e32 v166, 0
	v_dot4c_i32_i8_e32 v166, v104, v158
	v_dot4c_i32_i8_e32 v166, v105, v162
	;; [unrolled: 1-line block ×8, first 2 shown]
	s_nop 2
	v_cvt_f32_i32_e32 v158, v166
	v_fma_mix_f32 v114, v158, v114, v114 op_sel:[0,0,1] op_sel_hi:[0,1,1]
	ds_read_b128 v[158:161], v148 offset:7168
	ds_read_b128 v[162:165], v148 offset:7184
	v_add_f32_e32 v11, v11, v114
	v_mov_b32_e32 v114, 0
	v_add_u32_e32 v148, 32, v148
	s_waitcnt lgkmcnt(1)
	v_dot4c_i32_i8_e32 v114, v82, v158
	s_waitcnt lgkmcnt(0)
	v_dot4c_i32_i8_e32 v114, v83, v162
	v_dot4c_i32_i8_e32 v114, v86, v159
	v_dot4c_i32_i8_e32 v114, v87, v163
	v_dot4c_i32_i8_e32 v114, v88, v160
	v_dot4c_i32_i8_e32 v114, v89, v164
	v_dot4c_i32_i8_e32 v114, v92, v161
	v_dot4c_i32_i8_e32 v114, v93, v165
	v_pk_mul_f16 v82, v154, v115
	s_nop 1
	v_cvt_f32_i32_e32 v83, v114
	v_fma_mix_f32 v82, v83, v82, v82 op_sel:[0,0,1] op_sel_hi:[0,1,1]
	v_add_f32_e32 v9, v9, v82
	v_mov_b32_e32 v82, 0
	v_dot4c_i32_i8_e32 v82, v84, v158
	v_dot4c_i32_i8_e32 v82, v85, v162
	v_dot4c_i32_i8_e32 v82, v90, v159
	v_dot4c_i32_i8_e32 v82, v91, v163
	v_dot4c_i32_i8_e32 v82, v96, v160
	v_dot4c_i32_i8_e32 v82, v97, v164
	v_dot4c_i32_i8_e32 v82, v100, v161
	v_dot4c_i32_i8_e32 v82, v101, v165
	v_pk_mul_f16 v83, v155, v115
	s_nop 1
	v_cvt_f32_i32_e32 v82, v82
	v_fma_mix_f32 v82, v82, v83, v83 op_sel:[0,0,1] op_sel_hi:[0,1,1]
	v_add_f32_e32 v7, v7, v82
	v_mov_b32_e32 v82, 0
	v_dot4c_i32_i8_e32 v82, v94, v158
	;; [unrolled: 14-line block ×3, first 2 shown]
	v_dot4c_i32_i8_e32 v82, v105, v162
	v_dot4c_i32_i8_e32 v82, v108, v159
	;; [unrolled: 1-line block ×7, first 2 shown]
	v_pk_mul_f16 v83, v157, v115
	s_nop 1
	v_cvt_f32_i32_e32 v82, v82
	v_fma_mix_f32 v82, v82, v83, v83 op_sel:[0,0,1] op_sel_hi:[0,1,1]
	v_add_f32_e32 v1, v1, v82
	s_cbranch_scc1 .LBB124_10
; %bb.11:                               ;   in Loop: Header=BB124_6 Depth=1
	s_barrier
	s_branch .LBB124_5
.LBB124_12:
	v_mov_b32_e32 v2, v37
.LBB124_13:
	v_cmp_gt_u32_e32 vcc, s10, v53
	s_and_saveexec_b64 s[0:1], vcc
	s_cbranch_execz .LBB124_64
; %bb.14:
	v_add_u32_e32 v0, s6, v33
	v_mul_lo_u32 v8, v53, s14
	v_cmp_gt_u32_e32 vcc, s14, v0
	s_and_saveexec_b64 s[0:1], vcc
	s_cbranch_execz .LBB124_16
; %bb.15:
	v_add_u32_e32 v32, v0, v8
	v_mov_b32_e32 v33, 0
	s_waitcnt lgkmcnt(0)
	v_lshl_add_u64 v[32:33], v[32:33], 2, s[12:13]
	global_store_dword v[32:33], v73, off
.LBB124_16:
	s_or_b64 exec, exec, s[0:1]
	v_add_u32_e32 v3, 32, v0
	v_cmp_gt_u32_e64 s[0:1], s14, v3
	s_and_saveexec_b64 s[2:3], s[0:1]
	s_cbranch_execz .LBB124_18
; %bb.17:
	v_add_u32_e32 v32, v3, v8
	v_mov_b32_e32 v33, 0
	s_waitcnt lgkmcnt(0)
	v_lshl_add_u64 v[32:33], v[32:33], 2, s[12:13]
	global_store_dword v[32:33], v71, off
.LBB124_18:
	s_or_b64 exec, exec, s[2:3]
	v_add_u32_e32 v4, 64, v0
	v_cmp_gt_u32_e64 s[2:3], s14, v4
	s_and_saveexec_b64 s[4:5], s[2:3]
	;; [unrolled: 12-line block ×3, first 2 shown]
	s_cbranch_execz .LBB124_22
; %bb.21:
	v_add_u32_e32 v32, v6, v8
	v_mov_b32_e32 v33, 0
	s_waitcnt lgkmcnt(0)
	v_lshl_add_u64 v[32:33], v[32:33], 2, s[12:13]
	global_store_dword v[32:33], v65, off
.LBB124_22:
	s_or_b64 exec, exec, s[6:7]
	v_add3_u32 v8, v2, s15, 8
	v_cmp_gt_u32_e64 s[6:7], s10, v8
	s_and_b64 exec, exec, s[6:7]
	s_cbranch_execz .LBB124_64
; %bb.23:
	v_mul_lo_u32 v8, v8, s14
	s_and_saveexec_b64 s[6:7], vcc
	s_cbranch_execnz .LBB124_65
; %bb.24:
	s_or_b64 exec, exec, s[6:7]
	s_and_saveexec_b64 s[6:7], s[0:1]
	s_cbranch_execnz .LBB124_66
.LBB124_25:
	s_or_b64 exec, exec, s[6:7]
	s_and_saveexec_b64 s[6:7], s[2:3]
	s_cbranch_execnz .LBB124_67
.LBB124_26:
	s_or_b64 exec, exec, s[6:7]
	s_and_saveexec_b64 s[6:7], s[4:5]
	s_cbranch_execz .LBB124_28
.LBB124_27:
	v_add_u32_e32 v32, v8, v6
	v_mov_b32_e32 v33, 0
	s_waitcnt lgkmcnt(0)
	v_lshl_add_u64 v[32:33], v[32:33], 2, s[12:13]
	global_store_dword v[32:33], v57, off
.LBB124_28:
	s_or_b64 exec, exec, s[6:7]
	v_add3_u32 v8, v2, s15, 16
	v_cmp_gt_u32_e64 s[6:7], s10, v8
	s_and_b64 exec, exec, s[6:7]
	s_cbranch_execz .LBB124_64
; %bb.29:
	v_mul_lo_u32 v8, v8, s14
	s_and_saveexec_b64 s[6:7], vcc
	s_cbranch_execnz .LBB124_68
; %bb.30:
	s_or_b64 exec, exec, s[6:7]
	s_and_saveexec_b64 s[6:7], s[0:1]
	s_cbranch_execnz .LBB124_69
.LBB124_31:
	s_or_b64 exec, exec, s[6:7]
	s_and_saveexec_b64 s[6:7], s[2:3]
	s_cbranch_execnz .LBB124_70
.LBB124_32:
	s_or_b64 exec, exec, s[6:7]
	s_and_saveexec_b64 s[6:7], s[4:5]
	s_cbranch_execz .LBB124_34
.LBB124_33:
	v_add_u32_e32 v32, v8, v6
	v_mov_b32_e32 v33, 0
	s_waitcnt lgkmcnt(0)
	v_lshl_add_u64 v[32:33], v[32:33], 2, s[12:13]
	global_store_dword v[32:33], v47, off
.LBB124_34:
	s_or_b64 exec, exec, s[6:7]
	v_add3_u32 v8, v2, s15, 24
	v_cmp_gt_u32_e64 s[6:7], s10, v8
	s_and_b64 exec, exec, s[6:7]
	s_cbranch_execz .LBB124_64
; %bb.35:
	v_mul_lo_u32 v8, v8, s14
	s_and_saveexec_b64 s[6:7], vcc
	s_cbranch_execnz .LBB124_71
; %bb.36:
	s_or_b64 exec, exec, s[6:7]
	s_and_saveexec_b64 s[6:7], s[0:1]
	s_cbranch_execnz .LBB124_72
.LBB124_37:
	s_or_b64 exec, exec, s[6:7]
	s_and_saveexec_b64 s[6:7], s[2:3]
	s_cbranch_execnz .LBB124_73
.LBB124_38:
	s_or_b64 exec, exec, s[6:7]
	s_and_saveexec_b64 s[6:7], s[4:5]
	s_cbranch_execz .LBB124_40
.LBB124_39:
	v_add_u32_e32 v32, v8, v6
	v_mov_b32_e32 v33, 0
	s_waitcnt lgkmcnt(0)
	v_lshl_add_u64 v[32:33], v[32:33], 2, s[12:13]
	global_store_dword v[32:33], v39, off
.LBB124_40:
	s_or_b64 exec, exec, s[6:7]
	v_add3_u32 v8, v2, s15, 32
	v_cmp_gt_u32_e64 s[6:7], s10, v8
	s_and_b64 exec, exec, s[6:7]
	s_cbranch_execz .LBB124_64
; %bb.41:
	v_mul_lo_u32 v8, v8, s14
	s_and_saveexec_b64 s[6:7], vcc
	s_cbranch_execnz .LBB124_74
; %bb.42:
	s_or_b64 exec, exec, s[6:7]
	s_and_saveexec_b64 s[6:7], s[0:1]
	s_cbranch_execnz .LBB124_75
.LBB124_43:
	s_or_b64 exec, exec, s[6:7]
	s_and_saveexec_b64 s[6:7], s[2:3]
	s_cbranch_execnz .LBB124_76
.LBB124_44:
	s_or_b64 exec, exec, s[6:7]
	s_and_saveexec_b64 s[6:7], s[4:5]
	s_cbranch_execz .LBB124_46
.LBB124_45:
	v_add_u32_e32 v28, v8, v6
	v_mov_b32_e32 v29, 0
	s_waitcnt lgkmcnt(0)
	v_lshl_add_u64 v[28:29], v[28:29], 2, s[12:13]
	global_store_dword v[28:29], v27, off
.LBB124_46:
	s_or_b64 exec, exec, s[6:7]
	v_add3_u32 v8, v2, s15, 40
	v_cmp_gt_u32_e64 s[6:7], s10, v8
	s_and_b64 exec, exec, s[6:7]
	s_cbranch_execz .LBB124_64
; %bb.47:
	v_mul_lo_u32 v8, v8, s14
	s_and_saveexec_b64 s[6:7], vcc
	s_cbranch_execnz .LBB124_77
; %bb.48:
	s_or_b64 exec, exec, s[6:7]
	s_and_saveexec_b64 s[6:7], s[0:1]
	s_cbranch_execnz .LBB124_78
.LBB124_49:
	s_or_b64 exec, exec, s[6:7]
	s_and_saveexec_b64 s[6:7], s[2:3]
	s_cbranch_execnz .LBB124_79
.LBB124_50:
	s_or_b64 exec, exec, s[6:7]
	s_and_saveexec_b64 s[6:7], s[4:5]
	s_cbranch_execz .LBB124_52
.LBB124_51:
	v_add_u32_e32 v20, v8, v6
	v_mov_b32_e32 v21, 0
	s_waitcnt lgkmcnt(0)
	v_lshl_add_u64 v[20:21], v[20:21], 2, s[12:13]
	global_store_dword v[20:21], v19, off
.LBB124_52:
	s_or_b64 exec, exec, s[6:7]
	v_add3_u32 v8, v2, s15, 48
	v_cmp_gt_u32_e64 s[6:7], s10, v8
	s_and_b64 exec, exec, s[6:7]
	s_cbranch_execz .LBB124_64
; %bb.53:
	v_mul_lo_u32 v8, v8, s14
	s_and_saveexec_b64 s[6:7], vcc
	s_cbranch_execnz .LBB124_80
; %bb.54:
	s_or_b64 exec, exec, s[6:7]
	s_and_saveexec_b64 s[6:7], s[0:1]
	s_cbranch_execnz .LBB124_81
.LBB124_55:
	s_or_b64 exec, exec, s[6:7]
	s_and_saveexec_b64 s[6:7], s[2:3]
	s_cbranch_execnz .LBB124_82
.LBB124_56:
	s_or_b64 exec, exec, s[6:7]
	s_and_saveexec_b64 s[6:7], s[4:5]
	s_cbranch_execz .LBB124_58
.LBB124_57:
	v_add_u32_e32 v12, v8, v6
	v_mov_b32_e32 v13, 0
	s_waitcnt lgkmcnt(0)
	v_lshl_add_u64 v[12:13], v[12:13], 2, s[12:13]
	global_store_dword v[12:13], v11, off
.LBB124_58:
	s_or_b64 exec, exec, s[6:7]
	v_add3_u32 v2, v2, s15, 56
	v_cmp_gt_u32_e64 s[6:7], s10, v2
	s_and_b64 exec, exec, s[6:7]
	s_cbranch_execz .LBB124_64
; %bb.59:
	v_mul_lo_u32 v2, v2, s14
	s_and_saveexec_b64 s[6:7], vcc
	s_cbranch_execnz .LBB124_83
; %bb.60:
	s_or_b64 exec, exec, s[6:7]
	s_and_saveexec_b64 s[6:7], s[0:1]
	s_cbranch_execnz .LBB124_84
.LBB124_61:
	s_or_b64 exec, exec, s[6:7]
	s_and_saveexec_b64 s[0:1], s[2:3]
	s_cbranch_execnz .LBB124_85
.LBB124_62:
	s_or_b64 exec, exec, s[0:1]
	s_and_b64 exec, exec, s[4:5]
	s_cbranch_execz .LBB124_64
.LBB124_63:
	v_add_u32_e32 v2, v2, v6
	v_mov_b32_e32 v3, 0
	s_waitcnt lgkmcnt(0)
	v_lshl_add_u64 v[2:3], v[2:3], 2, s[12:13]
	global_store_dword v[2:3], v1, off
.LBB124_64:
	s_endpgm
.LBB124_65:
	v_add_u32_e32 v32, v8, v0
	v_mov_b32_e32 v33, 0
	s_waitcnt lgkmcnt(0)
	v_lshl_add_u64 v[32:33], v[32:33], 2, s[12:13]
	global_store_dword v[32:33], v63, off
	s_or_b64 exec, exec, s[6:7]
	s_and_saveexec_b64 s[6:7], s[0:1]
	s_cbranch_execz .LBB124_25
.LBB124_66:
	v_add_u32_e32 v32, v8, v3
	v_mov_b32_e32 v33, 0
	s_waitcnt lgkmcnt(0)
	v_lshl_add_u64 v[32:33], v[32:33], 2, s[12:13]
	global_store_dword v[32:33], v61, off
	s_or_b64 exec, exec, s[6:7]
	s_and_saveexec_b64 s[6:7], s[2:3]
	s_cbranch_execz .LBB124_26
.LBB124_67:
	v_add_u32_e32 v32, v8, v4
	v_mov_b32_e32 v33, 0
	s_waitcnt lgkmcnt(0)
	v_lshl_add_u64 v[32:33], v[32:33], 2, s[12:13]
	global_store_dword v[32:33], v59, off
	s_or_b64 exec, exec, s[6:7]
	s_and_saveexec_b64 s[6:7], s[4:5]
	s_cbranch_execnz .LBB124_27
	s_branch .LBB124_28
.LBB124_68:
	v_add_u32_e32 v32, v8, v0
	v_mov_b32_e32 v33, 0
	s_waitcnt lgkmcnt(0)
	v_lshl_add_u64 v[32:33], v[32:33], 2, s[12:13]
	global_store_dword v[32:33], v55, off
	s_or_b64 exec, exec, s[6:7]
	s_and_saveexec_b64 s[6:7], s[0:1]
	s_cbranch_execz .LBB124_31
.LBB124_69:
	v_add_u32_e32 v32, v8, v3
	v_mov_b32_e32 v33, 0
	s_waitcnt lgkmcnt(0)
	v_lshl_add_u64 v[32:33], v[32:33], 2, s[12:13]
	global_store_dword v[32:33], v51, off
	s_or_b64 exec, exec, s[6:7]
	s_and_saveexec_b64 s[6:7], s[2:3]
	s_cbranch_execz .LBB124_32
.LBB124_70:
	v_add_u32_e32 v32, v8, v4
	v_mov_b32_e32 v33, 0
	s_waitcnt lgkmcnt(0)
	v_lshl_add_u64 v[32:33], v[32:33], 2, s[12:13]
	global_store_dword v[32:33], v49, off
	s_or_b64 exec, exec, s[6:7]
	s_and_saveexec_b64 s[6:7], s[4:5]
	s_cbranch_execnz .LBB124_33
	s_branch .LBB124_34
.LBB124_71:
	v_add_u32_e32 v32, v8, v0
	v_mov_b32_e32 v33, 0
	s_waitcnt lgkmcnt(0)
	v_lshl_add_u64 v[32:33], v[32:33], 2, s[12:13]
	global_store_dword v[32:33], v45, off
	s_or_b64 exec, exec, s[6:7]
	s_and_saveexec_b64 s[6:7], s[0:1]
	s_cbranch_execz .LBB124_37
.LBB124_72:
	v_add_u32_e32 v32, v8, v3
	v_mov_b32_e32 v33, 0
	s_waitcnt lgkmcnt(0)
	v_lshl_add_u64 v[32:33], v[32:33], 2, s[12:13]
	global_store_dword v[32:33], v43, off
	s_or_b64 exec, exec, s[6:7]
	s_and_saveexec_b64 s[6:7], s[2:3]
	s_cbranch_execz .LBB124_38
.LBB124_73:
	v_add_u32_e32 v32, v8, v4
	v_mov_b32_e32 v33, 0
	s_waitcnt lgkmcnt(0)
	v_lshl_add_u64 v[32:33], v[32:33], 2, s[12:13]
	global_store_dword v[32:33], v41, off
	s_or_b64 exec, exec, s[6:7]
	s_and_saveexec_b64 s[6:7], s[4:5]
	s_cbranch_execnz .LBB124_39
	s_branch .LBB124_40
.LBB124_74:
	v_add_u32_e32 v32, v8, v0
	v_mov_b32_e32 v33, 0
	s_waitcnt lgkmcnt(0)
	v_lshl_add_u64 v[32:33], v[32:33], 2, s[12:13]
	global_store_dword v[32:33], v35, off
	s_or_b64 exec, exec, s[6:7]
	s_and_saveexec_b64 s[6:7], s[0:1]
	s_cbranch_execz .LBB124_43
.LBB124_75:
	v_add_u32_e32 v32, v8, v3
	v_mov_b32_e32 v33, 0
	s_waitcnt lgkmcnt(0)
	v_lshl_add_u64 v[32:33], v[32:33], 2, s[12:13]
	global_store_dword v[32:33], v31, off
	s_or_b64 exec, exec, s[6:7]
	s_and_saveexec_b64 s[6:7], s[2:3]
	s_cbranch_execz .LBB124_44
.LBB124_76:
	v_add_u32_e32 v30, v8, v4
	v_mov_b32_e32 v31, 0
	s_waitcnt lgkmcnt(0)
	v_lshl_add_u64 v[30:31], v[30:31], 2, s[12:13]
	global_store_dword v[30:31], v29, off
	s_or_b64 exec, exec, s[6:7]
	s_and_saveexec_b64 s[6:7], s[4:5]
	s_cbranch_execnz .LBB124_45
	s_branch .LBB124_46
.LBB124_77:
	v_add_u32_e32 v26, v8, v0
	v_mov_b32_e32 v27, 0
	s_waitcnt lgkmcnt(0)
	v_lshl_add_u64 v[26:27], v[26:27], 2, s[12:13]
	global_store_dword v[26:27], v25, off
	s_or_b64 exec, exec, s[6:7]
	s_and_saveexec_b64 s[6:7], s[0:1]
	s_cbranch_execz .LBB124_49
.LBB124_78:
	v_add_u32_e32 v24, v8, v3
	v_mov_b32_e32 v25, 0
	s_waitcnt lgkmcnt(0)
	v_lshl_add_u64 v[24:25], v[24:25], 2, s[12:13]
	global_store_dword v[24:25], v23, off
	s_or_b64 exec, exec, s[6:7]
	s_and_saveexec_b64 s[6:7], s[2:3]
	s_cbranch_execz .LBB124_50
.LBB124_79:
	v_add_u32_e32 v22, v8, v4
	v_mov_b32_e32 v23, 0
	s_waitcnt lgkmcnt(0)
	v_lshl_add_u64 v[22:23], v[22:23], 2, s[12:13]
	global_store_dword v[22:23], v21, off
	s_or_b64 exec, exec, s[6:7]
	s_and_saveexec_b64 s[6:7], s[4:5]
	s_cbranch_execnz .LBB124_51
	s_branch .LBB124_52
.LBB124_80:
	v_add_u32_e32 v18, v8, v0
	v_mov_b32_e32 v19, 0
	s_waitcnt lgkmcnt(0)
	v_lshl_add_u64 v[18:19], v[18:19], 2, s[12:13]
	global_store_dword v[18:19], v17, off
	s_or_b64 exec, exec, s[6:7]
	s_and_saveexec_b64 s[6:7], s[0:1]
	s_cbranch_execz .LBB124_55
.LBB124_81:
	v_add_u32_e32 v16, v8, v3
	v_mov_b32_e32 v17, 0
	s_waitcnt lgkmcnt(0)
	v_lshl_add_u64 v[16:17], v[16:17], 2, s[12:13]
	global_store_dword v[16:17], v15, off
	s_or_b64 exec, exec, s[6:7]
	s_and_saveexec_b64 s[6:7], s[2:3]
	s_cbranch_execz .LBB124_56
.LBB124_82:
	v_add_u32_e32 v14, v8, v4
	v_mov_b32_e32 v15, 0
	s_waitcnt lgkmcnt(0)
	v_lshl_add_u64 v[14:15], v[14:15], 2, s[12:13]
	global_store_dword v[14:15], v13, off
	s_or_b64 exec, exec, s[6:7]
	s_and_saveexec_b64 s[6:7], s[4:5]
	s_cbranch_execnz .LBB124_57
	s_branch .LBB124_58
.LBB124_83:
	v_add_u32_e32 v10, v2, v0
	v_mov_b32_e32 v11, 0
	s_waitcnt lgkmcnt(0)
	v_lshl_add_u64 v[10:11], v[10:11], 2, s[12:13]
	global_store_dword v[10:11], v9, off
	s_or_b64 exec, exec, s[6:7]
	s_and_saveexec_b64 s[6:7], s[0:1]
	s_cbranch_execz .LBB124_61
.LBB124_84:
	v_add_u32_e32 v8, v2, v3
	v_mov_b32_e32 v9, 0
	s_waitcnt lgkmcnt(0)
	v_lshl_add_u64 v[8:9], v[8:9], 2, s[12:13]
	global_store_dword v[8:9], v7, off
	s_or_b64 exec, exec, s[6:7]
	s_and_saveexec_b64 s[0:1], s[2:3]
	s_cbranch_execz .LBB124_62
.LBB124_85:
	v_add_u32_e32 v8, v2, v4
	v_mov_b32_e32 v9, 0
	s_waitcnt lgkmcnt(0)
	v_lshl_add_u64 v[8:9], v[8:9], 2, s[12:13]
	global_store_dword v[8:9], v5, off
	s_or_b64 exec, exec, s[0:1]
	s_and_b64 exec, exec, s[4:5]
	s_cbranch_execnz .LBB124_63
	s_branch .LBB124_64
	.section	.rodata,"a",@progbits
	.p2align	6, 0x0
	.amdhsa_kernel _ZL12mul_mat_q5_1IfLb1EEvPKvS1_PT_iiiii
		.amdhsa_group_segment_fixed_size 46720
		.amdhsa_private_segment_fixed_size 0
		.amdhsa_kernarg_size 44
		.amdhsa_user_sgpr_count 2
		.amdhsa_user_sgpr_dispatch_ptr 0
		.amdhsa_user_sgpr_queue_ptr 0
		.amdhsa_user_sgpr_kernarg_segment_ptr 1
		.amdhsa_user_sgpr_dispatch_id 0
		.amdhsa_user_sgpr_kernarg_preload_length 0
		.amdhsa_user_sgpr_kernarg_preload_offset 0
		.amdhsa_user_sgpr_private_segment_size 0
		.amdhsa_uses_dynamic_stack 0
		.amdhsa_enable_private_segment 0
		.amdhsa_system_sgpr_workgroup_id_x 1
		.amdhsa_system_sgpr_workgroup_id_y 1
		.amdhsa_system_sgpr_workgroup_id_z 0
		.amdhsa_system_sgpr_workgroup_info 0
		.amdhsa_system_vgpr_workitem_id 1
		.amdhsa_next_free_vgpr 169
		.amdhsa_next_free_sgpr 18
		.amdhsa_accum_offset 172
		.amdhsa_reserve_vcc 1
		.amdhsa_float_round_mode_32 0
		.amdhsa_float_round_mode_16_64 0
		.amdhsa_float_denorm_mode_32 3
		.amdhsa_float_denorm_mode_16_64 3
		.amdhsa_dx10_clamp 1
		.amdhsa_ieee_mode 1
		.amdhsa_fp16_overflow 0
		.amdhsa_tg_split 0
		.amdhsa_exception_fp_ieee_invalid_op 0
		.amdhsa_exception_fp_denorm_src 0
		.amdhsa_exception_fp_ieee_div_zero 0
		.amdhsa_exception_fp_ieee_overflow 0
		.amdhsa_exception_fp_ieee_underflow 0
		.amdhsa_exception_fp_ieee_inexact 0
		.amdhsa_exception_int_div_zero 0
	.end_amdhsa_kernel
	.section	.text._ZL12mul_mat_q5_1IfLb1EEvPKvS1_PT_iiiii,"axG",@progbits,_ZL12mul_mat_q5_1IfLb1EEvPKvS1_PT_iiiii,comdat
.Lfunc_end124:
	.size	_ZL12mul_mat_q5_1IfLb1EEvPKvS1_PT_iiiii, .Lfunc_end124-_ZL12mul_mat_q5_1IfLb1EEvPKvS1_PT_iiiii
                                        ; -- End function
	.section	.AMDGPU.csdata,"",@progbits
; Kernel info:
; codeLenInByte = 12720
; NumSgprs: 24
; NumVgprs: 169
; NumAgprs: 0
; TotalNumVgprs: 169
; ScratchSize: 0
; MemoryBound: 0
; FloatMode: 240
; IeeeMode: 1
; LDSByteSize: 46720 bytes/workgroup (compile time only)
; SGPRBlocks: 2
; VGPRBlocks: 21
; NumSGPRsForWavesPerEU: 24
; NumVGPRsForWavesPerEU: 169
; AccumOffset: 172
; Occupancy: 1
; WaveLimiterHint : 0
; COMPUTE_PGM_RSRC2:SCRATCH_EN: 0
; COMPUTE_PGM_RSRC2:USER_SGPR: 2
; COMPUTE_PGM_RSRC2:TRAP_HANDLER: 0
; COMPUTE_PGM_RSRC2:TGID_X_EN: 1
; COMPUTE_PGM_RSRC2:TGID_Y_EN: 1
; COMPUTE_PGM_RSRC2:TGID_Z_EN: 0
; COMPUTE_PGM_RSRC2:TIDIG_COMP_CNT: 1
; COMPUTE_PGM_RSRC3_GFX90A:ACCUM_OFFSET: 42
; COMPUTE_PGM_RSRC3_GFX90A:TG_SPLIT: 0
	.section	.text._ZL12mul_mat_q8_0IfLb0EEvPKvS1_PT_iiiii,"axG",@progbits,_ZL12mul_mat_q8_0IfLb0EEvPKvS1_PT_iiiii,comdat
	.globl	_ZL12mul_mat_q8_0IfLb0EEvPKvS1_PT_iiiii ; -- Begin function _ZL12mul_mat_q8_0IfLb0EEvPKvS1_PT_iiiii
	.p2align	8
	.type	_ZL12mul_mat_q8_0IfLb0EEvPKvS1_PT_iiiii,@function
_ZL12mul_mat_q8_0IfLb0EEvPKvS1_PT_iiiii: ; @_ZL12mul_mat_q8_0IfLb0EEvPKvS1_PT_iiiii
; %bb.0:
	s_load_dword s7, s[0:1], 0x18
	s_load_dwordx4 s[8:11], s[0:1], 0x20
	s_waitcnt lgkmcnt(0)
	s_lshl_b32 s11, s3, 6
	v_bfe_u32 v37, v0, 10, 10
	s_cmp_gt_i32 s7, 31
	s_cbranch_scc1 .LBB125_2
; %bb.1:
	v_bfe_u32 v34, v0, 10, 10
	v_and_b32_e32 v1, 0x3ff, v0
	v_add_u32_e32 v39, s11, v34
	s_mov_b64 s[4:5], 0
	s_mov_b32 s3, 0
	s_branch .LBB125_3
.LBB125_2:
	s_mov_b64 s[4:5], -1
                                        ; implicit-def: $sgpr3
                                        ; implicit-def: $vgpr34
                                        ; implicit-def: $vgpr1
                                        ; implicit-def: $vgpr39
.LBB125_3:
	s_load_dwordx2 s[12:13], s[0:1], 0x10
	s_lshl_b32 s6, s2, 7
	s_andn2_b64 vcc, exec, s[4:5]
	v_mov_b32_e32 v3, s3
	v_mov_b32_e32 v2, s3
	;; [unrolled: 1-line block ×32, first 2 shown]
	s_cbranch_vccnz .LBB125_9
; %bb.4:
	s_ashr_i32 s4, s7, 31
	s_load_dwordx4 s[0:3], s[0:1], 0x0
	s_lshr_b32 s4, s4, 27
	s_ashr_i32 s5, s9, 31
	s_add_i32 s7, s7, s4
	s_lshr_b32 s5, s5, 27
	s_ashr_i32 s4, s7, 5
	s_add_i32 s5, s9, s5
	s_ashr_i32 s9, s5, 5
	s_mul_i32 s5, s4, s6
	s_mul_hi_i32 s7, s5, 34
	s_mul_i32 s5, s5, 34
	s_waitcnt lgkmcnt(0)
	s_add_u32 s5, s0, s5
	v_and_b32_e32 v1, 0x3ff, v0
	s_addc_u32 s7, s1, s7
	v_lshlrev_b32_e32 v2, 2, v1
	s_movk_i32 s1, 0x84
	v_mul_lo_u32 v36, s4, v37
	v_mad_u32_u24 v41, v37, s1, v2
	s_lshl_b32 s1, s4, 3
	v_add_u32_e32 v38, s1, v36
	v_add_u32_e32 v40, s1, v38
	;; [unrolled: 1-line block ×11, first 2 shown]
	v_and_b32_e32 v34, 28, v2
	v_add_u32_e32 v60, s1, v58
	v_lshlrev_b32_e32 v2, 3, v37
	v_lshrrev_b32_e32 v3, 2, v1
	v_add_u32_e32 v62, s1, v60
	v_add_u32_e32 v4, v3, v2
	v_add_u16_e32 v2, v3, v2
	v_add_u32_e32 v64, s1, v62
	v_and_b32_e32 v68, 3, v1
	v_lshrrev_b16_e32 v2, 1, v2
	v_add_u32_e32 v66, s1, v64
	v_and_b32_e32 v2, 0x7fc, v2
	v_lshlrev_b32_e32 v5, 2, v68
	s_movk_i32 s1, 0x6200
	v_add3_u32 v6, v2, v5, s1
	v_add_u32_e32 v2, 64, v4
	v_mul_lo_u32 v70, s4, v4
	v_lshlrev_b32_e32 v7, 4, v4
	v_lshrrev_b32_e32 v3, 1, v2
	v_and_b32_e32 v4, 63, v4
	v_and_b32_e32 v3, 0xffc, v3
	v_add_u32_e32 v39, s11, v37
	s_add_i32 s14, s8, -1
	v_or_b32_e32 v11, s11, v4
	v_lshl_or_b32 v4, v4, 4, v5
	v_add3_u32 v8, v3, v5, s1
	v_lshlrev_b32_e32 v9, 4, v2
	v_cvt_f64_i32_e32 v[2:3], s14
	v_add_u32_e32 v73, 0x6a40, v4
	v_cvt_f64_u32_e32 v[4:5], v39
	v_add_u32_e32 v69, 0x39c0, v41
	v_min_i32_e32 v11, s14, v11
	v_min_f64 v[4:5], v[4:5], v[2:3]
	v_mad_u64_u32 v[76:77], s[14:15], v11, s9, v[68:69]
	v_cvt_i32_f64_e32 v4, v[4:5]
	v_mul_lo_u32 v77, s9, v4
	v_add_u32_e32 v4, 8, v39
	v_cvt_f64_u32_e32 v[4:5], v4
	v_min_f64 v[4:5], v[4:5], v[2:3]
	v_cvt_i32_f64_e32 v4, v[4:5]
	v_mul_lo_u32 v81, s9, v4
	v_add_u32_e32 v4, 16, v39
	v_cvt_f64_u32_e32 v[4:5], v4
	v_min_f64 v[4:5], v[4:5], v[2:3]
	;; [unrolled: 5-line block ×7, first 2 shown]
	v_add_u32_e32 v4, 0x60, v1
	v_cvt_i32_f64_e32 v2, v[2:3]
	v_add_u32_e32 v3, 64, v1
	v_lshrrev_b32_e32 v4, 1, v4
	v_mul_lo_u32 v129, s9, v2
	v_add_u32_e32 v2, 32, v1
	v_lshlrev_b32_e32 v5, 4, v1
	v_and_b32_e32 v4, 0xfc, v4
	s_movk_i32 s9, 0x6800
	v_lshrrev_b32_e32 v3, 1, v3
	v_add3_u32 v133, v5, v4, s9
	v_and_b32_e32 v3, 0xfc, v3
	s_movk_i32 s9, 0x6600
	v_lshrrev_b32_e32 v2, 1, v2
	v_lshrrev_b32_e32 v0, 3, v1
	v_add3_u32 v134, v5, v3, s9
	v_and_b32_e32 v2, 0xfc, v2
	s_movk_i32 s9, 0x6400
	s_mov_b32 s0, 0
	v_and_b32_e32 v10, 31, v1
	v_lshlrev_b32_e32 v11, 7, v37
	v_add3_u32 v135, v5, v2, s9
	v_lshlrev_b32_e32 v2, 2, v0
	v_mov_b32_e32 v35, 0
	v_lshl_or_b32 v10, v10, 2, v11
	v_add3_u32 v136, v5, v2, s1
	v_mov_b32_e32 v2, 0x6a40
	s_mov_b32 s1, s0
	v_add_u32_e32 v43, 0x420, v41
	v_add_u32_e32 v45, 0x840, v41
	;; [unrolled: 1-line block ×14, first 2 shown]
	v_lshl_add_u32 v72, s4, 6, v70
	v_lshl_add_u64 v[74:75], s[2:3], 0, v[34:35]
	v_add_u32_e32 v79, 0x4200, v10
	v_add_u32_e32 v83, 0x4600, v10
	;; [unrolled: 1-line block ×8, first 2 shown]
	v_mul_u32_u24_e32 v131, 0x84, v1
	v_add_u32_e32 v132, 0x4200, v11
	v_lshl_add_u32 v137, v37, 4, v2
	v_mov_b64_e32 v[32:33], s[0:1]
	v_add_u32_e32 v138, v6, v7
	v_add_u32_e32 v139, v8, v9
	v_mov_b64_e32 v[24:25], s[0:1]
	v_mov_b64_e32 v[16:17], s[0:1]
	;; [unrolled: 1-line block ×15, first 2 shown]
.LBB125_5:                              ; =>This Loop Header: Depth=1
                                        ;     Child Loop BB125_6 Depth 2
	s_mul_i32 s9, s0, 34
	s_mul_hi_u32 s1, s0, 34
	s_add_u32 s14, s5, s9
	s_addc_u32 s15, s7, s1
	v_mad_u64_u32 v[84:85], s[16:17], v0, 34, s[14:15]
	v_lshl_add_u64 v[84:85], v[84:85], 0, v[34:35]
	v_lshl_add_u64 v[84:85], v[84:85], 0, 2
	v_mad_u64_u32 v[88:89], s[16:17], v36, 34, v[84:85]
	v_mad_u64_u32 v[90:91], s[16:17], v38, 34, v[84:85]
	;; [unrolled: 1-line block ×8, first 2 shown]
	global_load_dword v78, v[88:89], off
	global_load_dword v80, v[90:91], off
	;; [unrolled: 1-line block ×8, first 2 shown]
	v_mad_u64_u32 v[88:89], s[16:17], v52, 34, v[84:85]
	v_mad_u64_u32 v[90:91], s[16:17], v54, 34, v[84:85]
	;; [unrolled: 1-line block ×8, first 2 shown]
	global_load_dword v108, v[88:89], off
	global_load_dword v109, v[90:91], off
                                        ; kill: killed $vgpr90_vgpr91
                                        ; kill: killed $vgpr88_vgpr89
	global_load_dword v110, v[92:93], off
	global_load_dword v111, v[94:95], off
	;; [unrolled: 1-line block ×4, first 2 shown]
                                        ; kill: killed $vgpr94_vgpr95
                                        ; kill: killed $vgpr92_vgpr93
                                        ; kill: killed $vgpr98_vgpr99
                                        ; kill: killed $vgpr96_vgpr97
	global_load_dword v114, v[100:101], off
	global_load_dword v115, v[84:85], off
	v_mad_u64_u32 v[84:85], s[14:15], v68, 34, s[14:15]
	v_mad_u64_u32 v[88:89], s[14:15], v70, 34, v[84:85]
	;; [unrolled: 1-line block ×3, first 2 shown]
	v_add_u32_e32 v100, s0, v0
	global_load_ushort v116, v[88:89], off
	global_load_ushort v117, v[84:85], off
	v_add_u32_e32 v84, v100, v77
	v_add_u32_e32 v88, v100, v81
	;; [unrolled: 1-line block ×5, first 2 shown]
	v_mad_i64_i32 v[84:85], s[14:15], v84, 36, v[74:75]
	v_mad_i64_i32 v[88:89], s[14:15], v88, 36, v[74:75]
	;; [unrolled: 1-line block ×5, first 2 shown]
	v_add_u32_e32 v96, v100, v125
	v_add_u32_e32 v98, v100, v127
	;; [unrolled: 1-line block ×4, first 2 shown]
	v_mad_i64_i32 v[96:97], s[14:15], v96, 36, v[74:75]
	v_mad_i64_i32 v[98:99], s[14:15], v98, 36, v[74:75]
	;; [unrolled: 1-line block ×3, first 2 shown]
	v_mad_u64_u32 v[102:103], s[14:15], v102, 36, s[2:3]
	global_load_dword v84, v[84:85], off offset:4
	s_nop 0
	global_load_dword v85, v[88:89], off offset:4
	s_nop 0
	global_load_dword v88, v[90:91], off offset:4
	global_load_dword v89, v[92:93], off offset:4
	s_nop 0
	global_load_dword v90, v[94:95], off offset:4
	global_load_dword v91, v[102:103], off
	global_load_dword v92, v[96:97], off offset:4
	global_load_dword v93, v[98:99], off offset:4
	s_nop 0
	global_load_dword v94, v[100:101], off offset:4
	s_mov_b32 s1, -8
	v_mov_b32_e32 v140, v137
	v_mov_b32_e32 v141, v136
	;; [unrolled: 1-line block ×7, first 2 shown]
	s_waitcnt vmcnt(26)
	ds_write_b32 v41, v78
	s_waitcnt vmcnt(25)
	ds_write_b32 v43, v80
	;; [unrolled: 2-line block ×14, first 2 shown]
	s_waitcnt vmcnt(10)
	v_cvt_f32_f16_e32 v78, v116
	s_waitcnt vmcnt(9)
	v_cvt_f32_f16_e32 v80, v117
	ds_write_b32 v69, v114
	ds_write_b32 v71, v115
	;; [unrolled: 1-line block ×4, first 2 shown]
	s_waitcnt vmcnt(8)
	ds_write_b32 v79, v84
	s_waitcnt vmcnt(7)
	ds_write_b32 v83, v85
	;; [unrolled: 2-line block ×5, first 2 shown]
	s_waitcnt vmcnt(3)
	v_cvt_f32_f16_e32 v78, v91
	s_waitcnt vmcnt(2)
	ds_write_b32 v126, v92
	s_waitcnt vmcnt(1)
	ds_write_b32 v128, v93
	;; [unrolled: 2-line block ×3, first 2 shown]
	ds_write_b32 v73, v78
	s_waitcnt lgkmcnt(0)
	s_barrier
.LBB125_6:                              ;   Parent Loop BB125_5 Depth=1
                                        ; =>  This Inner Loop Header: Depth=2
	v_add_u32_e32 v80, 0x1080, v146
	ds_read2_b32 v[118:119], v140 offset1:32
	ds_read_b128 v[148:151], v145
	ds_read_b128 v[152:155], v145 offset:16
	ds_read_b32 v82, v141
	ds_read2_b32 v[90:91], v146 offset1:1
	ds_read2_b32 v[98:99], v146 offset0:2 offset1:3
	ds_read2_b32 v[104:105], v146 offset0:4 offset1:5
	;; [unrolled: 1-line block ×3, first 2 shown]
	ds_read_b32 v78, v142
	ds_read2_b32 v[84:85], v80 offset1:1
	v_add_u32_e32 v80, 0x1088, v146
	ds_read2_b32 v[92:93], v80 offset1:1
	v_add_u32_e32 v80, 0x1090, v146
	;; [unrolled: 2-line block ×3, first 2 shown]
	v_add_u32_e32 v86, 0x2100, v146
	ds_read2_b32 v[110:111], v80 offset1:1
	ds_read_b32 v80, v143
	ds_read2_b32 v[88:89], v86 offset1:1
	v_add_u32_e32 v86, 0x2108, v146
	ds_read2_b32 v[96:97], v86 offset1:1
	v_add_u32_e32 v86, 0x2110, v146
	ds_read2_b32 v[106:107], v86 offset1:1
	v_add_u32_e32 v86, 0x2118, v146
	v_add_u32_e32 v94, 0x3180, v146
	ds_read2_b32 v[114:115], v86 offset1:1
	ds_read_b32 v86, v144
	ds_read2_b32 v[94:95], v94 offset1:1
	v_add_u32_e32 v102, 0x3188, v146
	ds_read2_b32 v[102:103], v102 offset1:1
	v_add_u32_e32 v112, 0x3190, v146
	ds_read2_b32 v[112:113], v112 offset1:1
	v_mov_b32_e32 v147, 0
	v_mov_b32_e32 v160, 0
	;; [unrolled: 1-line block ×4, first 2 shown]
	s_waitcnt lgkmcnt(14)
	v_dot4c_i32_i8_e32 v147, v90, v148
	s_waitcnt lgkmcnt(12)
	v_dot4c_i32_i8_e32 v160, v84, v148
	;; [unrolled: 2-line block ×4, first 2 shown]
	v_add_u32_e32 v116, 0x3198, v146
	ds_read2_b32 v[116:117], v116 offset1:1
	v_dot4c_i32_i8_e32 v147, v91, v149
	v_dot4c_i32_i8_e32 v160, v85, v149
	v_dot4c_i32_i8_e32 v161, v89, v149
	v_dot4c_i32_i8_e32 v162, v95, v149
	v_dot4c_i32_i8_e32 v147, v98, v150
	v_dot4c_i32_i8_e32 v160, v92, v150
	v_dot4c_i32_i8_e32 v161, v96, v150
	s_waitcnt lgkmcnt(2)
	v_dot4c_i32_i8_e32 v162, v102, v150
	v_dot4c_i32_i8_e32 v147, v99, v151
	v_dot4c_i32_i8_e32 v160, v93, v151
	v_dot4c_i32_i8_e32 v161, v97, v151
	v_dot4c_i32_i8_e32 v162, v103, v151
	v_dot4c_i32_i8_e32 v147, v104, v152
	v_dot4c_i32_i8_e32 v160, v100, v152
	v_dot4c_i32_i8_e32 v161, v106, v152
	s_waitcnt lgkmcnt(1)
	v_dot4c_i32_i8_e32 v162, v112, v152
	;; [unrolled: 9-line block ×3, first 2 shown]
	v_dot4c_i32_i8_e32 v147, v109, v155
	v_dot4c_i32_i8_e32 v160, v111, v155
	v_dot4c_i32_i8_e32 v161, v115, v155
	v_dot4c_i32_i8_e32 v162, v117, v155
	ds_read_b128 v[148:151], v145 offset:1024
	ds_read_b128 v[152:155], v145 offset:1040
	v_mov_b32_e32 v158, 0
	v_pk_mul_f32 v[156:157], v[82:83], v[118:119] op_sel_hi:[0,1]
	s_add_i32 s1, s1, 8
	s_waitcnt lgkmcnt(1)
	v_dot4c_i32_i8_e32 v158, v90, v148
	v_dot4c_i32_i8_e32 v158, v91, v149
	;; [unrolled: 1-line block ×4, first 2 shown]
	s_waitcnt lgkmcnt(0)
	v_dot4c_i32_i8_e32 v158, v104, v152
	v_dot4c_i32_i8_e32 v158, v105, v153
	v_dot4c_i32_i8_e32 v158, v108, v154
	v_dot4c_i32_i8_e32 v158, v109, v155
	v_add_u32_e32 v146, 32, v146
	v_add_u32_e32 v144, 4, v144
	;; [unrolled: 1-line block ×3, first 2 shown]
	v_cvt_f32_i32_e32 v159, v158
	v_cvt_f32_i32_e32 v158, v147
	v_mov_b32_e32 v147, 0
	v_dot4c_i32_i8_e32 v147, v84, v148
	v_dot4c_i32_i8_e32 v147, v85, v149
	;; [unrolled: 1-line block ×8, first 2 shown]
	v_pk_fma_f32 v[32:33], v[156:157], v[158:159], v[32:33]
	v_cvt_f32_i32_e32 v158, v160
	v_pk_mul_f32 v[156:157], v[78:79], v[118:119] op_sel_hi:[0,1]
	v_cvt_f32_i32_e32 v159, v147
	v_mov_b32_e32 v147, 0
	v_dot4c_i32_i8_e32 v147, v88, v148
	v_dot4c_i32_i8_e32 v147, v89, v149
	;; [unrolled: 1-line block ×8, first 2 shown]
	v_pk_fma_f32 v[30:31], v[156:157], v[158:159], v[30:31]
	v_pk_mul_f32 v[156:157], v[80:81], v[118:119] op_sel_hi:[0,1]
	v_pk_mul_f32 v[118:119], v[86:87], v[118:119] op_sel_hi:[0,1]
	v_cvt_f32_i32_e32 v159, v147
	v_mov_b32_e32 v147, 0
	v_dot4c_i32_i8_e32 v147, v94, v148
	v_dot4c_i32_i8_e32 v147, v95, v149
	v_dot4c_i32_i8_e32 v147, v102, v150
	v_dot4c_i32_i8_e32 v147, v103, v151
	v_dot4c_i32_i8_e32 v147, v112, v152
	v_dot4c_i32_i8_e32 v147, v113, v153
	v_dot4c_i32_i8_e32 v147, v116, v154
	v_dot4c_i32_i8_e32 v147, v117, v155
	v_cvt_f32_i32_e32 v148, v162
	v_cvt_f32_i32_e32 v158, v161
	v_mov_b32_e32 v160, 0
	v_cvt_f32_i32_e32 v149, v147
	v_mov_b32_e32 v147, 0
	v_mov_b32_e32 v161, 0
	;; [unrolled: 1-line block ×3, first 2 shown]
	v_pk_fma_f32 v[26:27], v[118:119], v[148:149], v[26:27]
	ds_read2_b32 v[118:119], v140 offset0:64 offset1:96
	ds_read_b128 v[148:151], v145 offset:2048
	ds_read_b128 v[152:155], v145 offset:2064
	v_pk_fma_f32 v[28:29], v[156:157], v[158:159], v[28:29]
	v_mov_b32_e32 v158, 0
	s_waitcnt lgkmcnt(2)
	v_pk_mul_f32 v[156:157], v[82:83], v[118:119] op_sel_hi:[0,1]
	s_waitcnt lgkmcnt(1)
	v_dot4c_i32_i8_e32 v147, v90, v148
	v_dot4c_i32_i8_e32 v160, v84, v148
	;; [unrolled: 1-line block ×16, first 2 shown]
	s_waitcnt lgkmcnt(0)
	v_dot4c_i32_i8_e32 v147, v104, v152
	v_dot4c_i32_i8_e32 v160, v100, v152
	;; [unrolled: 1-line block ×16, first 2 shown]
	ds_read_b128 v[148:151], v145 offset:3072
	ds_read_b128 v[152:155], v145 offset:3088
	v_add_u32_e32 v142, 4, v142
	v_add_u32_e32 v141, 4, v141
	s_cmp_lt_u32 s1, 24
	s_waitcnt lgkmcnt(1)
	v_dot4c_i32_i8_e32 v158, v90, v148
	v_dot4c_i32_i8_e32 v158, v91, v149
	;; [unrolled: 1-line block ×4, first 2 shown]
	s_waitcnt lgkmcnt(0)
	v_dot4c_i32_i8_e32 v158, v104, v152
	v_dot4c_i32_i8_e32 v158, v105, v153
	;; [unrolled: 1-line block ×4, first 2 shown]
	s_nop 2
	v_cvt_f32_i32_e32 v159, v158
	v_cvt_f32_i32_e32 v158, v147
	v_mov_b32_e32 v147, 0
	v_dot4c_i32_i8_e32 v147, v84, v148
	v_dot4c_i32_i8_e32 v147, v85, v149
	;; [unrolled: 1-line block ×8, first 2 shown]
	v_pk_fma_f32 v[24:25], v[156:157], v[158:159], v[24:25]
	v_cvt_f32_i32_e32 v158, v160
	v_pk_mul_f32 v[156:157], v[78:79], v[118:119] op_sel_hi:[0,1]
	v_cvt_f32_i32_e32 v159, v147
	v_mov_b32_e32 v147, 0
	v_dot4c_i32_i8_e32 v147, v88, v148
	v_dot4c_i32_i8_e32 v147, v89, v149
	;; [unrolled: 1-line block ×8, first 2 shown]
	v_pk_fma_f32 v[22:23], v[156:157], v[158:159], v[22:23]
	v_pk_mul_f32 v[156:157], v[80:81], v[118:119] op_sel_hi:[0,1]
	v_pk_mul_f32 v[118:119], v[86:87], v[118:119] op_sel_hi:[0,1]
	v_cvt_f32_i32_e32 v159, v147
	v_mov_b32_e32 v147, 0
	v_dot4c_i32_i8_e32 v147, v94, v148
	v_dot4c_i32_i8_e32 v147, v95, v149
	;; [unrolled: 1-line block ×8, first 2 shown]
	v_cvt_f32_i32_e32 v148, v162
	v_cvt_f32_i32_e32 v158, v161
	v_mov_b32_e32 v160, 0
	v_cvt_f32_i32_e32 v149, v147
	v_mov_b32_e32 v147, 0
	v_mov_b32_e32 v161, 0
	;; [unrolled: 1-line block ×3, first 2 shown]
	v_pk_fma_f32 v[18:19], v[118:119], v[148:149], v[18:19]
	ds_read2_b32 v[118:119], v140 offset0:128 offset1:160
	ds_read_b128 v[148:151], v145 offset:4096
	ds_read_b128 v[152:155], v145 offset:4112
	v_pk_fma_f32 v[20:21], v[156:157], v[158:159], v[20:21]
	v_mov_b32_e32 v158, 0
	s_waitcnt lgkmcnt(2)
	v_pk_mul_f32 v[156:157], v[82:83], v[118:119] op_sel_hi:[0,1]
	s_waitcnt lgkmcnt(1)
	v_dot4c_i32_i8_e32 v147, v90, v148
	v_dot4c_i32_i8_e32 v160, v84, v148
	;; [unrolled: 1-line block ×16, first 2 shown]
	s_waitcnt lgkmcnt(0)
	v_dot4c_i32_i8_e32 v147, v104, v152
	v_dot4c_i32_i8_e32 v160, v100, v152
	;; [unrolled: 1-line block ×16, first 2 shown]
	ds_read_b128 v[148:151], v145 offset:5120
	ds_read_b128 v[152:155], v145 offset:5136
	s_waitcnt lgkmcnt(1)
	v_dot4c_i32_i8_e32 v158, v90, v148
	v_dot4c_i32_i8_e32 v158, v91, v149
	;; [unrolled: 1-line block ×4, first 2 shown]
	s_waitcnt lgkmcnt(0)
	v_dot4c_i32_i8_e32 v158, v104, v152
	v_dot4c_i32_i8_e32 v158, v105, v153
	;; [unrolled: 1-line block ×4, first 2 shown]
	s_nop 2
	v_cvt_f32_i32_e32 v159, v158
	v_cvt_f32_i32_e32 v158, v147
	v_mov_b32_e32 v147, 0
	v_dot4c_i32_i8_e32 v147, v84, v148
	v_dot4c_i32_i8_e32 v147, v85, v149
	;; [unrolled: 1-line block ×8, first 2 shown]
	v_pk_fma_f32 v[16:17], v[156:157], v[158:159], v[16:17]
	v_cvt_f32_i32_e32 v158, v160
	v_pk_mul_f32 v[156:157], v[78:79], v[118:119] op_sel_hi:[0,1]
	v_cvt_f32_i32_e32 v159, v147
	v_mov_b32_e32 v147, 0
	v_dot4c_i32_i8_e32 v147, v88, v148
	v_dot4c_i32_i8_e32 v147, v89, v149
	;; [unrolled: 1-line block ×8, first 2 shown]
	v_pk_fma_f32 v[14:15], v[156:157], v[158:159], v[14:15]
	v_pk_mul_f32 v[156:157], v[80:81], v[118:119] op_sel_hi:[0,1]
	v_cvt_f32_i32_e32 v158, v161
	v_cvt_f32_i32_e32 v159, v147
	v_mov_b32_e32 v147, 0
	v_dot4c_i32_i8_e32 v147, v94, v148
	v_dot4c_i32_i8_e32 v147, v95, v149
	;; [unrolled: 1-line block ×8, first 2 shown]
	v_cvt_f32_i32_e32 v148, v162
	v_pk_mul_f32 v[118:119], v[86:87], v[118:119] op_sel_hi:[0,1]
	v_pk_fma_f32 v[12:13], v[156:157], v[158:159], v[12:13]
	v_cvt_f32_i32_e32 v149, v147
	v_mov_b32_e32 v147, 0
	v_mov_b32_e32 v156, 0
	;; [unrolled: 1-line block ×3, first 2 shown]
	v_pk_fma_f32 v[10:11], v[118:119], v[148:149], v[10:11]
	ds_read2_b32 v[118:119], v140 offset0:192 offset1:224
	ds_read_b128 v[148:151], v145 offset:6144
	ds_read_b128 v[152:155], v145 offset:6160
	v_mov_b32_e32 v158, 0
	v_mov_b32_e32 v159, 0
	v_add_u32_e32 v140, 4, v140
	s_waitcnt lgkmcnt(1)
	v_dot4c_i32_i8_e32 v147, v90, v148
	v_dot4c_i32_i8_e32 v156, v84, v148
	;; [unrolled: 1-line block ×16, first 2 shown]
	s_waitcnt lgkmcnt(0)
	v_dot4c_i32_i8_e32 v147, v104, v152
	v_dot4c_i32_i8_e32 v156, v100, v152
	;; [unrolled: 1-line block ×16, first 2 shown]
	ds_read_b128 v[148:151], v145 offset:7168
	ds_read_b128 v[152:155], v145 offset:7184
	v_add_u32_e32 v145, 32, v145
	s_waitcnt lgkmcnt(1)
	v_dot4c_i32_i8_e32 v159, v90, v148
	v_dot4c_i32_i8_e32 v159, v91, v149
	v_pk_mul_f32 v[90:91], v[82:83], v[118:119] op_sel_hi:[0,1]
	v_mov_b32_e32 v82, 0
	v_dot4c_i32_i8_e32 v82, v84, v148
	v_dot4c_i32_i8_e32 v82, v85, v149
	v_pk_mul_f32 v[84:85], v[78:79], v[118:119] op_sel_hi:[0,1]
	v_mov_b32_e32 v78, 0
	v_dot4c_i32_i8_e32 v78, v88, v148
	v_dot4c_i32_i8_e32 v78, v89, v149
	;; [unrolled: 1-line block ×6, first 2 shown]
	s_waitcnt lgkmcnt(0)
	v_dot4c_i32_i8_e32 v159, v104, v152
	v_dot4c_i32_i8_e32 v78, v106, v152
	v_dot4c_i32_i8_e32 v159, v105, v153
	v_dot4c_i32_i8_e32 v78, v107, v153
	v_dot4c_i32_i8_e32 v159, v108, v154
	v_dot4c_i32_i8_e32 v82, v92, v150
	v_dot4c_i32_i8_e32 v78, v114, v154
	v_dot4c_i32_i8_e32 v159, v109, v155
	v_dot4c_i32_i8_e32 v82, v93, v151
	v_dot4c_i32_i8_e32 v78, v115, v155
	v_cvt_f32_i32_e32 v98, v147
	v_cvt_f32_i32_e32 v99, v159
	v_dot4c_i32_i8_e32 v82, v100, v152
	v_cvt_f32_i32_e32 v89, v78
	v_mov_b32_e32 v78, 0
	v_dot4c_i32_i8_e32 v82, v101, v153
	v_dot4c_i32_i8_e32 v78, v94, v148
	;; [unrolled: 1-line block ×6, first 2 shown]
	v_pk_fma_f32 v[8:9], v[90:91], v[98:99], v[8:9]
	v_cvt_f32_i32_e32 v90, v156
	v_cvt_f32_i32_e32 v91, v82
	v_dot4c_i32_i8_e32 v78, v103, v151
	v_cvt_f32_i32_e32 v88, v157
	v_dot4c_i32_i8_e32 v78, v112, v152
	v_dot4c_i32_i8_e32 v78, v113, v153
	;; [unrolled: 1-line block ×3, first 2 shown]
	v_pk_fma_f32 v[6:7], v[84:85], v[90:91], v[6:7]
	v_pk_mul_f32 v[84:85], v[80:81], v[118:119] op_sel_hi:[0,1]
	v_dot4c_i32_i8_e32 v78, v117, v155
	v_pk_fma_f32 v[4:5], v[84:85], v[88:89], v[4:5]
	v_cvt_f32_i32_e32 v88, v158
	v_pk_mul_f32 v[84:85], v[86:87], v[118:119] op_sel_hi:[0,1]
	v_cvt_f32_i32_e32 v89, v78
	v_pk_fma_f32 v[2:3], v[84:85], v[88:89], v[2:3]
	s_cbranch_scc1 .LBB125_6
; %bb.7:                                ;   in Loop: Header=BB125_5 Depth=1
	s_add_i32 s0, s0, 4
	s_cmp_ge_i32 s0, s4
	s_barrier
	s_cbranch_scc0 .LBB125_5
; %bb.8:
	v_mov_b32_e32 v34, v37
.LBB125_9:
	v_cmp_gt_u32_e32 vcc, s8, v39
	s_and_saveexec_b64 s[0:1], vcc
	s_cbranch_execz .LBB125_60
; %bb.10:
	v_add_u32_e32 v0, s6, v1
	v_mul_lo_u32 v35, v39, s10
	v_cmp_gt_u32_e32 vcc, s10, v0
	s_and_saveexec_b64 s[0:1], vcc
	s_cbranch_execz .LBB125_12
; %bb.11:
	v_add_u32_e32 v36, v0, v35
	v_mov_b32_e32 v37, 0
	s_waitcnt lgkmcnt(0)
	v_lshl_add_u64 v[36:37], v[36:37], 2, s[12:13]
	global_store_dword v[36:37], v32, off
.LBB125_12:
	s_or_b64 exec, exec, s[0:1]
	v_add_u32_e32 v1, 32, v0
	v_cmp_gt_u32_e64 s[0:1], s10, v1
	s_and_saveexec_b64 s[2:3], s[0:1]
	s_cbranch_execz .LBB125_14
; %bb.13:
	v_add_u32_e32 v36, v1, v35
	v_mov_b32_e32 v37, 0
	s_waitcnt lgkmcnt(0)
	v_lshl_add_u64 v[36:37], v[36:37], 2, s[12:13]
	global_store_dword v[36:37], v30, off
.LBB125_14:
	s_or_b64 exec, exec, s[2:3]
	v_add_u32_e32 v30, 64, v0
	v_cmp_gt_u32_e64 s[2:3], s10, v30
	s_and_saveexec_b64 s[4:5], s[2:3]
	s_cbranch_execz .LBB125_16
; %bb.15:
	v_add_u32_e32 v36, v30, v35
	v_mov_b32_e32 v37, 0
	s_waitcnt lgkmcnt(0)
	v_lshl_add_u64 v[36:37], v[36:37], 2, s[12:13]
	global_store_dword v[36:37], v28, off
.LBB125_16:
	s_or_b64 exec, exec, s[4:5]
	v_add_u32_e32 v28, 0x60, v0
	v_cmp_gt_u32_e64 s[4:5], s10, v28
	s_and_saveexec_b64 s[6:7], s[4:5]
	s_cbranch_execz .LBB125_18
; %bb.17:
	v_add_u32_e32 v36, v28, v35
	v_mov_b32_e32 v37, 0
	s_waitcnt lgkmcnt(0)
	v_lshl_add_u64 v[36:37], v[36:37], 2, s[12:13]
	global_store_dword v[36:37], v26, off
.LBB125_18:
	s_or_b64 exec, exec, s[6:7]
	v_add3_u32 v26, v34, s11, 8
	v_cmp_gt_u32_e64 s[6:7], s8, v26
	s_and_b64 exec, exec, s[6:7]
	s_cbranch_execz .LBB125_60
; %bb.19:
	v_mul_lo_u32 v26, v26, s10
	s_and_saveexec_b64 s[6:7], vcc
	s_cbranch_execnz .LBB125_61
; %bb.20:
	s_or_b64 exec, exec, s[6:7]
	s_and_saveexec_b64 s[6:7], s[0:1]
	s_cbranch_execnz .LBB125_62
.LBB125_21:
	s_or_b64 exec, exec, s[6:7]
	s_and_saveexec_b64 s[6:7], s[2:3]
	s_cbranch_execnz .LBB125_63
.LBB125_22:
	s_or_b64 exec, exec, s[6:7]
	s_and_saveexec_b64 s[6:7], s[4:5]
	s_cbranch_execz .LBB125_24
.LBB125_23:
	v_add_u32_e32 v32, v26, v28
	v_mov_b32_e32 v33, 0
	s_waitcnt lgkmcnt(0)
	v_lshl_add_u64 v[32:33], v[32:33], 2, s[12:13]
	global_store_dword v[32:33], v27, off
.LBB125_24:
	s_or_b64 exec, exec, s[6:7]
	v_add3_u32 v26, v34, s11, 16
	v_cmp_gt_u32_e64 s[6:7], s8, v26
	s_and_b64 exec, exec, s[6:7]
	s_cbranch_execz .LBB125_60
; %bb.25:
	v_mul_lo_u32 v26, v26, s10
	s_and_saveexec_b64 s[6:7], vcc
	s_cbranch_execnz .LBB125_64
; %bb.26:
	s_or_b64 exec, exec, s[6:7]
	s_and_saveexec_b64 s[6:7], s[0:1]
	s_cbranch_execnz .LBB125_65
.LBB125_27:
	s_or_b64 exec, exec, s[6:7]
	s_and_saveexec_b64 s[6:7], s[2:3]
	s_cbranch_execnz .LBB125_66
.LBB125_28:
	s_or_b64 exec, exec, s[6:7]
	s_and_saveexec_b64 s[6:7], s[4:5]
	s_cbranch_execz .LBB125_30
.LBB125_29:
	v_add_u32_e32 v26, v26, v28
	v_mov_b32_e32 v27, 0
	s_waitcnt lgkmcnt(0)
	v_lshl_add_u64 v[26:27], v[26:27], 2, s[12:13]
	global_store_dword v[26:27], v18, off
.LBB125_30:
	s_or_b64 exec, exec, s[6:7]
	v_add3_u32 v18, v34, s11, 24
	v_cmp_gt_u32_e64 s[6:7], s8, v18
	s_and_b64 exec, exec, s[6:7]
	s_cbranch_execz .LBB125_60
; %bb.31:
	v_mul_lo_u32 v18, v18, s10
	s_and_saveexec_b64 s[6:7], vcc
	s_cbranch_execnz .LBB125_67
; %bb.32:
	s_or_b64 exec, exec, s[6:7]
	s_and_saveexec_b64 s[6:7], s[0:1]
	s_cbranch_execnz .LBB125_68
.LBB125_33:
	s_or_b64 exec, exec, s[6:7]
	s_and_saveexec_b64 s[6:7], s[2:3]
	s_cbranch_execnz .LBB125_69
.LBB125_34:
	s_or_b64 exec, exec, s[6:7]
	s_and_saveexec_b64 s[6:7], s[4:5]
	s_cbranch_execz .LBB125_36
.LBB125_35:
	v_add_u32_e32 v20, v18, v28
	v_mov_b32_e32 v21, 0
	s_waitcnt lgkmcnt(0)
	v_lshl_add_u64 v[20:21], v[20:21], 2, s[12:13]
	global_store_dword v[20:21], v19, off
.LBB125_36:
	s_or_b64 exec, exec, s[6:7]
	v_add3_u32 v18, v34, s11, 32
	v_cmp_gt_u32_e64 s[6:7], s8, v18
	s_and_b64 exec, exec, s[6:7]
	s_cbranch_execz .LBB125_60
; %bb.37:
	v_mul_lo_u32 v18, v18, s10
	s_and_saveexec_b64 s[6:7], vcc
	s_cbranch_execnz .LBB125_70
; %bb.38:
	s_or_b64 exec, exec, s[6:7]
	s_and_saveexec_b64 s[6:7], s[0:1]
	s_cbranch_execnz .LBB125_71
.LBB125_39:
	s_or_b64 exec, exec, s[6:7]
	s_and_saveexec_b64 s[6:7], s[2:3]
	s_cbranch_execnz .LBB125_72
.LBB125_40:
	s_or_b64 exec, exec, s[6:7]
	s_and_saveexec_b64 s[6:7], s[4:5]
	s_cbranch_execz .LBB125_42
.LBB125_41:
	v_add_u32_e32 v18, v18, v28
	v_mov_b32_e32 v19, 0
	s_waitcnt lgkmcnt(0)
	v_lshl_add_u64 v[18:19], v[18:19], 2, s[12:13]
	global_store_dword v[18:19], v10, off
.LBB125_42:
	s_or_b64 exec, exec, s[6:7]
	v_add3_u32 v10, v34, s11, 40
	v_cmp_gt_u32_e64 s[6:7], s8, v10
	s_and_b64 exec, exec, s[6:7]
	s_cbranch_execz .LBB125_60
; %bb.43:
	v_mul_lo_u32 v10, v10, s10
	s_and_saveexec_b64 s[6:7], vcc
	s_cbranch_execnz .LBB125_73
; %bb.44:
	s_or_b64 exec, exec, s[6:7]
	s_and_saveexec_b64 s[6:7], s[0:1]
	s_cbranch_execnz .LBB125_74
.LBB125_45:
	s_or_b64 exec, exec, s[6:7]
	s_and_saveexec_b64 s[6:7], s[2:3]
	s_cbranch_execnz .LBB125_75
.LBB125_46:
	s_or_b64 exec, exec, s[6:7]
	s_and_saveexec_b64 s[6:7], s[4:5]
	s_cbranch_execz .LBB125_48
.LBB125_47:
	v_add_u32_e32 v12, v10, v28
	v_mov_b32_e32 v13, 0
	s_waitcnt lgkmcnt(0)
	v_lshl_add_u64 v[12:13], v[12:13], 2, s[12:13]
	global_store_dword v[12:13], v11, off
.LBB125_48:
	s_or_b64 exec, exec, s[6:7]
	v_add3_u32 v10, v34, s11, 48
	v_cmp_gt_u32_e64 s[6:7], s8, v10
	s_and_b64 exec, exec, s[6:7]
	s_cbranch_execz .LBB125_60
; %bb.49:
	v_mul_lo_u32 v10, v10, s10
	s_and_saveexec_b64 s[6:7], vcc
	s_cbranch_execnz .LBB125_76
; %bb.50:
	s_or_b64 exec, exec, s[6:7]
	s_and_saveexec_b64 s[6:7], s[0:1]
	s_cbranch_execnz .LBB125_77
.LBB125_51:
	s_or_b64 exec, exec, s[6:7]
	s_and_saveexec_b64 s[6:7], s[2:3]
	s_cbranch_execnz .LBB125_78
.LBB125_52:
	s_or_b64 exec, exec, s[6:7]
	s_and_saveexec_b64 s[6:7], s[4:5]
	s_cbranch_execz .LBB125_54
.LBB125_53:
	v_add_u32_e32 v10, v10, v28
	v_mov_b32_e32 v11, 0
	s_waitcnt lgkmcnt(0)
	v_lshl_add_u64 v[10:11], v[10:11], 2, s[12:13]
	global_store_dword v[10:11], v2, off
.LBB125_54:
	s_or_b64 exec, exec, s[6:7]
	v_add3_u32 v2, v34, s11, 56
	v_cmp_gt_u32_e64 s[6:7], s8, v2
	s_and_b64 exec, exec, s[6:7]
	s_cbranch_execz .LBB125_60
; %bb.55:
	v_mul_lo_u32 v2, v2, s10
	s_and_saveexec_b64 s[6:7], vcc
	s_cbranch_execnz .LBB125_79
; %bb.56:
	s_or_b64 exec, exec, s[6:7]
	s_and_saveexec_b64 s[6:7], s[0:1]
	s_cbranch_execnz .LBB125_80
.LBB125_57:
	s_or_b64 exec, exec, s[6:7]
	s_and_saveexec_b64 s[0:1], s[2:3]
	s_cbranch_execnz .LBB125_81
.LBB125_58:
	s_or_b64 exec, exec, s[0:1]
	s_and_b64 exec, exec, s[4:5]
	s_cbranch_execz .LBB125_60
.LBB125_59:
	v_add_u32_e32 v0, v2, v28
	v_mov_b32_e32 v1, 0
	s_waitcnt lgkmcnt(0)
	v_lshl_add_u64 v[0:1], v[0:1], 2, s[12:13]
	global_store_dword v[0:1], v3, off
.LBB125_60:
	s_endpgm
.LBB125_61:
	v_add_u32_e32 v36, v26, v0
	v_mov_b32_e32 v37, 0
	s_waitcnt lgkmcnt(0)
	v_lshl_add_u64 v[36:37], v[36:37], 2, s[12:13]
	global_store_dword v[36:37], v33, off
	s_or_b64 exec, exec, s[6:7]
	s_and_saveexec_b64 s[6:7], s[0:1]
	s_cbranch_execz .LBB125_21
.LBB125_62:
	v_add_u32_e32 v32, v26, v1
	v_mov_b32_e32 v33, 0
	s_waitcnt lgkmcnt(0)
	v_lshl_add_u64 v[32:33], v[32:33], 2, s[12:13]
	global_store_dword v[32:33], v31, off
	s_or_b64 exec, exec, s[6:7]
	s_and_saveexec_b64 s[6:7], s[2:3]
	s_cbranch_execz .LBB125_22
.LBB125_63:
	v_add_u32_e32 v32, v26, v30
	v_mov_b32_e32 v33, 0
	s_waitcnt lgkmcnt(0)
	v_lshl_add_u64 v[32:33], v[32:33], 2, s[12:13]
	global_store_dword v[32:33], v29, off
	s_or_b64 exec, exec, s[6:7]
	s_and_saveexec_b64 s[6:7], s[4:5]
	s_cbranch_execnz .LBB125_23
	s_branch .LBB125_24
.LBB125_64:
	v_add_u32_e32 v32, v26, v0
	v_mov_b32_e32 v33, 0
	s_waitcnt lgkmcnt(0)
	v_lshl_add_u64 v[32:33], v[32:33], 2, s[12:13]
	global_store_dword v[32:33], v24, off
	s_or_b64 exec, exec, s[6:7]
	s_and_saveexec_b64 s[6:7], s[0:1]
	s_cbranch_execz .LBB125_27
.LBB125_65:
	v_add_u32_e32 v32, v26, v1
	v_mov_b32_e32 v33, 0
	s_waitcnt lgkmcnt(0)
	v_lshl_add_u64 v[32:33], v[32:33], 2, s[12:13]
	global_store_dword v[32:33], v22, off
	s_or_b64 exec, exec, s[6:7]
	s_and_saveexec_b64 s[6:7], s[2:3]
	s_cbranch_execz .LBB125_28
.LBB125_66:
	v_add_u32_e32 v32, v26, v30
	v_mov_b32_e32 v33, 0
	s_waitcnt lgkmcnt(0)
	v_lshl_add_u64 v[32:33], v[32:33], 2, s[12:13]
	global_store_dword v[32:33], v20, off
	s_or_b64 exec, exec, s[6:7]
	s_and_saveexec_b64 s[6:7], s[4:5]
	s_cbranch_execnz .LBB125_29
	s_branch .LBB125_30
.LBB125_67:
	v_add_u32_e32 v26, v18, v0
	v_mov_b32_e32 v27, 0
	s_waitcnt lgkmcnt(0)
	v_lshl_add_u64 v[26:27], v[26:27], 2, s[12:13]
	global_store_dword v[26:27], v25, off
	s_or_b64 exec, exec, s[6:7]
	s_and_saveexec_b64 s[6:7], s[0:1]
	s_cbranch_execz .LBB125_33
.LBB125_68:
	v_add_u32_e32 v24, v18, v1
	v_mov_b32_e32 v25, 0
	s_waitcnt lgkmcnt(0)
	v_lshl_add_u64 v[24:25], v[24:25], 2, s[12:13]
	global_store_dword v[24:25], v23, off
	s_or_b64 exec, exec, s[6:7]
	s_and_saveexec_b64 s[6:7], s[2:3]
	s_cbranch_execz .LBB125_34
.LBB125_69:
	v_add_u32_e32 v22, v18, v30
	v_mov_b32_e32 v23, 0
	s_waitcnt lgkmcnt(0)
	v_lshl_add_u64 v[22:23], v[22:23], 2, s[12:13]
	global_store_dword v[22:23], v21, off
	s_or_b64 exec, exec, s[6:7]
	s_and_saveexec_b64 s[6:7], s[4:5]
	s_cbranch_execnz .LBB125_35
	s_branch .LBB125_36
.LBB125_70:
	v_add_u32_e32 v20, v18, v0
	v_mov_b32_e32 v21, 0
	s_waitcnt lgkmcnt(0)
	v_lshl_add_u64 v[20:21], v[20:21], 2, s[12:13]
	global_store_dword v[20:21], v16, off
	s_or_b64 exec, exec, s[6:7]
	s_and_saveexec_b64 s[6:7], s[0:1]
	s_cbranch_execz .LBB125_39
.LBB125_71:
	v_add_u32_e32 v20, v18, v1
	v_mov_b32_e32 v21, 0
	s_waitcnt lgkmcnt(0)
	v_lshl_add_u64 v[20:21], v[20:21], 2, s[12:13]
	global_store_dword v[20:21], v14, off
	s_or_b64 exec, exec, s[6:7]
	s_and_saveexec_b64 s[6:7], s[2:3]
	s_cbranch_execz .LBB125_40
.LBB125_72:
	v_add_u32_e32 v20, v18, v30
	v_mov_b32_e32 v21, 0
	s_waitcnt lgkmcnt(0)
	v_lshl_add_u64 v[20:21], v[20:21], 2, s[12:13]
	global_store_dword v[20:21], v12, off
	s_or_b64 exec, exec, s[6:7]
	s_and_saveexec_b64 s[6:7], s[4:5]
	s_cbranch_execnz .LBB125_41
	s_branch .LBB125_42
.LBB125_73:
	v_add_u32_e32 v18, v10, v0
	v_mov_b32_e32 v19, 0
	s_waitcnt lgkmcnt(0)
	v_lshl_add_u64 v[18:19], v[18:19], 2, s[12:13]
	global_store_dword v[18:19], v17, off
	s_or_b64 exec, exec, s[6:7]
	s_and_saveexec_b64 s[6:7], s[0:1]
	s_cbranch_execz .LBB125_45
.LBB125_74:
	v_add_u32_e32 v16, v10, v1
	v_mov_b32_e32 v17, 0
	s_waitcnt lgkmcnt(0)
	v_lshl_add_u64 v[16:17], v[16:17], 2, s[12:13]
	global_store_dword v[16:17], v15, off
	s_or_b64 exec, exec, s[6:7]
	s_and_saveexec_b64 s[6:7], s[2:3]
	s_cbranch_execz .LBB125_46
.LBB125_75:
	v_add_u32_e32 v14, v10, v30
	v_mov_b32_e32 v15, 0
	s_waitcnt lgkmcnt(0)
	v_lshl_add_u64 v[14:15], v[14:15], 2, s[12:13]
	global_store_dword v[14:15], v13, off
	s_or_b64 exec, exec, s[6:7]
	s_and_saveexec_b64 s[6:7], s[4:5]
	s_cbranch_execnz .LBB125_47
	s_branch .LBB125_48
.LBB125_76:
	v_add_u32_e32 v12, v10, v0
	v_mov_b32_e32 v13, 0
	s_waitcnt lgkmcnt(0)
	v_lshl_add_u64 v[12:13], v[12:13], 2, s[12:13]
	global_store_dword v[12:13], v8, off
	s_or_b64 exec, exec, s[6:7]
	s_and_saveexec_b64 s[6:7], s[0:1]
	s_cbranch_execz .LBB125_51
.LBB125_77:
	v_add_u32_e32 v12, v10, v1
	v_mov_b32_e32 v13, 0
	s_waitcnt lgkmcnt(0)
	v_lshl_add_u64 v[12:13], v[12:13], 2, s[12:13]
	global_store_dword v[12:13], v6, off
	s_or_b64 exec, exec, s[6:7]
	s_and_saveexec_b64 s[6:7], s[2:3]
	s_cbranch_execz .LBB125_52
.LBB125_78:
	v_add_u32_e32 v12, v10, v30
	v_mov_b32_e32 v13, 0
	s_waitcnt lgkmcnt(0)
	v_lshl_add_u64 v[12:13], v[12:13], 2, s[12:13]
	global_store_dword v[12:13], v4, off
	s_or_b64 exec, exec, s[6:7]
	s_and_saveexec_b64 s[6:7], s[4:5]
	s_cbranch_execnz .LBB125_53
	s_branch .LBB125_54
.LBB125_79:
	v_add_u32_e32 v10, v2, v0
	v_mov_b32_e32 v11, 0
	s_waitcnt lgkmcnt(0)
	v_lshl_add_u64 v[10:11], v[10:11], 2, s[12:13]
	global_store_dword v[10:11], v9, off
	s_or_b64 exec, exec, s[6:7]
	s_and_saveexec_b64 s[6:7], s[0:1]
	s_cbranch_execz .LBB125_57
.LBB125_80:
	v_add_u32_e32 v0, v2, v1
	v_mov_b32_e32 v1, 0
	s_waitcnt lgkmcnt(0)
	v_lshl_add_u64 v[0:1], v[0:1], 2, s[12:13]
	global_store_dword v[0:1], v7, off
	s_or_b64 exec, exec, s[6:7]
	s_and_saveexec_b64 s[0:1], s[2:3]
	s_cbranch_execz .LBB125_58
.LBB125_81:
	v_add_u32_e32 v0, v2, v30
	v_mov_b32_e32 v1, 0
	s_waitcnt lgkmcnt(0)
	v_lshl_add_u64 v[0:1], v[0:1], 2, s[12:13]
	global_store_dword v[0:1], v5, off
	s_or_b64 exec, exec, s[0:1]
	s_and_b64 exec, exec, s[4:5]
	s_cbranch_execnz .LBB125_59
	s_branch .LBB125_60
	.section	.rodata,"a",@progbits
	.p2align	6, 0x0
	.amdhsa_kernel _ZL12mul_mat_q8_0IfLb0EEvPKvS1_PT_iiiii
		.amdhsa_group_segment_fixed_size 28224
		.amdhsa_private_segment_fixed_size 0
		.amdhsa_kernarg_size 44
		.amdhsa_user_sgpr_count 2
		.amdhsa_user_sgpr_dispatch_ptr 0
		.amdhsa_user_sgpr_queue_ptr 0
		.amdhsa_user_sgpr_kernarg_segment_ptr 1
		.amdhsa_user_sgpr_dispatch_id 0
		.amdhsa_user_sgpr_kernarg_preload_length 0
		.amdhsa_user_sgpr_kernarg_preload_offset 0
		.amdhsa_user_sgpr_private_segment_size 0
		.amdhsa_uses_dynamic_stack 0
		.amdhsa_enable_private_segment 0
		.amdhsa_system_sgpr_workgroup_id_x 1
		.amdhsa_system_sgpr_workgroup_id_y 1
		.amdhsa_system_sgpr_workgroup_id_z 0
		.amdhsa_system_sgpr_workgroup_info 0
		.amdhsa_system_vgpr_workitem_id 1
		.amdhsa_next_free_vgpr 163
		.amdhsa_next_free_sgpr 18
		.amdhsa_accum_offset 164
		.amdhsa_reserve_vcc 1
		.amdhsa_float_round_mode_32 0
		.amdhsa_float_round_mode_16_64 0
		.amdhsa_float_denorm_mode_32 3
		.amdhsa_float_denorm_mode_16_64 3
		.amdhsa_dx10_clamp 1
		.amdhsa_ieee_mode 1
		.amdhsa_fp16_overflow 0
		.amdhsa_tg_split 0
		.amdhsa_exception_fp_ieee_invalid_op 0
		.amdhsa_exception_fp_denorm_src 0
		.amdhsa_exception_fp_ieee_div_zero 0
		.amdhsa_exception_fp_ieee_overflow 0
		.amdhsa_exception_fp_ieee_underflow 0
		.amdhsa_exception_fp_ieee_inexact 0
		.amdhsa_exception_int_div_zero 0
	.end_amdhsa_kernel
	.section	.text._ZL12mul_mat_q8_0IfLb0EEvPKvS1_PT_iiiii,"axG",@progbits,_ZL12mul_mat_q8_0IfLb0EEvPKvS1_PT_iiiii,comdat
.Lfunc_end125:
	.size	_ZL12mul_mat_q8_0IfLb0EEvPKvS1_PT_iiiii, .Lfunc_end125-_ZL12mul_mat_q8_0IfLb0EEvPKvS1_PT_iiiii
                                        ; -- End function
	.section	.AMDGPU.csdata,"",@progbits
; Kernel info:
; codeLenInByte = 6052
; NumSgprs: 24
; NumVgprs: 163
; NumAgprs: 0
; TotalNumVgprs: 163
; ScratchSize: 0
; MemoryBound: 0
; FloatMode: 240
; IeeeMode: 1
; LDSByteSize: 28224 bytes/workgroup (compile time only)
; SGPRBlocks: 2
; VGPRBlocks: 20
; NumSGPRsForWavesPerEU: 24
; NumVGPRsForWavesPerEU: 163
; AccumOffset: 164
; Occupancy: 2
; WaveLimiterHint : 0
; COMPUTE_PGM_RSRC2:SCRATCH_EN: 0
; COMPUTE_PGM_RSRC2:USER_SGPR: 2
; COMPUTE_PGM_RSRC2:TRAP_HANDLER: 0
; COMPUTE_PGM_RSRC2:TGID_X_EN: 1
; COMPUTE_PGM_RSRC2:TGID_Y_EN: 1
; COMPUTE_PGM_RSRC2:TGID_Z_EN: 0
; COMPUTE_PGM_RSRC2:TIDIG_COMP_CNT: 1
; COMPUTE_PGM_RSRC3_GFX90A:ACCUM_OFFSET: 40
; COMPUTE_PGM_RSRC3_GFX90A:TG_SPLIT: 0
	.section	.text._ZL12mul_mat_q8_0IfLb1EEvPKvS1_PT_iiiii,"axG",@progbits,_ZL12mul_mat_q8_0IfLb1EEvPKvS1_PT_iiiii,comdat
	.globl	_ZL12mul_mat_q8_0IfLb1EEvPKvS1_PT_iiiii ; -- Begin function _ZL12mul_mat_q8_0IfLb1EEvPKvS1_PT_iiiii
	.p2align	8
	.type	_ZL12mul_mat_q8_0IfLb1EEvPKvS1_PT_iiiii,@function
_ZL12mul_mat_q8_0IfLb1EEvPKvS1_PT_iiiii: ; @_ZL12mul_mat_q8_0IfLb1EEvPKvS1_PT_iiiii
; %bb.0:
	s_load_dwordx4 s[8:11], s[0:1], 0x18
	s_load_dword s14, s[0:1], 0x28
	s_lshl_b32 s15, s3, 6
	v_bfe_u32 v37, v0, 10, 10
	s_waitcnt lgkmcnt(0)
	s_cmp_gt_i32 s8, 31
	s_cbranch_scc1 .LBB126_2
; %bb.1:
	v_bfe_u32 v32, v0, 10, 10
	v_and_b32_e32 v1, 0x3ff, v0
	v_add_u32_e32 v39, s15, v32
	s_mov_b64 s[4:5], 0
	s_mov_b32 s3, 0
	s_branch .LBB126_3
.LBB126_2:
	s_mov_b64 s[4:5], -1
                                        ; implicit-def: $sgpr3
                                        ; implicit-def: $vgpr32
                                        ; implicit-def: $vgpr1
                                        ; implicit-def: $vgpr39
.LBB126_3:
	s_load_dwordx2 s[12:13], s[0:1], 0x10
	s_lshl_b32 s6, s2, 7
	s_andn2_b64 vcc, exec, s[4:5]
	v_mov_b32_e32 v3, s3
	v_mov_b32_e32 v2, s3
	;; [unrolled: 1-line block ×32, first 2 shown]
	s_cbranch_vccnz .LBB126_9
; %bb.4:
	s_ashr_i32 s4, s8, 31
	s_load_dwordx4 s[0:3], s[0:1], 0x0
	s_lshr_b32 s4, s4, 27
	s_ashr_i32 s5, s11, 31
	s_add_i32 s4, s8, s4
	s_lshr_b32 s5, s5, 27
	s_ashr_i32 s4, s4, 5
	s_add_i32 s5, s11, s5
	s_ashr_i32 s11, s5, 5
	s_mul_i32 s5, s4, s6
	s_mul_hi_i32 s7, s5, 34
	s_mul_i32 s5, s5, 34
	s_waitcnt lgkmcnt(0)
	s_add_u32 s5, s0, s5
	s_addc_u32 s7, s1, s7
	s_not_b32 s0, s6
	s_add_i32 s1, s0, s9
	v_and_b32_e32 v1, 0x3ff, v0
	v_lshlrev_b32_e32 v2, 2, v1
	v_min_i32_e32 v3, s1, v37
	s_movk_i32 s16, 0x84
	v_add_u32_e32 v6, 8, v37
	v_mul_lo_u32 v36, v3, s4
	v_mad_u64_u32 v[38:39], s[8:9], v3, s16, v[2:3]
	v_min_i32_e32 v3, s1, v6
	v_add_u32_e32 v7, 16, v37
	v_mul_lo_u32 v40, v3, s4
	v_mad_u64_u32 v[42:43], s[8:9], v3, s16, v[2:3]
	v_min_i32_e32 v3, s1, v7
	;; [unrolled: 4-line block ×7, first 2 shown]
	v_mul_lo_u32 v64, v3, s4
	v_mad_u64_u32 v[66:67], s[8:9], v3, s16, v[2:3]
	v_add_u32_e32 v3, 64, v37
	v_min_i32_e32 v3, s1, v3
	v_mul_lo_u32 v68, v3, s4
	v_mad_u64_u32 v[70:71], s[8:9], v3, s16, v[2:3]
	v_add_u32_e32 v3, 0x48, v37
	v_min_i32_e32 v3, s1, v3
	;; [unrolled: 4-line block ×8, first 2 shown]
	v_and_b32_e32 v32, 28, v2
	v_mad_u64_u32 v[98:99], s[8:9], v3, s16, v[2:3]
	v_lshrrev_b32_e32 v2, 2, v1
	v_lshl_add_u32 v4, v37, 3, v2
	v_min_i32_e32 v2, s1, v4
	v_mul_lo_u32 v96, v3, s4
	v_ashrrev_i32_e32 v3, 31, v2
	v_lshrrev_b32_e32 v3, 29, v3
	v_add_u32_e32 v3, v2, v3
	v_and_b32_e32 v100, 3, v1
	v_mul_lo_u32 v102, v2, s4
	v_ashrrev_i32_e32 v3, 3, v3
	v_lshlrev_b32_e32 v14, 4, v2
	v_add_u32_e32 v2, 64, v4
	v_lshlrev_b32_e32 v3, 2, v3
	v_lshlrev_b32_e32 v5, 2, v100
	s_movk_i32 s16, 0x6200
	v_min_i32_e32 v2, s1, v2
	v_add3_u32 v13, v3, v5, s16
	v_ashrrev_i32_e32 v3, 31, v2
	v_lshrrev_b32_e32 v3, 29, v3
	v_add_u32_e32 v3, v2, v3
	v_ashrrev_i32_e32 v3, 3, v3
	v_and_b32_e32 v4, 63, v4
	v_lshlrev_b32_e32 v3, 2, v3
	v_add_u32_e32 v39, s15, v37
	s_add_i32 s1, s10, -1
	v_or_b32_e32 v18, s15, v4
	v_lshl_or_b32 v4, v4, 4, v5
	v_mul_lo_u32 v104, v2, s4
	v_add3_u32 v15, v3, v5, s16
	v_lshlrev_b32_e32 v16, 4, v2
	v_cvt_f64_i32_e32 v[2:3], s1
	v_add_u32_e32 v41, 0x6a40, v4
	v_cvt_f64_u32_e32 v[4:5], v39
	v_and_b32_e32 v17, 31, v1
	v_min_i32_e32 v18, s1, v18
	v_min_f64 v[4:5], v[4:5], v[2:3]
	v_mad_u64_u32 v[108:109], s[8:9], v18, s11, v[100:101]
	v_cvt_i32_f64_e32 v4, v[4:5]
	v_lshlrev_b32_e32 v17, 2, v17
	v_lshlrev_b32_e32 v18, 7, v37
	v_mul_lo_u32 v43, s11, v4
	v_or_b32_e32 v4, v18, v17
	v_add_u32_e32 v45, 0x4200, v4
	v_add_u32_e32 v4, 8, v39
	v_cvt_f64_u32_e32 v[4:5], v4
	v_min_f64 v[4:5], v[4:5], v[2:3]
	v_cvt_i32_f64_e32 v4, v[4:5]
	v_mul_lo_u32 v47, s11, v4
	v_lshl_or_b32 v4, v6, 7, v17
	v_add_u32_e32 v49, 0x4200, v4
	v_add_u32_e32 v4, 16, v39
	v_cvt_f64_u32_e32 v[4:5], v4
	v_min_f64 v[4:5], v[4:5], v[2:3]
	v_cvt_i32_f64_e32 v4, v[4:5]
	v_mul_lo_u32 v51, s11, v4
	v_lshl_or_b32 v4, v7, 7, v17
	;; [unrolled: 7-line block ×6, first 2 shown]
	v_add_u32_e32 v69, 0x4200, v4
	v_add_u32_e32 v4, 56, v39
	v_cvt_f64_u32_e32 v[4:5], v4
	v_min_f64 v[2:3], v[4:5], v[2:3]
	v_cvt_i32_f64_e32 v2, v[2:3]
	v_add_u32_e32 v4, 0x60, v1
	v_mul_lo_u32 v71, s11, v2
	v_lshl_or_b32 v2, v12, 7, v17
	v_add_u32_e32 v3, 64, v1
	v_lshrrev_b32_e32 v4, 1, v4
	v_add_u32_e32 v73, 0x4200, v2
	v_add_u32_e32 v2, 32, v1
	v_lshlrev_b32_e32 v5, 4, v1
	v_and_b32_e32 v4, 0xfc, v4
	s_movk_i32 s1, 0x6800
	v_lshrrev_b32_e32 v3, 1, v3
	v_add3_u32 v79, v5, v4, s1
	v_and_b32_e32 v3, 0xfc, v3
	s_movk_i32 s1, 0x6600
	v_lshrrev_b32_e32 v2, 1, v2
	v_lshrrev_b32_e32 v0, 3, v1
	v_add3_u32 v81, v5, v3, s1
	v_and_b32_e32 v2, 0xfc, v2
	s_movk_i32 s1, 0x6400
	s_mov_b32 s0, 0
	v_add3_u32 v83, v5, v2, s1
	v_lshlrev_b32_e32 v2, 2, v0
	v_mov_b32_e32 v33, 0
	v_add3_u32 v85, v5, v2, s16
	v_mov_b32_e32 v2, 0x6a40
	s_mov_b32 s1, s0
	v_lshl_add_u64 v[106:107], s[2:3], 0, v[32:33]
	v_mul_u32_u24_e32 v75, 0x84, v1
	v_add_u32_e32 v77, 0x4200, v18
	v_lshl_add_u32 v87, v37, 4, v2
	v_mov_b64_e32 v[34:35], s[0:1]
	v_add_u32_e32 v89, v13, v14
	v_add_u32_e32 v91, v15, v16
	v_mov_b64_e32 v[24:25], s[0:1]
	v_mov_b64_e32 v[16:17], s[0:1]
	;; [unrolled: 1-line block ×15, first 2 shown]
.LBB126_5:                              ; =>This Loop Header: Depth=1
                                        ;     Child Loop BB126_6 Depth 2
	s_mul_i32 s8, s0, 34
	s_mul_hi_u32 s1, s0, 34
	s_add_u32 s8, s5, s8
	s_addc_u32 s9, s7, s1
	v_mad_u64_u32 v[110:111], s[16:17], v0, 34, s[8:9]
	v_lshl_add_u64 v[110:111], v[110:111], 0, v[32:33]
	v_lshl_add_u64 v[110:111], v[110:111], 0, 2
	v_mad_i64_i32 v[112:113], s[16:17], v36, 34, v[110:111]
	v_mad_i64_i32 v[114:115], s[16:17], v40, 34, v[110:111]
	;; [unrolled: 1-line block ×8, first 2 shown]
	global_load_dword v93, v[112:113], off
	global_load_dword v95, v[114:115], off
	;; [unrolled: 1-line block ×8, first 2 shown]
	v_mad_i64_i32 v[112:113], s[16:17], v68, 34, v[110:111]
	v_mad_i64_i32 v[114:115], s[16:17], v72, 34, v[110:111]
	v_mad_i64_i32 v[116:117], s[16:17], v76, 34, v[110:111]
	v_mad_i64_i32 v[118:119], s[16:17], v80, 34, v[110:111]
	v_mad_i64_i32 v[120:121], s[16:17], v84, 34, v[110:111]
	v_mad_i64_i32 v[122:123], s[16:17], v88, 34, v[110:111]
	v_mad_i64_i32 v[124:125], s[16:17], v92, 34, v[110:111]
	v_mad_i64_i32 v[110:111], s[16:17], v96, 34, v[110:111]
	global_load_dword v128, v[112:113], off
	global_load_dword v129, v[114:115], off
                                        ; kill: killed $vgpr114_vgpr115
                                        ; kill: killed $vgpr112_vgpr113
	global_load_dword v130, v[116:117], off
	global_load_dword v131, v[118:119], off
	;; [unrolled: 1-line block ×4, first 2 shown]
                                        ; kill: killed $vgpr116_vgpr117
                                        ; kill: killed $vgpr122_vgpr123
                                        ; kill: killed $vgpr120_vgpr121
                                        ; kill: killed $vgpr118_vgpr119
	global_load_dword v134, v[124:125], off
	global_load_dword v135, v[110:111], off
	v_mad_u64_u32 v[110:111], s[8:9], v100, 34, s[8:9]
	v_mad_i64_i32 v[112:113], s[8:9], v102, 34, v[110:111]
	v_mad_i64_i32 v[110:111], s[8:9], v104, 34, v[110:111]
	v_add_u32_e32 v124, s0, v0
	global_load_ushort v136, v[112:113], off
	global_load_ushort v137, v[110:111], off
	v_add_u32_e32 v110, v124, v43
	v_add_u32_e32 v112, v124, v47
	;; [unrolled: 1-line block ×5, first 2 shown]
	v_mad_i64_i32 v[110:111], s[8:9], v110, 36, v[106:107]
	v_mad_i64_i32 v[112:113], s[8:9], v112, 36, v[106:107]
	v_mad_i64_i32 v[114:115], s[8:9], v114, 36, v[106:107]
	v_mad_i64_i32 v[116:117], s[8:9], v116, 36, v[106:107]
	v_mad_i64_i32 v[118:119], s[8:9], v118, 36, v[106:107]
	v_add_u32_e32 v120, v124, v63
	v_add_u32_e32 v122, v124, v67
	;; [unrolled: 1-line block ×4, first 2 shown]
	v_mad_i64_i32 v[120:121], s[8:9], v120, 36, v[106:107]
	v_mad_i64_i32 v[122:123], s[8:9], v122, 36, v[106:107]
	;; [unrolled: 1-line block ×3, first 2 shown]
	v_mad_u64_u32 v[126:127], s[8:9], v126, 36, s[2:3]
	global_load_dword v110, v[110:111], off offset:4
	s_nop 0
	global_load_dword v111, v[112:113], off offset:4
	s_nop 0
	global_load_dword v112, v[114:115], off offset:4
	global_load_dword v113, v[116:117], off offset:4
	s_nop 0
	global_load_dword v114, v[118:119], off offset:4
	global_load_dword v115, v[126:127], off
	global_load_dword v116, v[120:121], off offset:4
	global_load_dword v117, v[122:123], off offset:4
	s_nop 0
	global_load_dword v118, v[124:125], off offset:4
	s_mov_b32 s1, -8
	s_waitcnt vmcnt(26)
	ds_write_b32 v38, v93
	s_waitcnt vmcnt(25)
	ds_write_b32 v42, v95
	;; [unrolled: 2-line block ×14, first 2 shown]
	v_mov_b32_e32 v97, v83
	v_mov_b32_e32 v99, v81
	;; [unrolled: 1-line block ×5, first 2 shown]
	s_waitcnt vmcnt(10)
	v_cvt_f32_f16_e32 v93, v136
	s_waitcnt vmcnt(9)
	v_cvt_f32_f16_e32 v95, v137
	ds_write_b32 v94, v134
	ds_write_b32 v98, v135
	;; [unrolled: 1-line block ×4, first 2 shown]
	s_waitcnt vmcnt(8)
	ds_write_b32 v45, v110
	s_waitcnt vmcnt(7)
	ds_write_b32 v49, v111
	;; [unrolled: 2-line block ×5, first 2 shown]
	s_waitcnt vmcnt(3)
	v_cvt_f32_f16_e32 v93, v115
	s_waitcnt vmcnt(2)
	ds_write_b32 v65, v116
	s_waitcnt vmcnt(1)
	ds_write_b32 v69, v117
	;; [unrolled: 2-line block ×3, first 2 shown]
	ds_write_b32 v41, v93
	v_mov_b32_e32 v93, v87
	v_mov_b32_e32 v95, v85
	s_waitcnt lgkmcnt(0)
	s_barrier
.LBB126_6:                              ;   Parent Loop BB126_5 Depth=1
                                        ; =>  This Inner Loop Header: Depth=2
	v_add_u32_e32 v112, 0x1088, v105
	ds_read2_b32 v[150:151], v93 offset1:32
	ds_read_b128 v[152:155], v103
	ds_read_b128 v[156:159], v103 offset:16
	ds_read_b32 v114, v95
	ds_read2_b32 v[122:123], v105 offset1:1
	ds_read2_b32 v[130:131], v105 offset0:2 offset1:3
	ds_read2_b32 v[136:137], v105 offset0:4 offset1:5
	;; [unrolled: 1-line block ×3, first 2 shown]
	v_add_u32_e32 v111, 0x1080, v105
	ds_read_b32 v110, v97
	ds_read2_b32 v[116:117], v111 offset1:1
	ds_read2_b32 v[124:125], v112 offset1:1
	v_add_u32_e32 v112, 0x1090, v105
	ds_read2_b32 v[132:133], v112 offset1:1
	v_add_u32_e32 v112, 0x1098, v105
	v_add_u32_e32 v115, 0x2108, v105
	ds_read2_b32 v[142:143], v112 offset1:1
	v_add_u32_e32 v113, 0x2100, v105
	ds_read_b32 v112, v99
	ds_read2_b32 v[120:121], v113 offset1:1
	ds_read2_b32 v[128:129], v115 offset1:1
	v_add_u32_e32 v115, 0x2110, v105
	ds_read2_b32 v[138:139], v115 offset1:1
	v_add_u32_e32 v115, 0x2118, v105
	;; [unrolled: 2-line block ×3, first 2 shown]
	ds_read_b32 v118, v101
	ds_read2_b32 v[126:127], v115 offset1:1
	v_add_u32_e32 v119, 0x3188, v105
	ds_read2_b32 v[134:135], v119 offset1:1
	v_add_u32_e32 v119, 0x3190, v105
	v_mov_b32_e32 v109, 0
	v_mov_b32_e32 v111, 0
	;; [unrolled: 1-line block ×4, first 2 shown]
	ds_read2_b32 v[144:145], v119 offset1:1
	s_waitcnt lgkmcnt(14)
	v_dot4c_i32_i8_e32 v109, v122, v152
	s_waitcnt lgkmcnt(12)
	v_dot4c_i32_i8_e32 v111, v116, v152
	;; [unrolled: 2-line block ×4, first 2 shown]
	v_add_u32_e32 v119, 0x3198, v105
	v_dot4c_i32_i8_e32 v109, v123, v153
	v_dot4c_i32_i8_e32 v111, v117, v153
	;; [unrolled: 1-line block ×4, first 2 shown]
	ds_read2_b32 v[148:149], v119 offset1:1
	v_dot4c_i32_i8_e32 v109, v130, v154
	v_dot4c_i32_i8_e32 v111, v124, v154
	v_dot4c_i32_i8_e32 v113, v128, v154
	s_waitcnt lgkmcnt(2)
	v_dot4c_i32_i8_e32 v115, v134, v154
	v_dot4c_i32_i8_e32 v109, v131, v155
	v_dot4c_i32_i8_e32 v111, v125, v155
	v_dot4c_i32_i8_e32 v113, v129, v155
	v_dot4c_i32_i8_e32 v115, v135, v155
	v_dot4c_i32_i8_e32 v109, v136, v156
	v_dot4c_i32_i8_e32 v111, v132, v156
	v_dot4c_i32_i8_e32 v113, v138, v156
	s_waitcnt lgkmcnt(1)
	v_dot4c_i32_i8_e32 v115, v144, v156
	v_dot4c_i32_i8_e32 v109, v137, v157
	v_dot4c_i32_i8_e32 v111, v133, v157
	v_dot4c_i32_i8_e32 v113, v139, v157
	v_dot4c_i32_i8_e32 v115, v145, v157
	;; [unrolled: 9-line block ×3, first 2 shown]
	ds_read_b128 v[152:155], v103 offset:1024
	ds_read_b128 v[156:159], v103 offset:1040
	v_mov_b32_e32 v119, 0
	v_cvt_f32_i32_e32 v162, v109
	v_mov_b32_e32 v109, 0
	s_waitcnt lgkmcnt(1)
	v_dot4c_i32_i8_e32 v119, v122, v152
	v_dot4c_i32_i8_e32 v119, v123, v153
	;; [unrolled: 1-line block ×4, first 2 shown]
	s_waitcnt lgkmcnt(0)
	v_dot4c_i32_i8_e32 v119, v136, v156
	v_dot4c_i32_i8_e32 v109, v116, v152
	;; [unrolled: 1-line block ×10, first 2 shown]
	v_cvt_f32_i32_e32 v163, v119
	v_dot4c_i32_i8_e32 v109, v142, v158
	v_pk_mul_f32 v[160:161], v[114:115], v[150:151] op_sel_hi:[0,1]
	v_dot4c_i32_i8_e32 v109, v143, v159
	v_pk_fma_f32 v[34:35], v[160:161], v[162:163], v[34:35]
	v_cvt_f32_i32_e32 v162, v111
	v_pk_mul_f32 v[160:161], v[110:111], v[150:151] op_sel_hi:[0,1]
	v_cvt_f32_i32_e32 v163, v109
	v_mov_b32_e32 v109, 0
	v_dot4c_i32_i8_e32 v109, v120, v152
	v_dot4c_i32_i8_e32 v109, v121, v153
	;; [unrolled: 1-line block ×8, first 2 shown]
	v_pk_fma_f32 v[30:31], v[160:161], v[162:163], v[30:31]
	v_pk_mul_f32 v[160:161], v[112:113], v[150:151] op_sel_hi:[0,1]
	v_pk_mul_f32 v[150:151], v[118:119], v[150:151] op_sel_hi:[0,1]
	v_cvt_f32_i32_e32 v163, v109
	v_mov_b32_e32 v109, 0
	v_dot4c_i32_i8_e32 v109, v126, v152
	v_dot4c_i32_i8_e32 v109, v127, v153
	;; [unrolled: 1-line block ×8, first 2 shown]
	v_cvt_f32_i32_e32 v152, v115
	v_cvt_f32_i32_e32 v162, v113
	v_mov_b32_e32 v111, 0
	v_cvt_f32_i32_e32 v153, v109
	v_mov_b32_e32 v109, 0
	v_mov_b32_e32 v113, 0
	;; [unrolled: 1-line block ×3, first 2 shown]
	v_pk_fma_f32 v[26:27], v[150:151], v[152:153], v[26:27]
	ds_read2_b32 v[150:151], v93 offset0:64 offset1:96
	ds_read_b128 v[152:155], v103 offset:2048
	ds_read_b128 v[156:159], v103 offset:2064
	v_mov_b32_e32 v119, 0
	v_pk_fma_f32 v[28:29], v[160:161], v[162:163], v[28:29]
	s_add_i32 s1, s1, 8
	s_waitcnt lgkmcnt(1)
	v_dot4c_i32_i8_e32 v109, v122, v152
	v_dot4c_i32_i8_e32 v111, v116, v152
	;; [unrolled: 1-line block ×16, first 2 shown]
	s_waitcnt lgkmcnt(0)
	v_dot4c_i32_i8_e32 v109, v136, v156
	v_dot4c_i32_i8_e32 v111, v132, v156
	;; [unrolled: 1-line block ×16, first 2 shown]
	ds_read_b128 v[152:155], v103 offset:3072
	ds_read_b128 v[156:159], v103 offset:3088
	v_cvt_f32_i32_e32 v162, v109
	v_mov_b32_e32 v109, 0
	v_pk_mul_f32 v[160:161], v[114:115], v[150:151] op_sel_hi:[0,1]
	s_waitcnt lgkmcnt(1)
	v_dot4c_i32_i8_e32 v119, v122, v152
	v_dot4c_i32_i8_e32 v119, v123, v153
	;; [unrolled: 1-line block ×4, first 2 shown]
	s_waitcnt lgkmcnt(0)
	v_dot4c_i32_i8_e32 v119, v136, v156
	v_dot4c_i32_i8_e32 v109, v116, v152
	;; [unrolled: 1-line block ×10, first 2 shown]
	v_cvt_f32_i32_e32 v163, v119
	v_dot4c_i32_i8_e32 v109, v142, v158
	v_dot4c_i32_i8_e32 v109, v143, v159
	v_add_u32_e32 v105, 32, v105
	v_pk_fma_f32 v[24:25], v[160:161], v[162:163], v[24:25]
	v_cvt_f32_i32_e32 v162, v111
	v_cvt_f32_i32_e32 v163, v109
	v_mov_b32_e32 v109, 0
	v_dot4c_i32_i8_e32 v109, v120, v152
	v_dot4c_i32_i8_e32 v109, v121, v153
	;; [unrolled: 1-line block ×7, first 2 shown]
	v_pk_mul_f32 v[160:161], v[110:111], v[150:151] op_sel_hi:[0,1]
	v_dot4c_i32_i8_e32 v109, v147, v159
	v_pk_fma_f32 v[22:23], v[160:161], v[162:163], v[22:23]
	v_pk_mul_f32 v[160:161], v[112:113], v[150:151] op_sel_hi:[0,1]
	v_pk_mul_f32 v[150:151], v[118:119], v[150:151] op_sel_hi:[0,1]
	v_cvt_f32_i32_e32 v163, v109
	v_mov_b32_e32 v109, 0
	v_dot4c_i32_i8_e32 v109, v126, v152
	v_dot4c_i32_i8_e32 v109, v127, v153
	v_dot4c_i32_i8_e32 v109, v134, v154
	v_dot4c_i32_i8_e32 v109, v135, v155
	v_dot4c_i32_i8_e32 v109, v144, v156
	v_dot4c_i32_i8_e32 v109, v145, v157
	v_dot4c_i32_i8_e32 v109, v148, v158
	v_dot4c_i32_i8_e32 v109, v149, v159
	v_cvt_f32_i32_e32 v152, v115
	v_cvt_f32_i32_e32 v162, v113
	v_mov_b32_e32 v111, 0
	v_cvt_f32_i32_e32 v153, v109
	v_mov_b32_e32 v109, 0
	v_mov_b32_e32 v113, 0
	;; [unrolled: 1-line block ×3, first 2 shown]
	v_pk_fma_f32 v[18:19], v[150:151], v[152:153], v[18:19]
	ds_read2_b32 v[150:151], v93 offset0:128 offset1:160
	ds_read_b128 v[152:155], v103 offset:4096
	ds_read_b128 v[156:159], v103 offset:4112
	v_mov_b32_e32 v119, 0
	v_pk_fma_f32 v[20:21], v[160:161], v[162:163], v[20:21]
	v_add_u32_e32 v101, 4, v101
	s_waitcnt lgkmcnt(1)
	v_dot4c_i32_i8_e32 v109, v122, v152
	v_dot4c_i32_i8_e32 v111, v116, v152
	;; [unrolled: 1-line block ×16, first 2 shown]
	s_waitcnt lgkmcnt(0)
	v_dot4c_i32_i8_e32 v109, v136, v156
	v_dot4c_i32_i8_e32 v111, v132, v156
	v_dot4c_i32_i8_e32 v113, v138, v156
	v_dot4c_i32_i8_e32 v115, v144, v156
	v_dot4c_i32_i8_e32 v109, v137, v157
	v_dot4c_i32_i8_e32 v111, v133, v157
	v_dot4c_i32_i8_e32 v113, v139, v157
	v_dot4c_i32_i8_e32 v115, v145, v157
	v_dot4c_i32_i8_e32 v109, v140, v158
	v_dot4c_i32_i8_e32 v111, v142, v158
	v_dot4c_i32_i8_e32 v113, v146, v158
	v_dot4c_i32_i8_e32 v115, v148, v158
	v_dot4c_i32_i8_e32 v109, v141, v159
	v_dot4c_i32_i8_e32 v111, v143, v159
	v_dot4c_i32_i8_e32 v113, v147, v159
	v_dot4c_i32_i8_e32 v115, v149, v159
	ds_read_b128 v[152:155], v103 offset:5120
	ds_read_b128 v[156:159], v103 offset:5136
	v_cvt_f32_i32_e32 v162, v109
	v_mov_b32_e32 v109, 0
	v_pk_mul_f32 v[160:161], v[114:115], v[150:151] op_sel_hi:[0,1]
	s_waitcnt lgkmcnt(1)
	v_dot4c_i32_i8_e32 v119, v122, v152
	v_dot4c_i32_i8_e32 v119, v123, v153
	;; [unrolled: 1-line block ×4, first 2 shown]
	s_waitcnt lgkmcnt(0)
	v_dot4c_i32_i8_e32 v119, v136, v156
	v_dot4c_i32_i8_e32 v109, v116, v152
	;; [unrolled: 1-line block ×10, first 2 shown]
	v_cvt_f32_i32_e32 v163, v119
	v_dot4c_i32_i8_e32 v109, v142, v158
	v_dot4c_i32_i8_e32 v109, v143, v159
	v_add_u32_e32 v99, 4, v99
	v_pk_fma_f32 v[16:17], v[160:161], v[162:163], v[16:17]
	v_cvt_f32_i32_e32 v162, v111
	v_cvt_f32_i32_e32 v163, v109
	v_mov_b32_e32 v109, 0
	v_dot4c_i32_i8_e32 v109, v120, v152
	v_dot4c_i32_i8_e32 v109, v121, v153
	;; [unrolled: 1-line block ×7, first 2 shown]
	v_pk_mul_f32 v[160:161], v[110:111], v[150:151] op_sel_hi:[0,1]
	v_dot4c_i32_i8_e32 v109, v147, v159
	v_pk_fma_f32 v[14:15], v[160:161], v[162:163], v[14:15]
	v_pk_mul_f32 v[160:161], v[112:113], v[150:151] op_sel_hi:[0,1]
	v_cvt_f32_i32_e32 v162, v113
	v_cvt_f32_i32_e32 v163, v109
	v_mov_b32_e32 v109, 0
	v_dot4c_i32_i8_e32 v109, v126, v152
	v_dot4c_i32_i8_e32 v109, v127, v153
	;; [unrolled: 1-line block ×8, first 2 shown]
	v_cvt_f32_i32_e32 v152, v115
	v_pk_mul_f32 v[150:151], v[118:119], v[150:151] op_sel_hi:[0,1]
	v_pk_fma_f32 v[12:13], v[160:161], v[162:163], v[12:13]
	v_cvt_f32_i32_e32 v153, v109
	v_mov_b32_e32 v109, 0
	v_mov_b32_e32 v113, 0
	;; [unrolled: 1-line block ×3, first 2 shown]
	v_pk_fma_f32 v[10:11], v[150:151], v[152:153], v[10:11]
	ds_read2_b32 v[150:151], v93 offset0:192 offset1:224
	ds_read_b128 v[152:155], v103 offset:6144
	ds_read_b128 v[156:159], v103 offset:6160
	v_mov_b32_e32 v160, 0
	v_mov_b32_e32 v111, 0
	s_waitcnt lgkmcnt(2)
	v_pk_mul_f32 v[114:115], v[114:115], v[150:151] op_sel_hi:[0,1]
	s_waitcnt lgkmcnt(1)
	v_dot4c_i32_i8_e32 v109, v122, v152
	v_dot4c_i32_i8_e32 v113, v116, v152
	;; [unrolled: 1-line block ×16, first 2 shown]
	s_waitcnt lgkmcnt(0)
	v_dot4c_i32_i8_e32 v109, v136, v156
	v_dot4c_i32_i8_e32 v113, v132, v156
	;; [unrolled: 1-line block ×16, first 2 shown]
	ds_read_b128 v[152:155], v103 offset:7168
	ds_read_b128 v[156:159], v103 offset:7184
	v_add_u32_e32 v103, 32, v103
	v_add_u32_e32 v97, 4, v97
	v_add_u32_e32 v95, 4, v95
	s_waitcnt lgkmcnt(1)
	v_dot4c_i32_i8_e32 v111, v122, v152
	v_dot4c_i32_i8_e32 v111, v123, v153
	;; [unrolled: 1-line block ×4, first 2 shown]
	v_cvt_f32_i32_e32 v122, v109
	v_mov_b32_e32 v109, 0
	s_waitcnt lgkmcnt(0)
	v_dot4c_i32_i8_e32 v111, v136, v156
	v_dot4c_i32_i8_e32 v109, v116, v152
	;; [unrolled: 1-line block ×10, first 2 shown]
	v_cvt_f32_i32_e32 v123, v111
	v_dot4c_i32_i8_e32 v109, v142, v158
	v_dot4c_i32_i8_e32 v109, v143, v159
	v_pk_mul_f32 v[110:111], v[110:111], v[150:151] op_sel_hi:[0,1]
	v_pk_fma_f32 v[8:9], v[114:115], v[122:123], v[8:9]
	v_cvt_f32_i32_e32 v114, v113
	v_cvt_f32_i32_e32 v115, v109
	v_mov_b32_e32 v109, 0
	v_dot4c_i32_i8_e32 v109, v120, v152
	v_dot4c_i32_i8_e32 v109, v121, v153
	;; [unrolled: 1-line block ×8, first 2 shown]
	v_pk_fma_f32 v[6:7], v[110:111], v[114:115], v[6:7]
	v_pk_mul_f32 v[110:111], v[112:113], v[150:151] op_sel_hi:[0,1]
	v_cvt_f32_i32_e32 v112, v119
	v_cvt_f32_i32_e32 v113, v109
	v_mov_b32_e32 v109, 0
	v_dot4c_i32_i8_e32 v109, v126, v152
	v_dot4c_i32_i8_e32 v109, v127, v153
	;; [unrolled: 1-line block ×8, first 2 shown]
	v_pk_fma_f32 v[4:5], v[110:111], v[112:113], v[4:5]
	v_cvt_f32_i32_e32 v112, v160
	v_pk_mul_f32 v[110:111], v[118:119], v[150:151] op_sel_hi:[0,1]
	v_cvt_f32_i32_e32 v113, v109
	v_add_u32_e32 v93, 4, v93
	s_cmp_lt_u32 s1, 24
	v_pk_fma_f32 v[2:3], v[110:111], v[112:113], v[2:3]
	s_cbranch_scc1 .LBB126_6
; %bb.7:                                ;   in Loop: Header=BB126_5 Depth=1
	s_add_i32 s0, s0, 4
	s_cmp_ge_i32 s0, s4
	s_barrier
	s_cbranch_scc0 .LBB126_5
; %bb.8:
	v_mov_b32_e32 v32, v37
.LBB126_9:
	v_cmp_gt_u32_e32 vcc, s10, v39
	s_and_saveexec_b64 s[0:1], vcc
	s_cbranch_execz .LBB126_60
; %bb.10:
	v_add_u32_e32 v0, s6, v1
	v_mul_lo_u32 v33, v39, s14
	v_cmp_gt_u32_e32 vcc, s14, v0
	s_and_saveexec_b64 s[0:1], vcc
	s_cbranch_execz .LBB126_12
; %bb.11:
	v_add_u32_e32 v36, v0, v33
	v_mov_b32_e32 v37, 0
	s_waitcnt lgkmcnt(0)
	v_lshl_add_u64 v[36:37], v[36:37], 2, s[12:13]
	global_store_dword v[36:37], v34, off
.LBB126_12:
	s_or_b64 exec, exec, s[0:1]
	v_add_u32_e32 v1, 32, v0
	v_cmp_gt_u32_e64 s[0:1], s14, v1
	s_and_saveexec_b64 s[2:3], s[0:1]
	s_cbranch_execz .LBB126_14
; %bb.13:
	v_add_u32_e32 v36, v1, v33
	v_mov_b32_e32 v37, 0
	s_waitcnt lgkmcnt(0)
	v_lshl_add_u64 v[36:37], v[36:37], 2, s[12:13]
	global_store_dword v[36:37], v30, off
.LBB126_14:
	s_or_b64 exec, exec, s[2:3]
	v_add_u32_e32 v30, 64, v0
	v_cmp_gt_u32_e64 s[2:3], s14, v30
	s_and_saveexec_b64 s[4:5], s[2:3]
	;; [unrolled: 12-line block ×3, first 2 shown]
	s_cbranch_execz .LBB126_18
; %bb.17:
	v_add_u32_e32 v36, v28, v33
	v_mov_b32_e32 v37, 0
	s_waitcnt lgkmcnt(0)
	v_lshl_add_u64 v[36:37], v[36:37], 2, s[12:13]
	global_store_dword v[36:37], v26, off
.LBB126_18:
	s_or_b64 exec, exec, s[6:7]
	v_add3_u32 v26, v32, s15, 8
	v_cmp_gt_u32_e64 s[6:7], s10, v26
	s_and_b64 exec, exec, s[6:7]
	s_cbranch_execz .LBB126_60
; %bb.19:
	v_mul_lo_u32 v26, v26, s14
	s_and_saveexec_b64 s[6:7], vcc
	s_cbranch_execnz .LBB126_61
; %bb.20:
	s_or_b64 exec, exec, s[6:7]
	s_and_saveexec_b64 s[6:7], s[0:1]
	s_cbranch_execnz .LBB126_62
.LBB126_21:
	s_or_b64 exec, exec, s[6:7]
	s_and_saveexec_b64 s[6:7], s[2:3]
	s_cbranch_execnz .LBB126_63
.LBB126_22:
	s_or_b64 exec, exec, s[6:7]
	s_and_saveexec_b64 s[6:7], s[4:5]
	s_cbranch_execz .LBB126_24
.LBB126_23:
	v_add_u32_e32 v34, v26, v28
	v_mov_b32_e32 v35, 0
	s_waitcnt lgkmcnt(0)
	v_lshl_add_u64 v[34:35], v[34:35], 2, s[12:13]
	global_store_dword v[34:35], v27, off
.LBB126_24:
	s_or_b64 exec, exec, s[6:7]
	v_add3_u32 v26, v32, s15, 16
	v_cmp_gt_u32_e64 s[6:7], s10, v26
	s_and_b64 exec, exec, s[6:7]
	s_cbranch_execz .LBB126_60
; %bb.25:
	v_mul_lo_u32 v26, v26, s14
	s_and_saveexec_b64 s[6:7], vcc
	s_cbranch_execnz .LBB126_64
; %bb.26:
	s_or_b64 exec, exec, s[6:7]
	s_and_saveexec_b64 s[6:7], s[0:1]
	s_cbranch_execnz .LBB126_65
.LBB126_27:
	s_or_b64 exec, exec, s[6:7]
	s_and_saveexec_b64 s[6:7], s[2:3]
	s_cbranch_execnz .LBB126_66
.LBB126_28:
	s_or_b64 exec, exec, s[6:7]
	s_and_saveexec_b64 s[6:7], s[4:5]
	s_cbranch_execz .LBB126_30
.LBB126_29:
	v_add_u32_e32 v26, v26, v28
	v_mov_b32_e32 v27, 0
	s_waitcnt lgkmcnt(0)
	v_lshl_add_u64 v[26:27], v[26:27], 2, s[12:13]
	global_store_dword v[26:27], v18, off
.LBB126_30:
	s_or_b64 exec, exec, s[6:7]
	v_add3_u32 v18, v32, s15, 24
	v_cmp_gt_u32_e64 s[6:7], s10, v18
	s_and_b64 exec, exec, s[6:7]
	s_cbranch_execz .LBB126_60
; %bb.31:
	v_mul_lo_u32 v18, v18, s14
	s_and_saveexec_b64 s[6:7], vcc
	s_cbranch_execnz .LBB126_67
; %bb.32:
	s_or_b64 exec, exec, s[6:7]
	s_and_saveexec_b64 s[6:7], s[0:1]
	s_cbranch_execnz .LBB126_68
.LBB126_33:
	s_or_b64 exec, exec, s[6:7]
	s_and_saveexec_b64 s[6:7], s[2:3]
	s_cbranch_execnz .LBB126_69
.LBB126_34:
	s_or_b64 exec, exec, s[6:7]
	s_and_saveexec_b64 s[6:7], s[4:5]
	s_cbranch_execz .LBB126_36
.LBB126_35:
	v_add_u32_e32 v20, v18, v28
	v_mov_b32_e32 v21, 0
	s_waitcnt lgkmcnt(0)
	v_lshl_add_u64 v[20:21], v[20:21], 2, s[12:13]
	global_store_dword v[20:21], v19, off
.LBB126_36:
	s_or_b64 exec, exec, s[6:7]
	v_add3_u32 v18, v32, s15, 32
	v_cmp_gt_u32_e64 s[6:7], s10, v18
	s_and_b64 exec, exec, s[6:7]
	s_cbranch_execz .LBB126_60
; %bb.37:
	v_mul_lo_u32 v18, v18, s14
	s_and_saveexec_b64 s[6:7], vcc
	s_cbranch_execnz .LBB126_70
; %bb.38:
	s_or_b64 exec, exec, s[6:7]
	s_and_saveexec_b64 s[6:7], s[0:1]
	s_cbranch_execnz .LBB126_71
.LBB126_39:
	s_or_b64 exec, exec, s[6:7]
	s_and_saveexec_b64 s[6:7], s[2:3]
	s_cbranch_execnz .LBB126_72
.LBB126_40:
	s_or_b64 exec, exec, s[6:7]
	s_and_saveexec_b64 s[6:7], s[4:5]
	s_cbranch_execz .LBB126_42
.LBB126_41:
	v_add_u32_e32 v18, v18, v28
	v_mov_b32_e32 v19, 0
	s_waitcnt lgkmcnt(0)
	v_lshl_add_u64 v[18:19], v[18:19], 2, s[12:13]
	global_store_dword v[18:19], v10, off
.LBB126_42:
	s_or_b64 exec, exec, s[6:7]
	v_add3_u32 v10, v32, s15, 40
	v_cmp_gt_u32_e64 s[6:7], s10, v10
	s_and_b64 exec, exec, s[6:7]
	s_cbranch_execz .LBB126_60
; %bb.43:
	v_mul_lo_u32 v10, v10, s14
	s_and_saveexec_b64 s[6:7], vcc
	s_cbranch_execnz .LBB126_73
; %bb.44:
	s_or_b64 exec, exec, s[6:7]
	s_and_saveexec_b64 s[6:7], s[0:1]
	s_cbranch_execnz .LBB126_74
.LBB126_45:
	s_or_b64 exec, exec, s[6:7]
	s_and_saveexec_b64 s[6:7], s[2:3]
	s_cbranch_execnz .LBB126_75
.LBB126_46:
	s_or_b64 exec, exec, s[6:7]
	s_and_saveexec_b64 s[6:7], s[4:5]
	s_cbranch_execz .LBB126_48
.LBB126_47:
	v_add_u32_e32 v12, v10, v28
	v_mov_b32_e32 v13, 0
	s_waitcnt lgkmcnt(0)
	v_lshl_add_u64 v[12:13], v[12:13], 2, s[12:13]
	global_store_dword v[12:13], v11, off
.LBB126_48:
	s_or_b64 exec, exec, s[6:7]
	v_add3_u32 v10, v32, s15, 48
	v_cmp_gt_u32_e64 s[6:7], s10, v10
	s_and_b64 exec, exec, s[6:7]
	s_cbranch_execz .LBB126_60
; %bb.49:
	v_mul_lo_u32 v10, v10, s14
	s_and_saveexec_b64 s[6:7], vcc
	s_cbranch_execnz .LBB126_76
; %bb.50:
	s_or_b64 exec, exec, s[6:7]
	s_and_saveexec_b64 s[6:7], s[0:1]
	s_cbranch_execnz .LBB126_77
.LBB126_51:
	s_or_b64 exec, exec, s[6:7]
	s_and_saveexec_b64 s[6:7], s[2:3]
	s_cbranch_execnz .LBB126_78
.LBB126_52:
	s_or_b64 exec, exec, s[6:7]
	s_and_saveexec_b64 s[6:7], s[4:5]
	s_cbranch_execz .LBB126_54
.LBB126_53:
	v_add_u32_e32 v10, v10, v28
	v_mov_b32_e32 v11, 0
	s_waitcnt lgkmcnt(0)
	v_lshl_add_u64 v[10:11], v[10:11], 2, s[12:13]
	global_store_dword v[10:11], v2, off
.LBB126_54:
	s_or_b64 exec, exec, s[6:7]
	v_add3_u32 v2, v32, s15, 56
	v_cmp_gt_u32_e64 s[6:7], s10, v2
	s_and_b64 exec, exec, s[6:7]
	s_cbranch_execz .LBB126_60
; %bb.55:
	v_mul_lo_u32 v2, v2, s14
	s_and_saveexec_b64 s[6:7], vcc
	s_cbranch_execnz .LBB126_79
; %bb.56:
	s_or_b64 exec, exec, s[6:7]
	s_and_saveexec_b64 s[6:7], s[0:1]
	s_cbranch_execnz .LBB126_80
.LBB126_57:
	s_or_b64 exec, exec, s[6:7]
	s_and_saveexec_b64 s[0:1], s[2:3]
	s_cbranch_execnz .LBB126_81
.LBB126_58:
	s_or_b64 exec, exec, s[0:1]
	s_and_b64 exec, exec, s[4:5]
	s_cbranch_execz .LBB126_60
.LBB126_59:
	v_add_u32_e32 v0, v2, v28
	v_mov_b32_e32 v1, 0
	s_waitcnt lgkmcnt(0)
	v_lshl_add_u64 v[0:1], v[0:1], 2, s[12:13]
	global_store_dword v[0:1], v3, off
.LBB126_60:
	s_endpgm
.LBB126_61:
	v_add_u32_e32 v36, v26, v0
	v_mov_b32_e32 v37, 0
	s_waitcnt lgkmcnt(0)
	v_lshl_add_u64 v[36:37], v[36:37], 2, s[12:13]
	global_store_dword v[36:37], v35, off
	s_or_b64 exec, exec, s[6:7]
	s_and_saveexec_b64 s[6:7], s[0:1]
	s_cbranch_execz .LBB126_21
.LBB126_62:
	v_add_u32_e32 v34, v26, v1
	v_mov_b32_e32 v35, 0
	s_waitcnt lgkmcnt(0)
	v_lshl_add_u64 v[34:35], v[34:35], 2, s[12:13]
	global_store_dword v[34:35], v31, off
	s_or_b64 exec, exec, s[6:7]
	s_and_saveexec_b64 s[6:7], s[2:3]
	s_cbranch_execz .LBB126_22
.LBB126_63:
	v_add_u32_e32 v34, v26, v30
	v_mov_b32_e32 v35, 0
	s_waitcnt lgkmcnt(0)
	v_lshl_add_u64 v[34:35], v[34:35], 2, s[12:13]
	global_store_dword v[34:35], v29, off
	s_or_b64 exec, exec, s[6:7]
	s_and_saveexec_b64 s[6:7], s[4:5]
	s_cbranch_execnz .LBB126_23
	s_branch .LBB126_24
.LBB126_64:
	v_add_u32_e32 v34, v26, v0
	v_mov_b32_e32 v35, 0
	s_waitcnt lgkmcnt(0)
	v_lshl_add_u64 v[34:35], v[34:35], 2, s[12:13]
	global_store_dword v[34:35], v24, off
	s_or_b64 exec, exec, s[6:7]
	s_and_saveexec_b64 s[6:7], s[0:1]
	s_cbranch_execz .LBB126_27
.LBB126_65:
	v_add_u32_e32 v34, v26, v1
	v_mov_b32_e32 v35, 0
	s_waitcnt lgkmcnt(0)
	v_lshl_add_u64 v[34:35], v[34:35], 2, s[12:13]
	global_store_dword v[34:35], v22, off
	s_or_b64 exec, exec, s[6:7]
	s_and_saveexec_b64 s[6:7], s[2:3]
	s_cbranch_execz .LBB126_28
.LBB126_66:
	v_add_u32_e32 v34, v26, v30
	v_mov_b32_e32 v35, 0
	s_waitcnt lgkmcnt(0)
	v_lshl_add_u64 v[34:35], v[34:35], 2, s[12:13]
	global_store_dword v[34:35], v20, off
	s_or_b64 exec, exec, s[6:7]
	s_and_saveexec_b64 s[6:7], s[4:5]
	s_cbranch_execnz .LBB126_29
	s_branch .LBB126_30
.LBB126_67:
	v_add_u32_e32 v26, v18, v0
	v_mov_b32_e32 v27, 0
	s_waitcnt lgkmcnt(0)
	v_lshl_add_u64 v[26:27], v[26:27], 2, s[12:13]
	global_store_dword v[26:27], v25, off
	s_or_b64 exec, exec, s[6:7]
	s_and_saveexec_b64 s[6:7], s[0:1]
	s_cbranch_execz .LBB126_33
.LBB126_68:
	v_add_u32_e32 v24, v18, v1
	v_mov_b32_e32 v25, 0
	s_waitcnt lgkmcnt(0)
	v_lshl_add_u64 v[24:25], v[24:25], 2, s[12:13]
	global_store_dword v[24:25], v23, off
	s_or_b64 exec, exec, s[6:7]
	s_and_saveexec_b64 s[6:7], s[2:3]
	s_cbranch_execz .LBB126_34
.LBB126_69:
	v_add_u32_e32 v22, v18, v30
	v_mov_b32_e32 v23, 0
	s_waitcnt lgkmcnt(0)
	v_lshl_add_u64 v[22:23], v[22:23], 2, s[12:13]
	global_store_dword v[22:23], v21, off
	s_or_b64 exec, exec, s[6:7]
	s_and_saveexec_b64 s[6:7], s[4:5]
	s_cbranch_execnz .LBB126_35
	s_branch .LBB126_36
.LBB126_70:
	v_add_u32_e32 v20, v18, v0
	v_mov_b32_e32 v21, 0
	s_waitcnt lgkmcnt(0)
	v_lshl_add_u64 v[20:21], v[20:21], 2, s[12:13]
	global_store_dword v[20:21], v16, off
	s_or_b64 exec, exec, s[6:7]
	s_and_saveexec_b64 s[6:7], s[0:1]
	s_cbranch_execz .LBB126_39
.LBB126_71:
	v_add_u32_e32 v20, v18, v1
	v_mov_b32_e32 v21, 0
	s_waitcnt lgkmcnt(0)
	v_lshl_add_u64 v[20:21], v[20:21], 2, s[12:13]
	global_store_dword v[20:21], v14, off
	s_or_b64 exec, exec, s[6:7]
	s_and_saveexec_b64 s[6:7], s[2:3]
	s_cbranch_execz .LBB126_40
.LBB126_72:
	v_add_u32_e32 v20, v18, v30
	v_mov_b32_e32 v21, 0
	s_waitcnt lgkmcnt(0)
	v_lshl_add_u64 v[20:21], v[20:21], 2, s[12:13]
	global_store_dword v[20:21], v12, off
	s_or_b64 exec, exec, s[6:7]
	s_and_saveexec_b64 s[6:7], s[4:5]
	s_cbranch_execnz .LBB126_41
	s_branch .LBB126_42
.LBB126_73:
	v_add_u32_e32 v18, v10, v0
	v_mov_b32_e32 v19, 0
	s_waitcnt lgkmcnt(0)
	v_lshl_add_u64 v[18:19], v[18:19], 2, s[12:13]
	global_store_dword v[18:19], v17, off
	s_or_b64 exec, exec, s[6:7]
	s_and_saveexec_b64 s[6:7], s[0:1]
	s_cbranch_execz .LBB126_45
.LBB126_74:
	v_add_u32_e32 v16, v10, v1
	v_mov_b32_e32 v17, 0
	s_waitcnt lgkmcnt(0)
	v_lshl_add_u64 v[16:17], v[16:17], 2, s[12:13]
	global_store_dword v[16:17], v15, off
	s_or_b64 exec, exec, s[6:7]
	s_and_saveexec_b64 s[6:7], s[2:3]
	s_cbranch_execz .LBB126_46
.LBB126_75:
	v_add_u32_e32 v14, v10, v30
	v_mov_b32_e32 v15, 0
	s_waitcnt lgkmcnt(0)
	v_lshl_add_u64 v[14:15], v[14:15], 2, s[12:13]
	global_store_dword v[14:15], v13, off
	s_or_b64 exec, exec, s[6:7]
	s_and_saveexec_b64 s[6:7], s[4:5]
	s_cbranch_execnz .LBB126_47
	s_branch .LBB126_48
.LBB126_76:
	v_add_u32_e32 v12, v10, v0
	v_mov_b32_e32 v13, 0
	s_waitcnt lgkmcnt(0)
	v_lshl_add_u64 v[12:13], v[12:13], 2, s[12:13]
	global_store_dword v[12:13], v8, off
	s_or_b64 exec, exec, s[6:7]
	s_and_saveexec_b64 s[6:7], s[0:1]
	s_cbranch_execz .LBB126_51
.LBB126_77:
	v_add_u32_e32 v12, v10, v1
	v_mov_b32_e32 v13, 0
	s_waitcnt lgkmcnt(0)
	v_lshl_add_u64 v[12:13], v[12:13], 2, s[12:13]
	global_store_dword v[12:13], v6, off
	s_or_b64 exec, exec, s[6:7]
	s_and_saveexec_b64 s[6:7], s[2:3]
	s_cbranch_execz .LBB126_52
.LBB126_78:
	v_add_u32_e32 v12, v10, v30
	v_mov_b32_e32 v13, 0
	s_waitcnt lgkmcnt(0)
	v_lshl_add_u64 v[12:13], v[12:13], 2, s[12:13]
	global_store_dword v[12:13], v4, off
	s_or_b64 exec, exec, s[6:7]
	s_and_saveexec_b64 s[6:7], s[4:5]
	s_cbranch_execnz .LBB126_53
	s_branch .LBB126_54
.LBB126_79:
	v_add_u32_e32 v10, v2, v0
	v_mov_b32_e32 v11, 0
	s_waitcnt lgkmcnt(0)
	v_lshl_add_u64 v[10:11], v[10:11], 2, s[12:13]
	global_store_dword v[10:11], v9, off
	s_or_b64 exec, exec, s[6:7]
	s_and_saveexec_b64 s[6:7], s[0:1]
	s_cbranch_execz .LBB126_57
.LBB126_80:
	v_add_u32_e32 v0, v2, v1
	v_mov_b32_e32 v1, 0
	s_waitcnt lgkmcnt(0)
	v_lshl_add_u64 v[0:1], v[0:1], 2, s[12:13]
	global_store_dword v[0:1], v7, off
	s_or_b64 exec, exec, s[6:7]
	s_and_saveexec_b64 s[0:1], s[2:3]
	s_cbranch_execz .LBB126_58
.LBB126_81:
	v_add_u32_e32 v0, v2, v30
	v_mov_b32_e32 v1, 0
	s_waitcnt lgkmcnt(0)
	v_lshl_add_u64 v[0:1], v[0:1], 2, s[12:13]
	global_store_dword v[0:1], v5, off
	s_or_b64 exec, exec, s[0:1]
	s_and_b64 exec, exec, s[4:5]
	s_cbranch_execnz .LBB126_59
	s_branch .LBB126_60
	.section	.rodata,"a",@progbits
	.p2align	6, 0x0
	.amdhsa_kernel _ZL12mul_mat_q8_0IfLb1EEvPKvS1_PT_iiiii
		.amdhsa_group_segment_fixed_size 28224
		.amdhsa_private_segment_fixed_size 0
		.amdhsa_kernarg_size 44
		.amdhsa_user_sgpr_count 2
		.amdhsa_user_sgpr_dispatch_ptr 0
		.amdhsa_user_sgpr_queue_ptr 0
		.amdhsa_user_sgpr_kernarg_segment_ptr 1
		.amdhsa_user_sgpr_dispatch_id 0
		.amdhsa_user_sgpr_kernarg_preload_length 0
		.amdhsa_user_sgpr_kernarg_preload_offset 0
		.amdhsa_user_sgpr_private_segment_size 0
		.amdhsa_uses_dynamic_stack 0
		.amdhsa_enable_private_segment 0
		.amdhsa_system_sgpr_workgroup_id_x 1
		.amdhsa_system_sgpr_workgroup_id_y 1
		.amdhsa_system_sgpr_workgroup_id_z 0
		.amdhsa_system_sgpr_workgroup_info 0
		.amdhsa_system_vgpr_workitem_id 1
		.amdhsa_next_free_vgpr 164
		.amdhsa_next_free_sgpr 18
		.amdhsa_accum_offset 164
		.amdhsa_reserve_vcc 1
		.amdhsa_float_round_mode_32 0
		.amdhsa_float_round_mode_16_64 0
		.amdhsa_float_denorm_mode_32 3
		.amdhsa_float_denorm_mode_16_64 3
		.amdhsa_dx10_clamp 1
		.amdhsa_ieee_mode 1
		.amdhsa_fp16_overflow 0
		.amdhsa_tg_split 0
		.amdhsa_exception_fp_ieee_invalid_op 0
		.amdhsa_exception_fp_denorm_src 0
		.amdhsa_exception_fp_ieee_div_zero 0
		.amdhsa_exception_fp_ieee_overflow 0
		.amdhsa_exception_fp_ieee_underflow 0
		.amdhsa_exception_fp_ieee_inexact 0
		.amdhsa_exception_int_div_zero 0
	.end_amdhsa_kernel
	.section	.text._ZL12mul_mat_q8_0IfLb1EEvPKvS1_PT_iiiii,"axG",@progbits,_ZL12mul_mat_q8_0IfLb1EEvPKvS1_PT_iiiii,comdat
.Lfunc_end126:
	.size	_ZL12mul_mat_q8_0IfLb1EEvPKvS1_PT_iiiii, .Lfunc_end126-_ZL12mul_mat_q8_0IfLb1EEvPKvS1_PT_iiiii
                                        ; -- End function
	.section	.AMDGPU.csdata,"",@progbits
; Kernel info:
; codeLenInByte = 6332
; NumSgprs: 24
; NumVgprs: 164
; NumAgprs: 0
; TotalNumVgprs: 164
; ScratchSize: 0
; MemoryBound: 0
; FloatMode: 240
; IeeeMode: 1
; LDSByteSize: 28224 bytes/workgroup (compile time only)
; SGPRBlocks: 2
; VGPRBlocks: 20
; NumSGPRsForWavesPerEU: 24
; NumVGPRsForWavesPerEU: 164
; AccumOffset: 164
; Occupancy: 2
; WaveLimiterHint : 0
; COMPUTE_PGM_RSRC2:SCRATCH_EN: 0
; COMPUTE_PGM_RSRC2:USER_SGPR: 2
; COMPUTE_PGM_RSRC2:TRAP_HANDLER: 0
; COMPUTE_PGM_RSRC2:TGID_X_EN: 1
; COMPUTE_PGM_RSRC2:TGID_Y_EN: 1
; COMPUTE_PGM_RSRC2:TGID_Z_EN: 0
; COMPUTE_PGM_RSRC2:TIDIG_COMP_CNT: 1
; COMPUTE_PGM_RSRC3_GFX90A:ACCUM_OFFSET: 40
; COMPUTE_PGM_RSRC3_GFX90A:TG_SPLIT: 0
	.section	.text._ZL12mul_mat_q2_KIfLb0EEvPKvS1_PT_iiiii,"axG",@progbits,_ZL12mul_mat_q2_KIfLb0EEvPKvS1_PT_iiiii,comdat
	.globl	_ZL12mul_mat_q2_KIfLb0EEvPKvS1_PT_iiiii ; -- Begin function _ZL12mul_mat_q2_KIfLb0EEvPKvS1_PT_iiiii
	.p2align	8
	.type	_ZL12mul_mat_q2_KIfLb0EEvPKvS1_PT_iiiii,@function
_ZL12mul_mat_q2_KIfLb0EEvPKvS1_PT_iiiii: ; @_ZL12mul_mat_q2_KIfLb0EEvPKvS1_PT_iiiii
; %bb.0:
	s_load_dword s15, s[0:1], 0x18
	s_load_dwordx4 s[8:11], s[0:1], 0x20
	s_waitcnt lgkmcnt(0)
	s_lshl_b32 s11, s3, 6
	v_bfe_u32 v45, v0, 10, 10
	s_cmpk_gt_i32 s15, 0xff
	s_cbranch_scc1 .LBB127_2
; %bb.1:
	v_bfe_u32 v1, v0, 10, 10
	s_mov_b32 s4, 0
	v_and_b32_e32 v41, 0x3ff, v0
	v_add_u32_e32 v49, s11, v1
	s_mov_b32 s5, s4
	s_mov_b64 s[6:7], 0
	s_branch .LBB127_3
.LBB127_2:
	s_mov_b64 s[6:7], -1
                                        ; implicit-def: $sgpr4_sgpr5
                                        ; implicit-def: $vgpr1
                                        ; implicit-def: $vgpr41
                                        ; implicit-def: $vgpr49
.LBB127_3:
	s_load_dwordx2 s[12:13], s[0:1], 0x10
	s_lshl_b32 s14, s2, 7
	s_andn2_b64 vcc, exec, s[6:7]
	v_mov_b64_e32 v[16:17], s[4:5]
	v_mov_b64_e32 v[24:25], s[4:5]
	;; [unrolled: 1-line block ×16, first 2 shown]
	s_cbranch_vccnz .LBB127_17
; %bb.4:
	s_ashr_i32 s4, s15, 31
	s_load_dwordx4 s[0:3], s[0:1], 0x0
	s_lshr_b32 s4, s4, 24
	s_add_i32 s15, s15, s4
	s_ashr_i32 s5, s9, 31
	s_ashr_i32 s4, s15, 8
	s_lshr_b32 s5, s5, 27
	s_add_i32 s5, s9, s5
	s_mul_i32 s6, s4, s14
	s_ashr_i32 s9, s5, 5
	s_mul_hi_i32 s7, s6, 0x54
	s_mulk_i32 s6, 0x54
	s_waitcnt lgkmcnt(0)
	s_add_u32 s6, s0, s6
	s_addc_u32 s7, s1, s7
	s_lshl_b32 s15, s4, 3
	v_and_b32_e32 v41, 0x3ff, v0
	v_mov_b32_e32 v0, s15
	v_mad_i32_i24 v46, s4, v45, v0
	v_add_u32_e32 v48, s15, v46
	v_add_u32_e32 v50, s15, v48
	;; [unrolled: 1-line block ×11, first 2 shown]
	v_lshlrev_b32_e32 v81, 4, v45
	v_lshrrev_b32_e32 v0, 1, v41
	v_add_u32_e32 v70, s15, v68
	v_and_b32_e32 v76, 1, v41
	v_add_u32_e32 v0, v0, v81
	v_add_u32_e32 v72, s15, v70
	v_and_b32_e32 v1, 0x7f, v0
	v_lshlrev_b32_e32 v3, 2, v76
	v_lshrrev_b32_e32 v0, 2, v0
	v_add_u32_e32 v74, s15, v72
	v_mul_i32_i24_e32 v78, s4, v1
	v_lshl_or_b32 v1, v1, 3, v3
	v_and_b32_e32 v0, 28, v0
	s_movk_i32 s15, 0x7280
	v_lshrrev_b32_e32 v91, 3, v41
	v_add3_u32 v85, v1, v0, s15
	v_lshl_add_u32 v0, v45, 2, v91
	v_and_b32_e32 v1, 7, v41
	v_cmp_lt_u32_e32 vcc, 3, v1
	v_and_b32_e32 v3, 0x7fc, v0
	v_lshlrev_b32_e32 v1, 2, v1
	s_movk_i32 s16, 0x6200
	s_lshl_b32 s17, s4, 5
	v_add3_u32 v4, v3, v1, s16
	v_add_u32_e32 v3, 32, v0
	v_mov_b32_e32 v6, s17
	v_mul_i32_i24_e32 v84, s4, v0
	v_lshlrev_b32_e32 v5, 5, v0
	v_mad_i32_i24 v90, s4, v0, v6
	v_and_b32_e32 v6, 0xffc, v3
	v_lshlrev_b32_e32 v7, 5, v3
	v_add_u32_e32 v3, 64, v0
	v_add_u32_e32 v0, 0x60, v0
	v_mov_b32_e32 v43, 0
	v_lshlrev_b32_e32 v2, 2, v41
	s_movk_i32 s1, 0x84
	v_and_b32_e32 v8, 0xffc, v3
	v_lshlrev_b32_e32 v9, 5, v3
	v_and_b32_e32 v3, 0xffc, v0
	v_and_b32_e32 v42, 60, v2
	v_mad_u32_u24 v47, v45, s1, v2
	v_and_b32_e32 v82, 12, v2
	v_add3_u32 v10, v3, v1, s16
	v_and_b32_e32 v2, 28, v2
	v_mov_b32_e32 v3, v43
	v_lshl_add_u64 v[100:101], s[2:3], 0, v[2:3]
	v_lshrrev_b32_e32 v2, 2, v41
	v_lshl_add_u32 v2, v45, 3, v2
	v_and_b32_e32 v3, 63, v2
	v_add3_u32 v6, v6, v1, s16
	v_add3_u32 v8, v8, v1, s16
	s_add_i32 s16, s8, -1
	v_or_b32_e32 v13, s11, v3
	v_add_u32_e32 v92, s17, v90
	v_and_b32_e32 v2, 3, v41
	v_min_i32_e32 v13, s16, v13
	v_add_u32_e32 v96, s17, v92
	v_lshlrev_b32_e32 v11, 5, v0
	v_cvt_f64_i32_e32 v[0:1], s16
	v_mad_u64_u32 v[102:103], s[16:17], v13, s9, v[2:3]
	v_lshlrev_b32_e32 v2, 2, v2
	v_add_u32_e32 v49, s11, v45
	v_lshl_or_b32 v2, v3, 4, v2
	v_add_u32_e32 v93, 0x76a0, v2
	v_cvt_f64_u32_e32 v[2:3], v49
	v_min_f64 v[2:3], v[2:3], v[0:1]
	v_cvt_i32_f64_e32 v2, v[2:3]
	v_mul_lo_u32 v97, s9, v2
	v_add_u32_e32 v2, 8, v49
	v_cvt_f64_u32_e32 v[2:3], v2
	v_min_f64 v[2:3], v[2:3], v[0:1]
	v_cvt_i32_f64_e32 v2, v[2:3]
	v_mul_lo_u32 v107, s9, v2
	;; [unrolled: 5-line block ×7, first 2 shown]
	v_add_u32_e32 v2, 56, v49
	v_cvt_f64_u32_e32 v[2:3], v2
	v_min_f64 v[0:1], v[2:3], v[0:1]
	v_lshrrev_b32_e32 v40, 4, v41
	v_cvt_i32_f64_e32 v0, v[0:1]
	v_mul_lo_u32 v133, s9, v0
	v_lshlrev_b32_e32 v0, 3, v41
	v_lshlrev_b32_e32 v15, 2, v40
	v_add_u32_e32 v1, 32, v41
	v_add3_u32 v136, v15, v0, s15
	v_mov_b32_e32 v0, 0x1080
	v_mad_u32_u24 v137, v41, s1, v0
	v_lshrrev_b32_e32 v0, 2, v1
	v_lshlrev_b32_e32 v2, 3, v1
	v_and_b32_e32 v0, 0x7c, v0
	v_and_b32_e32 v12, 31, v41
	v_lshlrev_b32_e32 v103, 7, v45
	v_add_u32_e32 v3, 64, v41
	v_add3_u32 v138, v2, v0, s15
	v_mov_b32_e32 v0, 0x2100
	v_lshl_or_b32 v12, v12, 2, v103
	v_mad_u32_u24 v139, v41, s1, v0
	v_lshrrev_b32_e32 v0, 2, v3
	v_add_u32_e32 v105, 0x4200, v12
	v_add_u32_e32 v109, 0x4600, v12
	;; [unrolled: 1-line block ×8, first 2 shown]
	v_lshlrev_b32_e32 v12, 3, v3
	v_and_b32_e32 v0, 0x7c, v0
	s_mov_b32 s0, 0
	v_add_u32_e32 v13, 0x60, v41
	v_add3_u32 v140, v12, v0, s15
	v_mov_b32_e32 v0, 0x3180
	v_mad_u32_u24 v141, v41, s1, v0
	v_lshrrev_b32_e32 v0, 2, v13
	s_mov_b32 s1, s0
	v_lshlrev_b32_e32 v14, 3, v13
	v_and_b32_e32 v0, 0x7c, v0
	v_and_b32_e32 v146, 0x1fc, v13
	v_lshlrev_b32_e32 v148, 5, v41
	v_and_b32_e32 v149, 0x1fc, v3
	v_and_b32_e32 v151, 0x1fc, v1
	;; [unrolled: 1-line block ×3, first 2 shown]
	v_mov_b64_e32 v[88:89], s[0:1]
	s_movk_i32 s5, 0x54
	v_mul_i32_i24_e32 v44, s4, v45
	v_add_u32_e32 v51, 0x420, v47
	v_add_u32_e32 v53, 0x840, v47
	;; [unrolled: 1-line block ×15, first 2 shown]
	v_cndmask_b32_e64 v80, 0, 1, vcc
	v_mov_b32_e32 v83, v43
	v_mul_u32_u24_e32 v135, 0x84, v41
	v_add3_u32 v142, v14, v0, s15
	v_lshrrev_b32_e32 v143, 3, v1
	v_lshrrev_b32_e32 v144, 3, v3
	;; [unrolled: 1-line block ×3, first 2 shown]
	v_or_b32_e32 v147, 0x4200, v146
	v_or_b32_e32 v150, 0x4200, v149
	;; [unrolled: 1-line block ×4, first 2 shown]
	v_add_u32_e32 v155, 0x6e08, v146
	v_add_u32_e32 v156, 0x6a08, v149
	v_add_u32_e32 v157, 0x6608, v151
	v_add_u32_e32 v158, 0x6208, v153
	v_add_u32_e32 v159, 0x76a0, v81
	v_add_u32_e32 v160, 0x4200, v103
	v_add_u32_e32 v161, v148, v146
	v_add_u32_e32 v162, v148, v149
	v_add_u32_e32 v163, v148, v151
	v_add_u32_e32 v164, v148, v153
	v_add_u32_e32 v165, v4, v5
	v_add_u32_e32 v166, v6, v7
	v_add_u32_e32 v167, v8, v9
	v_add_u32_e32 v168, v10, v11
	s_mov_b32 s1, 0x1010101
	v_mov_b32_e32 v169, 4
	v_mov_b32_e32 v170, 15
	v_mov_b64_e32 v[38:39], v[88:89]
	v_mov_b64_e32 v[30:31], v[88:89]
	;; [unrolled: 1-line block ×15, first 2 shown]
	s_branch .LBB127_6
.LBB127_5:                              ;   in Loop: Header=BB127_6 Depth=1
	s_add_i32 s0, s0, 2
	s_cmp_ge_i32 s0, s4
	s_cbranch_scc1 .LBB127_16
.LBB127_6:                              ; =>This Loop Header: Depth=1
                                        ;     Child Loop BB127_7 Depth 2
                                        ;     Child Loop BB127_9 Depth 2
                                        ;     Child Loop BB127_12 Depth 2
                                        ;     Child Loop BB127_14 Depth 2
	s_mul_i32 s15, s0, 0x54
	s_mul_hi_u32 s9, s0, 0x54
	s_add_u32 s16, s6, s15
	s_addc_u32 s17, s7, s9
	v_mov_b64_e32 v[0:1], s[16:17]
	v_mad_u64_u32 v[2:3], s[16:17], v40, s5, v[0:1]
	v_lshl_add_u64 v[2:3], v[2:3], 0, v[42:43]
	v_lshl_add_u64 v[2:3], v[2:3], 0, 16
	v_mad_u64_u32 v[4:5], s[16:17], v44, s5, v[2:3]
	v_mad_u64_u32 v[6:7], s[16:17], v46, s5, v[2:3]
	;; [unrolled: 1-line block ×8, first 2 shown]
	global_load_dword v104, v[4:5], off
	global_load_dword v106, v[6:7], off
	;; [unrolled: 1-line block ×8, first 2 shown]
	v_mad_u64_u32 v[4:5], s[16:17], v60, s5, v[2:3]
	v_mad_u64_u32 v[6:7], s[16:17], v62, s5, v[2:3]
	;; [unrolled: 1-line block ×8, first 2 shown]
	global_load_dword v120, v[4:5], off
	global_load_dword v121, v[6:7], off
	;; [unrolled: 1-line block ×8, first 2 shown]
	v_mad_u64_u32 v[2:3], s[16:17], v78, s5, v[0:1]
	v_mad_u64_u32 v[0:1], s[16:17], v80, s5, v[0:1]
	v_lshl_add_u64 v[0:1], v[0:1], 0, v[82:83]
	s_lshl_b32 s9, s0, 3
	v_mad_u64_u32 v[2:3], s[16:17], v76, s5, v[2:3]
	v_mad_u64_u32 v[4:5], s[16:17], v84, s5, v[0:1]
	;; [unrolled: 1-line block ×5, first 2 shown]
	v_add_u32_e32 v112, s9, v91
	global_load_dword v175, v[2:3], off offset:80
	global_load_dword v176, v[4:5], off
	global_load_dword v177, v[6:7], off
	s_nop 0
	global_load_dword v8, v[8:9], off
	s_nop 0
	global_load_dword v178, v[0:1], off
	v_add_u32_e32 v0, v112, v97
	v_add_u32_e32 v2, v112, v107
	;; [unrolled: 1-line block ×6, first 2 shown]
	v_mad_i64_i32 v[0:1], s[16:17], v0, 36, v[100:101]
	v_mad_i64_i32 v[2:3], s[16:17], v2, 36, v[100:101]
	;; [unrolled: 1-line block ×5, first 2 shown]
	v_add_u32_e32 v12, v112, v129
	v_add_u32_e32 v14, v112, v131
	;; [unrolled: 1-line block ×3, first 2 shown]
	v_mad_i64_i32 v[12:13], s[16:17], v12, 36, v[100:101]
	v_mad_i64_i32 v[14:15], s[16:17], v14, 36, v[100:101]
	;; [unrolled: 1-line block ×3, first 2 shown]
	v_mad_u64_u32 v[114:115], s[16:17], v9, 36, s[2:3]
	global_load_dword v0, v[0:1], off offset:4
	s_nop 0
	global_load_dword v1, v[2:3], off offset:4
	s_nop 0
	global_load_dword v2, v[4:5], off offset:4
	global_load_dword v3, v[6:7], off offset:4
	s_nop 0
	global_load_dword v4, v[10:11], off offset:4
	global_load_dword v5, v[114:115], off
	global_load_dword v6, v[12:13], off offset:4
	global_load_dword v7, v[14:15], off offset:4
	s_nop 0
	global_load_dword v10, v[112:113], off offset:4
	s_mov_b32 s17, -2
	v_mov_b32_e32 v11, v103
	v_mov_b32_e32 v13, v81
	s_waitcnt vmcnt(29)
	ds_write_b32 v47, v104
	s_waitcnt vmcnt(28)
	ds_write_b32 v51, v106
	;; [unrolled: 2-line block ×26, first 2 shown]
	s_waitcnt vmcnt(3)
	v_cvt_f32_f16_e32 v0, v5
	s_mov_b32 s15, 0
	s_waitcnt vmcnt(2)
	ds_write_b32 v130, v6
	s_waitcnt vmcnt(1)
	ds_write_b32 v132, v7
	;; [unrolled: 2-line block ×3, first 2 shown]
	ds_write_b32 v93, v0
	s_waitcnt lgkmcnt(0)
	s_barrier
.LBB127_7:                              ;   Parent Loop BB127_6 Depth=1
                                        ; =>  This Inner Loop Header: Depth=2
	s_and_b32 s16, s15, -16
	v_add_u32_e32 v104, s16, v148
	s_add_i32 s16, s17, 2
	s_and_b32 s18, s16, 0x3ffffff8
	s_lshl_b32 s18, s18, 2
	v_add_u32_e32 v0, 0x7400, v13
	v_add_u32_e32 v8, s18, v135
	ds_read2_b32 v[112:113], v0 offset0:168 offset1:200
	ds_read_b128 v[4:7], v11 offset:16896
	ds_read_b128 v[0:3], v11 offset:16912
	ds_read2_b32 v[14:15], v8 offset1:1
	ds_read2_b32 v[114:115], v8 offset0:4 offset1:5
	s_lshr_b32 s19, s16, 2
	s_and_b32 s19, s19, 0x3ffffffc
	v_mov_b32_e32 v116, 0
	s_waitcnt lgkmcnt(1)
	v_ashrrev_i32_e32 v10, s16, v14
	v_and_b32_e32 v175, 0x3030303, v10
	v_ashrrev_i32_e32 v10, s16, v15
	ds_read2_b32 v[14:15], v8 offset0:2 offset1:3
	v_and_b32_e32 v172, 0x3030303, v10
	v_mov_b32_e32 v218, 0
	v_mov_b32_e32 v219, 0
	;; [unrolled: 1-line block ×3, first 2 shown]
	s_waitcnt lgkmcnt(0)
	v_ashrrev_i32_e32 v10, s16, v14
	v_and_b32_e32 v173, 0x3030303, v10
	v_ashrrev_i32_e32 v10, s16, v15
	v_and_b32_e32 v174, 0x3030303, v10
	;; [unrolled: 2-line block ×3, first 2 shown]
	v_ashrrev_i32_e32 v10, s16, v115
	ds_read2_b32 v[114:115], v8 offset0:6 offset1:7
	v_and_b32_e32 v122, 0x3030303, v10
	v_add_u32_e32 v10, s19, v136
	v_mov_b32_e32 v220, 0
	v_mov_b32_e32 v221, 0
	s_waitcnt lgkmcnt(0)
	v_ashrrev_i32_e32 v8, s16, v114
	v_and_b32_e32 v123, 0x3030303, v8
	v_ashrrev_i32_e32 v8, s16, v115
	v_and_b32_e32 v171, 0x3030303, v8
	v_add3_u32 v8, v154, s17, v104
	ds_read_b32 v10, v10
	ds_read_u16 v12, v8 offset:8194
	s_add_i32 s15, s15, 2
	s_cmp_lt_u32 s16, 6
	s_waitcnt lgkmcnt(0)
	v_bfe_u32 v8, v12, 4, 4
	v_mul_lo_u32 v176, v8, s1
	v_mov_b32_e32 v8, 0
	v_and_b32_e32 v191, 15, v12
	v_lshrrev_b32_sdwa v14, v169, v12 dst_sel:DWORD dst_unused:UNUSED_PAD src0_sel:DWORD src1_sel:BYTE_1
	v_and_b32_sdwa v192, v12, v170 dst_sel:DWORD dst_unused:UNUSED_PAD src0_sel:BYTE_1 src1_sel:DWORD
	v_add_u32_e32 v12, s18, v137
	v_dot4c_i32_i8_e32 v8, v175, v4
	v_mul_lo_u32 v189, v14, s1
	v_mov_b32_e32 v14, 0
	ds_read2_b32 v[118:119], v12 offset1:1
	v_dot4c_i32_i8_e32 v8, v172, v5
	v_dot4c_i32_i8_e32 v14, v15, v0
	;; [unrolled: 1-line block ×8, first 2 shown]
	v_mul_lo_u32 v8, v191, v8
	v_dot4c_i32_i8_e32 v116, v176, v5
	v_mad_u64_u32 v[114:115], s[20:21], v192, v14, v[8:9]
	s_waitcnt lgkmcnt(0)
	v_ashrrev_i32_e32 v14, s16, v118
	v_and_b32_e32 v188, 0x3030303, v14
	v_ashrrev_i32_e32 v14, s16, v119
	ds_read2_b32 v[118:119], v12 offset0:2 offset1:3
	v_and_b32_e32 v185, 0x3030303, v14
	v_cvt_f32_i32_e32 v115, v114
	v_dot4c_i32_i8_e32 v116, v176, v6
	v_dot4c_i32_i8_e32 v116, v176, v7
	s_waitcnt lgkmcnt(0)
	v_ashrrev_i32_e32 v14, s16, v118
	v_and_b32_e32 v186, 0x3030303, v14
	v_ashrrev_i32_e32 v14, s16, v119
	ds_read2_b32 v[118:119], v12 offset0:4 offset1:5
	v_and_b32_e32 v187, 0x3030303, v14
	v_dot4c_i32_i8_e32 v116, v189, v0
	v_dot4c_i32_i8_e32 v116, v189, v1
	;; [unrolled: 1-line block ×3, first 2 shown]
	s_waitcnt lgkmcnt(0)
	v_ashrrev_i32_e32 v14, s16, v118
	v_and_b32_e32 v177, 0x3030303, v14
	v_ashrrev_i32_e32 v14, s16, v119
	ds_read2_b32 v[118:119], v12 offset0:6 offset1:7
	v_and_b32_e32 v178, 0x3030303, v14
	v_add_u32_e32 v14, s19, v138
	v_dot4c_i32_i8_e32 v116, v189, v3
	v_cvt_f32_f16_e32 v8, v10
	s_waitcnt lgkmcnt(0)
	v_ashrrev_i32_e32 v12, s16, v118
	v_and_b32_e32 v179, 0x3030303, v12
	v_ashrrev_i32_e32 v12, s16, v119
	v_and_b32_e32 v180, 0x3030303, v12
	v_add3_u32 v12, v152, s17, v104
	ds_read_b32 v14, v14
	ds_read_u16 v106, v12 offset:9218
	v_mov_b32_e32 v118, 0
	v_cvt_f32_f16_sdwa v10, v10 dst_sel:DWORD dst_unused:UNUSED_PAD src0_sel:WORD_1
	s_waitcnt lgkmcnt(0)
	v_bfe_u32 v12, v106, 4, 4
	v_mul_lo_u32 v190, v12, s1
	v_mov_b32_e32 v12, 0
	v_lshrrev_b32_sdwa v108, v169, v106 dst_sel:DWORD dst_unused:UNUSED_PAD src0_sel:DWORD src1_sel:BYTE_1
	v_dot4c_i32_i8_e32 v12, v188, v4
	v_mul_lo_u32 v201, v108, s1
	v_mov_b32_e32 v108, 0
	v_dot4c_i32_i8_e32 v12, v185, v5
	v_dot4c_i32_i8_e32 v108, v177, v0
	;; [unrolled: 1-line block ×5, first 2 shown]
	v_and_b32_e32 v204, 15, v106
	v_dot4c_i32_i8_e32 v108, v179, v2
	v_dot4c_i32_i8_e32 v108, v180, v3
	v_mul_lo_u32 v12, v204, v12
	v_and_b32_sdwa v205, v106, v170 dst_sel:DWORD dst_unused:UNUSED_PAD src0_sel:BYTE_1 src1_sel:DWORD
	v_add_u32_e32 v106, s18, v139
	v_mad_u64_u32 v[120:121], s[20:21], v205, v108, v[12:13]
	v_cvt_f32_i32_e32 v117, v120
	ds_read2_b32 v[120:121], v106 offset1:1
	v_dot4c_i32_i8_e32 v118, v190, v4
	v_dot4c_i32_i8_e32 v118, v190, v5
	;; [unrolled: 1-line block ×4, first 2 shown]
	s_waitcnt lgkmcnt(0)
	v_ashrrev_i32_e32 v108, s16, v120
	v_and_b32_e32 v200, 0x3030303, v108
	v_ashrrev_i32_e32 v108, s16, v121
	ds_read2_b32 v[120:121], v106 offset0:2 offset1:3
	v_and_b32_e32 v197, 0x3030303, v108
	v_dot4c_i32_i8_e32 v118, v201, v0
	v_dot4c_i32_i8_e32 v118, v201, v1
	;; [unrolled: 1-line block ×3, first 2 shown]
	s_waitcnt lgkmcnt(0)
	v_ashrrev_i32_e32 v108, s16, v120
	v_and_b32_e32 v198, 0x3030303, v108
	v_ashrrev_i32_e32 v108, s16, v121
	ds_read2_b32 v[120:121], v106 offset0:4 offset1:5
	v_and_b32_e32 v199, 0x3030303, v108
	v_dot4c_i32_i8_e32 v118, v201, v3
	v_cvt_f32_f16_e32 v12, v14
	v_cvt_f32_f16_sdwa v14, v14 dst_sel:DWORD dst_unused:UNUSED_PAD src0_sel:WORD_1
	s_waitcnt lgkmcnt(0)
	v_ashrrev_i32_e32 v108, s16, v120
	v_and_b32_e32 v193, 0x3030303, v108
	v_ashrrev_i32_e32 v108, s16, v121
	ds_read2_b32 v[120:121], v106 offset0:6 offset1:7
	v_and_b32_e32 v194, 0x3030303, v108
	v_add_u32_e32 v108, s19, v140
	s_waitcnt lgkmcnt(0)
	v_ashrrev_i32_e32 v106, s16, v120
	v_and_b32_e32 v195, 0x3030303, v106
	v_ashrrev_i32_e32 v106, s16, v121
	v_and_b32_e32 v196, 0x3030303, v106
	v_add3_u32 v106, v150, s17, v104
	ds_read_b32 v110, v108
	ds_read_u16 v108, v106 offset:10242
	v_add3_u32 v104, v147, s17, v104
	s_mov_b32 s17, s16
	s_waitcnt lgkmcnt(0)
	v_bfe_u32 v106, v108, 4, 4
	v_mul_lo_u32 v203, v106, s1
	v_mov_b32_e32 v106, 0
	v_lshrrev_b32_sdwa v114, v169, v108 dst_sel:DWORD dst_unused:UNUSED_PAD src0_sel:DWORD src1_sel:BYTE_1
	v_dot4c_i32_i8_e32 v106, v200, v4
	v_mul_lo_u32 v211, v114, s1
	v_mov_b32_e32 v114, 0
	v_dot4c_i32_i8_e32 v106, v197, v5
	v_dot4c_i32_i8_e32 v114, v193, v0
	;; [unrolled: 1-line block ×5, first 2 shown]
	v_and_b32_e32 v213, 15, v108
	v_dot4c_i32_i8_e32 v114, v195, v2
	v_dot4c_i32_i8_e32 v114, v196, v3
	v_mul_lo_u32 v106, v213, v106
	v_and_b32_sdwa v214, v108, v170 dst_sel:DWORD dst_unused:UNUSED_PAD src0_sel:BYTE_1 src1_sel:DWORD
	v_dot4c_i32_i8_e32 v218, v203, v4
	v_mad_u64_u32 v[120:121], s[20:21], v214, v114, v[106:107]
	v_add_u32_e32 v106, s18, v141
	v_cvt_f32_i32_e32 v119, v120
	ds_read2_b32 v[120:121], v106 offset1:1
	v_dot4c_i32_i8_e32 v218, v203, v5
	v_dot4c_i32_i8_e32 v218, v203, v6
	;; [unrolled: 1-line block ×4, first 2 shown]
	s_waitcnt lgkmcnt(0)
	v_ashrrev_i32_e32 v114, s16, v120
	v_and_b32_e32 v210, 0x3030303, v114
	v_ashrrev_i32_e32 v114, s16, v121
	ds_read2_b32 v[120:121], v106 offset0:2 offset1:3
	v_and_b32_e32 v207, 0x3030303, v114
	v_dot4c_i32_i8_e32 v218, v211, v1
	v_dot4c_i32_i8_e32 v218, v211, v2
	;; [unrolled: 1-line block ×3, first 2 shown]
	s_waitcnt lgkmcnt(0)
	v_ashrrev_i32_e32 v114, s16, v120
	v_and_b32_e32 v208, 0x3030303, v114
	v_ashrrev_i32_e32 v114, s16, v121
	ds_read2_b32 v[120:121], v106 offset0:4 offset1:5
	v_and_b32_e32 v209, 0x3030303, v114
	v_cvt_f32_f16_e32 v108, v110
	v_cvt_f32_f16_sdwa v110, v110 dst_sel:DWORD dst_unused:UNUSED_PAD src0_sel:WORD_1
	s_waitcnt lgkmcnt(0)
	v_ashrrev_i32_e32 v114, s16, v120
	v_and_b32_e32 v181, 0x3030303, v114
	v_ashrrev_i32_e32 v114, s16, v121
	ds_read2_b32 v[120:121], v106 offset0:6 offset1:7
	v_and_b32_e32 v182, 0x3030303, v114
	s_waitcnt lgkmcnt(0)
	v_ashrrev_i32_e32 v106, s16, v120
	v_and_b32_e32 v183, 0x3030303, v106
	v_ashrrev_i32_e32 v106, s16, v121
	v_and_b32_e32 v184, 0x3030303, v106
	v_add_u32_e32 v106, s19, v142
	ds_read_b32 v106, v106
	ds_read_u16 v104, v104 offset:11266
	v_mov_b32_e32 v120, 0
	s_waitcnt lgkmcnt(0)
	v_bfe_u32 v114, v104, 4, 4
	v_mul_lo_u32 v212, v114, s1
	v_mov_b32_e32 v114, 0
	v_dot4c_i32_i8_e32 v114, v210, v4
	v_dot4c_i32_i8_e32 v219, v212, v4
	v_dot4c_i32_i8_e32 v114, v207, v5
	v_dot4c_i32_i8_e32 v219, v212, v5
	v_lshrrev_b32_sdwa v5, v169, v104 dst_sel:DWORD dst_unused:UNUSED_PAD src0_sel:DWORD src1_sel:BYTE_1
	v_mul_lo_u32 v202, v5, s1
	v_mov_b32_e32 v5, 0
	v_dot4c_i32_i8_e32 v219, v212, v6
	v_dot4c_i32_i8_e32 v5, v181, v0
	;; [unrolled: 1-line block ×6, first 2 shown]
	v_and_b32_e32 v215, 15, v104
	v_dot4c_i32_i8_e32 v219, v202, v0
	v_dot4c_i32_i8_e32 v5, v183, v2
	v_mul_lo_u32 v4, v215, v114
	v_dot4c_i32_i8_e32 v219, v202, v1
	v_dot4c_i32_i8_e32 v5, v184, v3
	v_and_b32_sdwa v206, v104, v170 dst_sel:DWORD dst_unused:UNUSED_PAD src0_sel:BYTE_1 src1_sel:DWORD
	v_dot4c_i32_i8_e32 v219, v202, v2
	v_dot4c_i32_i8_e32 v219, v202, v3
	v_mad_u64_u32 v[0:1], s[18:19], v206, v5, v[4:5]
	v_cvt_f32_i32_e32 v121, v0
	ds_read_b128 v[4:7], v11 offset:17920
	ds_read_b128 v[0:3], v11 offset:17936
	v_mov_b32_e32 v114, 0
	v_cvt_f32_f16_e32 v104, v106
	v_cvt_f32_f16_sdwa v106, v106 dst_sel:DWORD dst_unused:UNUSED_PAD src0_sel:WORD_1
	s_waitcnt lgkmcnt(1)
	v_dot4c_i32_i8_e32 v120, v176, v4
	v_dot4c_i32_i8_e32 v120, v176, v5
	;; [unrolled: 1-line block ×6, first 2 shown]
	s_waitcnt lgkmcnt(0)
	v_dot4c_i32_i8_e32 v216, v15, v0
	v_dot4c_i32_i8_e32 v114, v173, v6
	;; [unrolled: 1-line block ×8, first 2 shown]
	v_mul_lo_u32 v114, v114, v191
	v_dot4c_i32_i8_e32 v216, v171, v3
	v_dot4c_i32_i8_e32 v120, v189, v3
	s_nop 1
	v_mad_u64_u32 v[216:217], s[18:19], v216, v192, v[114:115]
	v_cvt_f32_i32_e32 v114, v216
	v_cvt_f32_i32_e32 v217, v116
	;; [unrolled: 1-line block ×3, first 2 shown]
	v_mov_b32_e32 v120, 0
	v_dot4c_i32_i8_e32 v120, v190, v4
	v_dot4c_i32_i8_e32 v120, v190, v5
	v_pk_mul_f32 v[216:217], v[10:11], v[216:217] op_sel_hi:[0,1]
	v_pk_fma_f32 v[216:217], v[8:9], v[114:115], v[216:217] op_sel_hi:[0,1,1] neg_lo:[0,0,1] neg_hi:[0,0,1]
	v_mov_b32_e32 v115, v112
	v_mov_b32_e32 v112, 0
	;; [unrolled: 1-line block ×3, first 2 shown]
	v_dot4c_i32_i8_e32 v112, v188, v4
	v_dot4c_i32_i8_e32 v120, v190, v6
	v_mov_b32_e32 v113, 0
	v_dot4c_i32_i8_e32 v112, v185, v5
	v_dot4c_i32_i8_e32 v120, v190, v7
	;; [unrolled: 1-line block ×10, first 2 shown]
	v_mul_lo_u32 v112, v112, v204
	v_dot4c_i32_i8_e32 v113, v180, v3
	v_dot4c_i32_i8_e32 v120, v201, v3
	v_pk_fma_f32 v[88:89], v[114:115], v[216:217], v[88:89]
	s_nop 0
	v_mad_u64_u32 v[112:113], s[18:19], v113, v205, v[112:113]
	v_cvt_f32_i32_e32 v116, v112
	v_cvt_f32_i32_e32 v113, v118
	;; [unrolled: 1-line block ×3, first 2 shown]
	v_pk_mul_f32 v[112:113], v[14:15], v[112:113] op_sel_hi:[0,1]
	v_pk_fma_f32 v[112:113], v[12:13], v[116:117], v[112:113] op_sel_hi:[0,1,1] neg_lo:[0,0,1] neg_hi:[0,0,1]
	v_mov_b32_e32 v116, 0
	v_dot4c_i32_i8_e32 v116, v203, v4
	v_pk_fma_f32 v[98:99], v[114:115], v[112:113], v[98:99]
	v_mov_b32_e32 v112, 0
	v_dot4c_i32_i8_e32 v116, v203, v5
	v_dot4c_i32_i8_e32 v112, v200, v4
	;; [unrolled: 1-line block ×3, first 2 shown]
	v_mov_b32_e32 v113, 0
	v_dot4c_i32_i8_e32 v112, v197, v5
	v_dot4c_i32_i8_e32 v116, v203, v7
	;; [unrolled: 1-line block ×10, first 2 shown]
	v_mul_lo_u32 v112, v112, v213
	v_dot4c_i32_i8_e32 v113, v196, v3
	v_dot4c_i32_i8_e32 v116, v211, v3
	v_mov_b32_e32 v117, 0
	s_nop 0
	v_mad_u64_u32 v[112:113], s[18:19], v113, v214, v[112:113]
	v_cvt_f32_i32_e32 v118, v112
	v_cvt_f32_i32_e32 v113, v218
	;; [unrolled: 1-line block ×3, first 2 shown]
	v_mov_b32_e32 v218, 0
	v_pk_mul_f32 v[112:113], v[110:111], v[112:113] op_sel_hi:[0,1]
	v_pk_fma_f32 v[112:113], v[108:109], v[118:119], v[112:113] op_sel_hi:[0,1,1] neg_lo:[0,0,1] neg_hi:[0,0,1]
	v_pk_fma_f32 v[94:95], v[114:115], v[112:113], v[94:95]
	v_mov_b32_e32 v113, 0
	v_mov_b32_e32 v112, 0
	v_dot4c_i32_i8_e32 v113, v212, v4
	v_dot4c_i32_i8_e32 v112, v210, v4
	;; [unrolled: 1-line block ×5, first 2 shown]
	v_mov_b32_e32 v5, 0
	v_dot4c_i32_i8_e32 v113, v212, v7
	v_dot4c_i32_i8_e32 v5, v181, v0
	;; [unrolled: 1-line block ×9, first 2 shown]
	v_mul_lo_u32 v4, v112, v215
	v_dot4c_i32_i8_e32 v5, v184, v3
	v_dot4c_i32_i8_e32 v113, v202, v3
	v_mov_b32_e32 v119, 0
	s_nop 0
	v_mad_u64_u32 v[0:1], s[18:19], v5, v206, v[4:5]
	v_cvt_f32_i32_e32 v120, v0
	v_cvt_f32_i32_e32 v1, v219
	;; [unrolled: 1-line block ×3, first 2 shown]
	v_mov_b32_e32 v219, 0
	v_pk_mul_f32 v[0:1], v[106:107], v[0:1] op_sel_hi:[0,1]
	v_pk_fma_f32 v[0:1], v[104:105], v[120:121], v[0:1] op_sel_hi:[0,1,1] neg_lo:[0,0,1] neg_hi:[0,0,1]
	v_pk_fma_f32 v[86:87], v[114:115], v[0:1], v[86:87]
	v_add_u32_e32 v0, 0x7600, v13
	ds_read2_b32 v[112:113], v0 offset0:104 offset1:136
	ds_read_b128 v[4:7], v11 offset:18944
	ds_read_b128 v[0:3], v11 offset:18960
	v_mov_b32_e32 v114, 0
	v_mov_b32_e32 v115, 0
	s_waitcnt lgkmcnt(1)
	v_dot4c_i32_i8_e32 v114, v175, v4
	v_dot4c_i32_i8_e32 v114, v172, v5
	s_waitcnt lgkmcnt(0)
	v_dot4c_i32_i8_e32 v115, v15, v0
	v_dot4c_i32_i8_e32 v114, v173, v6
	;; [unrolled: 1-line block ×7, first 2 shown]
	v_mul_lo_u32 v114, v114, v191
	v_dot4c_i32_i8_e32 v218, v190, v4
	v_mad_u64_u32 v[114:115], s[18:19], v115, v192, v[114:115]
	v_cvt_f32_i32_e32 v120, v114
	v_mov_b32_e32 v114, 0
	v_dot4c_i32_i8_e32 v114, v188, v4
	v_mov_b32_e32 v115, 0
	v_dot4c_i32_i8_e32 v114, v185, v5
	v_dot4c_i32_i8_e32 v115, v177, v0
	;; [unrolled: 1-line block ×8, first 2 shown]
	v_mul_lo_u32 v114, v114, v204
	v_dot4c_i32_i8_e32 v220, v212, v4
	v_mad_u64_u32 v[114:115], s[18:19], v115, v205, v[114:115]
	v_cvt_f32_i32_e32 v118, v114
	v_mov_b32_e32 v114, 0
	v_dot4c_i32_i8_e32 v114, v200, v4
	v_mov_b32_e32 v115, 0
	v_dot4c_i32_i8_e32 v114, v197, v5
	v_dot4c_i32_i8_e32 v115, v193, v0
	v_dot4c_i32_i8_e32 v114, v198, v6
	v_dot4c_i32_i8_e32 v115, v194, v1
	v_dot4c_i32_i8_e32 v114, v199, v7
	v_dot4c_i32_i8_e32 v115, v195, v2
	v_dot4c_i32_i8_e32 v115, v196, v3
	v_dot4c_i32_i8_e32 v117, v176, v5
	v_mul_lo_u32 v114, v114, v213
	v_dot4c_i32_i8_e32 v218, v190, v5
	v_mad_u64_u32 v[114:115], s[18:19], v115, v214, v[114:115]
	v_cvt_f32_i32_e32 v116, v114
	v_mov_b32_e32 v114, 0
	v_dot4c_i32_i8_e32 v114, v210, v4
	v_dot4c_i32_i8_e32 v219, v203, v5
	v_dot4c_i32_i8_e32 v114, v207, v5
	v_dot4c_i32_i8_e32 v220, v212, v5
	v_mov_b32_e32 v5, 0
	v_dot4c_i32_i8_e32 v117, v176, v6
	v_dot4c_i32_i8_e32 v218, v190, v6
	;; [unrolled: 1-line block ×20, first 2 shown]
	v_mul_lo_u32 v4, v114, v215
	v_dot4c_i32_i8_e32 v220, v202, v1
	v_dot4c_i32_i8_e32 v5, v184, v3
	v_dot4c_i32_i8_e32 v117, v189, v2
	v_dot4c_i32_i8_e32 v218, v201, v2
	v_dot4c_i32_i8_e32 v219, v211, v2
	v_dot4c_i32_i8_e32 v220, v202, v2
	v_mad_u64_u32 v[0:1], s[18:19], v5, v206, v[4:5]
	v_dot4c_i32_i8_e32 v117, v189, v3
	v_dot4c_i32_i8_e32 v218, v201, v3
	;; [unrolled: 1-line block ×4, first 2 shown]
	v_cvt_f32_i32_e32 v114, v0
	ds_read_b128 v[4:7], v11 offset:19968
	ds_read_b128 v[0:3], v11 offset:19984
	v_mov_b32_e32 v115, 0
	s_waitcnt lgkmcnt(1)
	v_dot4c_i32_i8_e32 v115, v175, v4
	v_dot4c_i32_i8_e32 v115, v172, v5
	;; [unrolled: 1-line block ×8, first 2 shown]
	s_waitcnt lgkmcnt(0)
	v_dot4c_i32_i8_e32 v119, v189, v0
	v_mul_lo_u32 v216, v115, v191
	v_mov_b32_e32 v115, 0
	v_dot4c_i32_i8_e32 v115, v15, v0
	v_dot4c_i32_i8_e32 v115, v122, v1
	;; [unrolled: 1-line block ×7, first 2 shown]
	s_nop 1
	v_mad_u64_u32 v[216:217], s[18:19], v115, v192, v[216:217]
	v_cvt_f32_i32_e32 v121, v216
	v_cvt_f32_i32_e32 v217, v119
	;; [unrolled: 1-line block ×3, first 2 shown]
	v_mov_b32_e32 v115, 0
	v_dot4c_i32_i8_e32 v115, v188, v4
	v_mov_b32_e32 v117, 0
	v_dot4c_i32_i8_e32 v115, v185, v5
	v_pk_mul_f32 v[216:217], v[10:11], v[216:217] op_sel_hi:[0,1]
	v_dot4c_i32_i8_e32 v117, v190, v4
	v_dot4c_i32_i8_e32 v115, v186, v6
	v_pk_fma_f32 v[120:121], v[8:9], v[120:121], v[216:217] op_sel_hi:[0,1,1] neg_lo:[0,0,1] neg_hi:[0,0,1]
	v_dot4c_i32_i8_e32 v117, v190, v5
	v_dot4c_i32_i8_e32 v115, v187, v7
	v_pk_fma_f32 v[38:39], v[112:113], v[120:121], v[38:39]
	v_dot4c_i32_i8_e32 v117, v190, v6
	v_dot4c_i32_i8_e32 v117, v190, v7
	v_mul_lo_u32 v120, v115, v204
	v_mov_b32_e32 v115, 0
	v_dot4c_i32_i8_e32 v115, v177, v0
	v_dot4c_i32_i8_e32 v117, v201, v0
	v_dot4c_i32_i8_e32 v115, v178, v1
	v_dot4c_i32_i8_e32 v117, v201, v1
	v_dot4c_i32_i8_e32 v115, v179, v2
	v_dot4c_i32_i8_e32 v117, v201, v2
	v_dot4c_i32_i8_e32 v115, v180, v3
	v_dot4c_i32_i8_e32 v117, v201, v3
	v_add_u32_e32 v216, 0x7800, v13
	v_mov_b32_e32 v217, 0
	v_mad_u64_u32 v[120:121], s[18:19], v115, v205, v[120:121]
	v_cvt_f32_i32_e32 v119, v120
	v_cvt_f32_i32_e32 v121, v117
	v_cvt_f32_i32_e32 v120, v218
	v_mov_b32_e32 v115, 0
	v_dot4c_i32_i8_e32 v115, v200, v4
	v_dot4c_i32_i8_e32 v115, v197, v5
	v_pk_mul_f32 v[120:121], v[14:15], v[120:121] op_sel_hi:[0,1]
	v_pk_fma_f32 v[118:119], v[12:13], v[118:119], v[120:121] op_sel_hi:[0,1,1] neg_lo:[0,0,1] neg_hi:[0,0,1]
	v_mov_b32_e32 v120, 0
	v_dot4c_i32_i8_e32 v120, v203, v4
	v_dot4c_i32_i8_e32 v115, v198, v6
	;; [unrolled: 1-line block ×4, first 2 shown]
	v_pk_fma_f32 v[36:37], v[112:113], v[118:119], v[36:37]
	v_dot4c_i32_i8_e32 v120, v203, v6
	v_dot4c_i32_i8_e32 v120, v203, v7
	v_mul_lo_u32 v118, v115, v213
	v_mov_b32_e32 v115, 0
	v_dot4c_i32_i8_e32 v115, v193, v0
	v_dot4c_i32_i8_e32 v120, v211, v0
	;; [unrolled: 1-line block ×8, first 2 shown]
	s_nop 1
	v_mad_u64_u32 v[118:119], s[18:19], v115, v214, v[118:119]
	v_cvt_f32_i32_e32 v117, v118
	v_cvt_f32_i32_e32 v119, v120
	v_cvt_f32_i32_e32 v118, v219
	v_mov_b32_e32 v115, 0
	v_dot4c_i32_i8_e32 v115, v210, v4
	v_dot4c_i32_i8_e32 v115, v207, v5
	v_pk_mul_f32 v[118:119], v[110:111], v[118:119] op_sel_hi:[0,1]
	v_pk_fma_f32 v[116:117], v[108:109], v[116:117], v[118:119] op_sel_hi:[0,1,1] neg_lo:[0,0,1] neg_hi:[0,0,1]
	v_pk_fma_f32 v[34:35], v[112:113], v[116:117], v[34:35]
	v_mov_b32_e32 v116, 0
	v_dot4c_i32_i8_e32 v116, v212, v4
	v_dot4c_i32_i8_e32 v116, v212, v5
	;; [unrolled: 1-line block ×3, first 2 shown]
	v_mov_b32_e32 v5, 0
	v_dot4c_i32_i8_e32 v116, v212, v7
	v_dot4c_i32_i8_e32 v5, v181, v0
	;; [unrolled: 1-line block ×9, first 2 shown]
	v_mul_lo_u32 v4, v115, v215
	v_dot4c_i32_i8_e32 v5, v184, v3
	v_dot4c_i32_i8_e32 v116, v202, v3
	v_mov_b32_e32 v117, 0
	v_mov_b32_e32 v119, 0
	v_mad_u64_u32 v[0:1], s[18:19], v5, v206, v[4:5]
	v_cvt_f32_i32_e32 v115, v0
	v_cvt_f32_i32_e32 v1, v116
	;; [unrolled: 1-line block ×3, first 2 shown]
	v_mov_b32_e32 v220, 0
	v_pk_mul_f32 v[0:1], v[106:107], v[0:1] op_sel_hi:[0,1]
	v_pk_fma_f32 v[0:1], v[104:105], v[114:115], v[0:1] op_sel_hi:[0,1,1] neg_lo:[0,0,1] neg_hi:[0,0,1]
	v_pk_fma_f32 v[32:33], v[112:113], v[0:1], v[32:33]
	ds_read2_b32 v[112:113], v216 offset0:40 offset1:72
	ds_read_b128 v[4:7], v11 offset:20992
	ds_read_b128 v[0:3], v11 offset:21008
	v_mov_b32_e32 v114, 0
	v_mov_b32_e32 v115, 0
	s_waitcnt lgkmcnt(1)
	v_dot4c_i32_i8_e32 v114, v175, v4
	v_dot4c_i32_i8_e32 v114, v172, v5
	s_waitcnt lgkmcnt(0)
	v_dot4c_i32_i8_e32 v115, v15, v0
	v_dot4c_i32_i8_e32 v114, v173, v6
	;; [unrolled: 1-line block ×7, first 2 shown]
	v_mul_lo_u32 v114, v114, v191
	v_dot4c_i32_i8_e32 v217, v190, v4
	v_mad_u64_u32 v[114:115], s[18:19], v115, v192, v[114:115]
	v_cvt_f32_i32_e32 v120, v114
	v_mov_b32_e32 v114, 0
	v_dot4c_i32_i8_e32 v114, v188, v4
	v_mov_b32_e32 v115, 0
	v_dot4c_i32_i8_e32 v114, v185, v5
	v_dot4c_i32_i8_e32 v115, v177, v0
	;; [unrolled: 1-line block ×8, first 2 shown]
	v_mul_lo_u32 v114, v114, v204
	v_dot4c_i32_i8_e32 v221, v212, v4
	v_mad_u64_u32 v[114:115], s[18:19], v115, v205, v[114:115]
	v_cvt_f32_i32_e32 v118, v114
	v_mov_b32_e32 v114, 0
	v_dot4c_i32_i8_e32 v114, v200, v4
	v_mov_b32_e32 v115, 0
	v_dot4c_i32_i8_e32 v114, v197, v5
	v_dot4c_i32_i8_e32 v115, v193, v0
	;; [unrolled: 1-line block ×8, first 2 shown]
	v_mul_lo_u32 v114, v114, v213
	v_dot4c_i32_i8_e32 v217, v190, v5
	v_mad_u64_u32 v[114:115], s[18:19], v115, v214, v[114:115]
	v_cvt_f32_i32_e32 v116, v114
	v_mov_b32_e32 v114, 0
	v_dot4c_i32_i8_e32 v114, v210, v4
	v_dot4c_i32_i8_e32 v220, v203, v5
	;; [unrolled: 1-line block ×4, first 2 shown]
	v_mov_b32_e32 v5, 0
	v_dot4c_i32_i8_e32 v117, v176, v6
	v_dot4c_i32_i8_e32 v217, v190, v6
	;; [unrolled: 1-line block ×20, first 2 shown]
	v_mul_lo_u32 v4, v114, v215
	v_dot4c_i32_i8_e32 v221, v202, v1
	v_dot4c_i32_i8_e32 v5, v184, v3
	;; [unrolled: 1-line block ×6, first 2 shown]
	v_mad_u64_u32 v[0:1], s[18:19], v5, v206, v[4:5]
	v_dot4c_i32_i8_e32 v117, v189, v3
	v_dot4c_i32_i8_e32 v217, v201, v3
	v_dot4c_i32_i8_e32 v220, v211, v3
	v_dot4c_i32_i8_e32 v221, v202, v3
	v_cvt_f32_i32_e32 v114, v0
	ds_read_b128 v[4:7], v11 offset:22016
	ds_read_b128 v[0:3], v11 offset:22032
	v_mov_b32_e32 v115, 0
	s_waitcnt lgkmcnt(1)
	v_dot4c_i32_i8_e32 v115, v175, v4
	v_dot4c_i32_i8_e32 v115, v172, v5
	;; [unrolled: 1-line block ×8, first 2 shown]
	s_waitcnt lgkmcnt(0)
	v_dot4c_i32_i8_e32 v119, v189, v0
	v_mul_lo_u32 v218, v115, v191
	v_mov_b32_e32 v115, 0
	v_dot4c_i32_i8_e32 v115, v15, v0
	v_dot4c_i32_i8_e32 v115, v122, v1
	;; [unrolled: 1-line block ×7, first 2 shown]
	s_nop 1
	v_mad_u64_u32 v[218:219], s[18:19], v115, v192, v[218:219]
	v_cvt_f32_i32_e32 v121, v218
	v_cvt_f32_i32_e32 v219, v119
	;; [unrolled: 1-line block ×3, first 2 shown]
	v_mov_b32_e32 v115, 0
	v_dot4c_i32_i8_e32 v115, v188, v4
	v_mov_b32_e32 v117, 0
	v_dot4c_i32_i8_e32 v115, v185, v5
	v_pk_mul_f32 v[218:219], v[10:11], v[218:219] op_sel_hi:[0,1]
	v_dot4c_i32_i8_e32 v117, v190, v4
	v_dot4c_i32_i8_e32 v115, v186, v6
	v_pk_fma_f32 v[120:121], v[8:9], v[120:121], v[218:219] op_sel_hi:[0,1,1] neg_lo:[0,0,1] neg_hi:[0,0,1]
	v_dot4c_i32_i8_e32 v117, v190, v5
	v_dot4c_i32_i8_e32 v115, v187, v7
	v_pk_fma_f32 v[30:31], v[112:113], v[120:121], v[30:31]
	v_dot4c_i32_i8_e32 v117, v190, v6
	v_dot4c_i32_i8_e32 v117, v190, v7
	v_mul_lo_u32 v120, v115, v204
	v_mov_b32_e32 v115, 0
	v_dot4c_i32_i8_e32 v115, v177, v0
	v_dot4c_i32_i8_e32 v117, v201, v0
	;; [unrolled: 1-line block ×8, first 2 shown]
	v_mov_b32_e32 v218, 0
	s_nop 0
	v_mad_u64_u32 v[120:121], s[18:19], v115, v205, v[120:121]
	v_cvt_f32_i32_e32 v119, v120
	v_cvt_f32_i32_e32 v121, v117
	v_cvt_f32_i32_e32 v120, v217
	v_mov_b32_e32 v115, 0
	v_dot4c_i32_i8_e32 v115, v200, v4
	v_dot4c_i32_i8_e32 v115, v197, v5
	v_pk_mul_f32 v[120:121], v[14:15], v[120:121] op_sel_hi:[0,1]
	v_pk_fma_f32 v[118:119], v[12:13], v[118:119], v[120:121] op_sel_hi:[0,1,1] neg_lo:[0,0,1] neg_hi:[0,0,1]
	v_mov_b32_e32 v120, 0
	v_dot4c_i32_i8_e32 v120, v203, v4
	v_dot4c_i32_i8_e32 v115, v198, v6
	;; [unrolled: 1-line block ×4, first 2 shown]
	v_pk_fma_f32 v[28:29], v[112:113], v[118:119], v[28:29]
	v_dot4c_i32_i8_e32 v120, v203, v6
	v_dot4c_i32_i8_e32 v120, v203, v7
	v_mul_lo_u32 v118, v115, v213
	v_mov_b32_e32 v115, 0
	v_dot4c_i32_i8_e32 v115, v193, v0
	v_dot4c_i32_i8_e32 v120, v211, v0
	;; [unrolled: 1-line block ×8, first 2 shown]
	v_mov_b32_e32 v217, 0
	s_nop 0
	v_mad_u64_u32 v[118:119], s[18:19], v115, v214, v[118:119]
	v_cvt_f32_i32_e32 v117, v118
	v_cvt_f32_i32_e32 v119, v120
	;; [unrolled: 1-line block ×3, first 2 shown]
	v_mov_b32_e32 v115, 0
	v_dot4c_i32_i8_e32 v115, v210, v4
	v_dot4c_i32_i8_e32 v115, v207, v5
	v_pk_mul_f32 v[118:119], v[110:111], v[118:119] op_sel_hi:[0,1]
	v_pk_fma_f32 v[116:117], v[108:109], v[116:117], v[118:119] op_sel_hi:[0,1,1] neg_lo:[0,0,1] neg_hi:[0,0,1]
	v_pk_fma_f32 v[26:27], v[112:113], v[116:117], v[26:27]
	v_mov_b32_e32 v116, 0
	v_dot4c_i32_i8_e32 v116, v212, v4
	v_dot4c_i32_i8_e32 v116, v212, v5
	;; [unrolled: 1-line block ×3, first 2 shown]
	v_mov_b32_e32 v5, 0
	v_dot4c_i32_i8_e32 v116, v212, v7
	v_dot4c_i32_i8_e32 v5, v181, v0
	;; [unrolled: 1-line block ×9, first 2 shown]
	v_mul_lo_u32 v4, v115, v215
	v_dot4c_i32_i8_e32 v5, v184, v3
	v_dot4c_i32_i8_e32 v116, v202, v3
	v_mov_b32_e32 v117, 0
	v_mov_b32_e32 v119, 0
	v_mad_u64_u32 v[0:1], s[18:19], v5, v206, v[4:5]
	v_cvt_f32_i32_e32 v115, v0
	v_cvt_f32_i32_e32 v1, v116
	;; [unrolled: 1-line block ×3, first 2 shown]
	v_pk_mul_f32 v[0:1], v[106:107], v[0:1] op_sel_hi:[0,1]
	v_pk_fma_f32 v[0:1], v[104:105], v[114:115], v[0:1] op_sel_hi:[0,1,1] neg_lo:[0,0,1] neg_hi:[0,0,1]
	v_pk_fma_f32 v[24:25], v[112:113], v[0:1], v[24:25]
	ds_read2_b32 v[112:113], v216 offset0:104 offset1:136
	ds_read_b128 v[4:7], v11 offset:23040
	ds_read_b128 v[0:3], v11 offset:23056
	v_mov_b32_e32 v114, 0
	v_mov_b32_e32 v115, 0
	v_mov_b32_e32 v216, 0
	s_waitcnt lgkmcnt(1)
	v_dot4c_i32_i8_e32 v114, v175, v4
	v_dot4c_i32_i8_e32 v114, v172, v5
	s_waitcnt lgkmcnt(0)
	v_dot4c_i32_i8_e32 v115, v15, v0
	v_dot4c_i32_i8_e32 v114, v173, v6
	;; [unrolled: 1-line block ×7, first 2 shown]
	v_mul_lo_u32 v114, v114, v191
	v_dot4c_i32_i8_e32 v217, v190, v4
	v_mad_u64_u32 v[114:115], s[18:19], v115, v192, v[114:115]
	v_cvt_f32_i32_e32 v120, v114
	v_mov_b32_e32 v114, 0
	v_dot4c_i32_i8_e32 v114, v188, v4
	v_mov_b32_e32 v115, 0
	v_dot4c_i32_i8_e32 v114, v185, v5
	v_dot4c_i32_i8_e32 v115, v177, v0
	;; [unrolled: 1-line block ×8, first 2 shown]
	v_mul_lo_u32 v114, v114, v204
	v_dot4c_i32_i8_e32 v216, v212, v4
	v_mad_u64_u32 v[114:115], s[18:19], v115, v205, v[114:115]
	v_cvt_f32_i32_e32 v118, v114
	v_mov_b32_e32 v114, 0
	v_dot4c_i32_i8_e32 v114, v200, v4
	v_mov_b32_e32 v115, 0
	v_dot4c_i32_i8_e32 v114, v197, v5
	v_dot4c_i32_i8_e32 v115, v193, v0
	;; [unrolled: 1-line block ×8, first 2 shown]
	v_mul_lo_u32 v114, v114, v213
	v_dot4c_i32_i8_e32 v217, v190, v5
	v_mad_u64_u32 v[114:115], s[18:19], v115, v214, v[114:115]
	v_cvt_f32_i32_e32 v116, v114
	v_mov_b32_e32 v114, 0
	v_dot4c_i32_i8_e32 v114, v210, v4
	v_dot4c_i32_i8_e32 v218, v203, v5
	v_dot4c_i32_i8_e32 v114, v207, v5
	v_dot4c_i32_i8_e32 v216, v212, v5
	v_mov_b32_e32 v5, 0
	v_dot4c_i32_i8_e32 v117, v176, v6
	v_dot4c_i32_i8_e32 v217, v190, v6
	;; [unrolled: 1-line block ×20, first 2 shown]
	v_mul_lo_u32 v4, v114, v215
	v_dot4c_i32_i8_e32 v216, v202, v1
	v_dot4c_i32_i8_e32 v5, v184, v3
	;; [unrolled: 1-line block ×6, first 2 shown]
	v_mad_u64_u32 v[0:1], s[18:19], v5, v206, v[4:5]
	v_dot4c_i32_i8_e32 v117, v189, v3
	v_dot4c_i32_i8_e32 v217, v201, v3
	;; [unrolled: 1-line block ×4, first 2 shown]
	v_cvt_f32_i32_e32 v114, v0
	ds_read_b128 v[4:7], v11 offset:24064
	ds_read_b128 v[0:3], v11 offset:24080
	v_mov_b32_e32 v115, 0
	s_waitcnt lgkmcnt(1)
	v_dot4c_i32_i8_e32 v115, v175, v4
	v_dot4c_i32_i8_e32 v115, v172, v5
	;; [unrolled: 1-line block ×8, first 2 shown]
	s_waitcnt lgkmcnt(0)
	v_dot4c_i32_i8_e32 v119, v189, v0
	v_mul_lo_u32 v172, v115, v191
	v_mov_b32_e32 v115, 0
	v_dot4c_i32_i8_e32 v115, v15, v0
	v_dot4c_i32_i8_e32 v115, v122, v1
	;; [unrolled: 1-line block ×7, first 2 shown]
	v_mov_b32_e32 v15, 0
	v_dot4c_i32_i8_e32 v15, v177, v0
	v_mad_u64_u32 v[122:123], s[18:19], v115, v192, v[172:173]
	v_cvt_f32_i32_e32 v121, v122
	v_cvt_f32_i32_e32 v123, v119
	;; [unrolled: 1-line block ×3, first 2 shown]
	v_dot4c_i32_i8_e32 v15, v178, v1
	v_dot4c_i32_i8_e32 v15, v179, v2
	;; [unrolled: 1-line block ×3, first 2 shown]
	v_pk_mul_f32 v[122:123], v[10:11], v[122:123] op_sel_hi:[0,1]
	v_mov_b32_e32 v10, 0
	v_dot4c_i32_i8_e32 v10, v190, v4
	v_pk_fma_f32 v[120:121], v[8:9], v[120:121], v[122:123] op_sel_hi:[0,1,1] neg_lo:[0,0,1] neg_hi:[0,0,1]
	v_mov_b32_e32 v8, 0
	v_dot4c_i32_i8_e32 v10, v190, v5
	v_dot4c_i32_i8_e32 v8, v188, v4
	;; [unrolled: 1-line block ×10, first 2 shown]
	v_pk_fma_f32 v[22:23], v[112:113], v[120:121], v[22:23]
	v_mul_lo_u32 v8, v8, v204
	v_dot4c_i32_i8_e32 v10, v201, v3
	v_mad_u64_u32 v[120:121], s[18:19], v15, v205, v[8:9]
	v_cvt_f32_i32_e32 v119, v120
	s_nop 0
	v_cvt_f32_i32_e32 v121, v10
	v_cvt_f32_i32_e32 v120, v217
	v_mov_b32_e32 v10, 0
	v_dot4c_i32_i8_e32 v10, v203, v4
	v_mov_b32_e32 v8, 0
	v_pk_mul_f32 v[14:15], v[14:15], v[120:121] op_sel_hi:[0,1]
	v_dot4c_i32_i8_e32 v10, v203, v5
	v_pk_fma_f32 v[14:15], v[12:13], v[118:119], v[14:15] op_sel_hi:[0,1,1] neg_lo:[0,0,1] neg_hi:[0,0,1]
	v_dot4c_i32_i8_e32 v8, v200, v4
	v_dot4c_i32_i8_e32 v10, v203, v6
	v_mov_b32_e32 v12, 0
	v_dot4c_i32_i8_e32 v8, v197, v5
	v_dot4c_i32_i8_e32 v10, v203, v7
	;; [unrolled: 1-line block ×10, first 2 shown]
	v_mul_lo_u32 v8, v8, v213
	v_dot4c_i32_i8_e32 v12, v196, v3
	v_pk_fma_f32 v[20:21], v[112:113], v[14:15], v[20:21]
	v_dot4c_i32_i8_e32 v10, v211, v3
	v_add_u32_e32 v13, 4, v13
	v_mad_u64_u32 v[14:15], s[18:19], v12, v214, v[8:9]
	s_nop 0
	v_cvt_f32_i32_e32 v15, v10
	v_mov_b32_e32 v10, 0
	v_mov_b32_e32 v8, 0
	v_dot4c_i32_i8_e32 v10, v212, v4
	v_dot4c_i32_i8_e32 v8, v210, v4
	;; [unrolled: 1-line block ×5, first 2 shown]
	v_mov_b32_e32 v5, 0
	v_dot4c_i32_i8_e32 v10, v212, v7
	v_dot4c_i32_i8_e32 v5, v181, v0
	;; [unrolled: 1-line block ×9, first 2 shown]
	v_mul_lo_u32 v4, v8, v215
	v_dot4c_i32_i8_e32 v5, v184, v3
	v_dot4c_i32_i8_e32 v10, v202, v3
	v_cvt_f32_i32_e32 v117, v14
	v_cvt_f32_i32_e32 v14, v218
	v_mad_u64_u32 v[0:1], s[18:19], v5, v206, v[4:5]
	v_cvt_f32_i32_e32 v115, v0
	v_cvt_f32_i32_e32 v1, v10
	;; [unrolled: 1-line block ×3, first 2 shown]
	v_pk_mul_f32 v[14:15], v[110:111], v[14:15] op_sel_hi:[0,1]
	v_pk_fma_f32 v[14:15], v[108:109], v[116:117], v[14:15] op_sel_hi:[0,1,1] neg_lo:[0,0,1] neg_hi:[0,0,1]
	v_pk_fma_f32 v[18:19], v[112:113], v[14:15], v[18:19]
	v_pk_mul_f32 v[0:1], v[106:107], v[0:1] op_sel_hi:[0,1]
	v_pk_fma_f32 v[0:1], v[104:105], v[114:115], v[0:1] op_sel_hi:[0,1,1] neg_lo:[0,0,1] neg_hi:[0,0,1]
	v_pk_fma_f32 v[16:17], v[112:113], v[0:1], v[16:17]
	v_add_u32_e32 v11, 32, v11
	s_cbranch_scc1 .LBB127_7
; %bb.8:                                ;   in Loop: Header=BB127_6 Depth=1
	v_add_u32_e32 v8, s9, v143
	v_add_u32_e32 v0, v8, v97
	;; [unrolled: 1-line block ×9, first 2 shown]
	v_mad_i64_i32 v[112:113], s[16:17], v8, 36, v[100:101]
	v_add_u32_e32 v8, 4, v9
	v_mad_i64_i32 v[0:1], s[16:17], v0, 36, v[100:101]
	v_mad_i64_i32 v[2:3], s[16:17], v2, 36, v[100:101]
	;; [unrolled: 1-line block ×4, first 2 shown]
	v_mad_u64_u32 v[114:115], s[16:17], v8, 36, s[2:3]
	s_barrier
	v_mad_i64_i32 v[10:11], s[16:17], v10, 36, v[100:101]
	v_mad_i64_i32 v[12:13], s[16:17], v12, 36, v[100:101]
	;; [unrolled: 1-line block ×3, first 2 shown]
	global_load_dword v8, v[114:115], off
	s_nop 0
	global_load_dword v0, v[0:1], off offset:4
	s_nop 0
	global_load_dword v1, v[2:3], off offset:4
	;; [unrolled: 2-line block ×3, first 2 shown]
	global_load_dword v3, v[6:7], off offset:4
	s_nop 0
	global_load_dword v4, v[10:11], off offset:4
	global_load_dword v5, v[12:13], off offset:4
	global_load_dword v6, v[14:15], off offset:4
	global_load_dword v7, v[112:113], off offset:4
	s_mov_b32 s15, 8
	s_mov_b32 s16, 0
	v_mov_b32_e32 v11, v160
	v_mov_b32_e32 v13, v159
	s_waitcnt vmcnt(8)
	v_cvt_f32_f16_e32 v8, v8
	s_waitcnt vmcnt(7)
	ds_write_b32 v105, v0
	s_waitcnt vmcnt(6)
	ds_write_b32 v109, v1
	;; [unrolled: 2-line block ×8, first 2 shown]
	ds_write_b32 v93, v8
	s_waitcnt lgkmcnt(0)
	s_barrier
.LBB127_9:                              ;   Parent Loop BB127_6 Depth=1
                                        ; =>  This Inner Loop Header: Depth=2
	s_add_i32 s17, s16, 8
	s_and_b32 s19, s17, 0x3ffffff8
	s_lshl_b32 s19, s19, 2
	v_add_u32_e32 v8, s19, v135
	ds_read2_b32 v[112:113], v13 offset1:32
	ds_read_b128 v[4:7], v11
	ds_read_b128 v[0:3], v11 offset:16
	ds_read2_b32 v[14:15], v8 offset1:1
	s_lshr_b32 s20, s17, 2
	s_and_b32 s18, s15, -16
	v_add_u32_e32 v104, s16, v148
	s_and_b32 s20, s20, 0x3ffffffc
	s_waitcnt lgkmcnt(0)
	v_ashrrev_i32_e32 v10, s16, v14
	v_and_b32_e32 v187, 0x3030303, v10
	v_ashrrev_i32_e32 v10, s16, v15
	ds_read2_b32 v[14:15], v8 offset0:2 offset1:3
	v_and_b32_e32 v184, 0x3030303, v10
	v_mov_b32_e32 v213, 0
	v_mov_b32_e32 v215, 0
	;; [unrolled: 1-line block ×3, first 2 shown]
	s_waitcnt lgkmcnt(0)
	v_ashrrev_i32_e32 v10, s16, v14
	v_and_b32_e32 v185, 0x3030303, v10
	v_ashrrev_i32_e32 v10, s16, v15
	ds_read2_b32 v[14:15], v8 offset0:4 offset1:5
	v_and_b32_e32 v186, 0x3030303, v10
	v_mov_b32_e32 v221, 0
	v_mov_b32_e32 v115, 0
	;; [unrolled: 1-line block ×3, first 2 shown]
	s_waitcnt lgkmcnt(0)
	v_ashrrev_i32_e32 v10, s16, v14
	v_and_b32_e32 v177, 0x3030303, v10
	v_ashrrev_i32_e32 v10, s16, v15
	ds_read2_b32 v[14:15], v8 offset0:6 offset1:7
	v_and_b32_e32 v178, 0x3030303, v10
	v_add_u32_e32 v10, s20, v136
	v_mov_b32_e32 v216, 0
	v_mov_b32_e32 v220, 0
	s_waitcnt lgkmcnt(0)
	v_ashrrev_i32_e32 v8, s16, v14
	v_and_b32_e32 v179, 0x3030303, v8
	v_ashrrev_i32_e32 v8, s16, v15
	v_and_b32_e32 v180, 0x3030303, v8
	v_add3_u32 v8, v158, s18, v104
	ds_read_b32 v10, v10
	ds_read_u16 v8, v8
	v_dot4c_i32_i8_e32 v115, v187, v4
	v_dot4c_i32_i8_e32 v115, v184, v5
	;; [unrolled: 1-line block ×3, first 2 shown]
	s_waitcnt lgkmcnt(1)
	v_cvt_f32_f16_sdwa v14, v10 dst_sel:DWORD dst_unused:UNUSED_PAD src0_sel:WORD_1
	s_waitcnt lgkmcnt(0)
	v_bfe_u32 v12, v8, 4, 4
	v_mul_lo_u32 v205, v12, s1
	v_and_b32_e32 v196, 15, v8
	v_lshrrev_b32_sdwa v12, v169, v8 dst_sel:DWORD dst_unused:UNUSED_PAD src0_sel:DWORD src1_sel:BYTE_1
	v_and_b32_sdwa v206, v8, v170 dst_sel:DWORD dst_unused:UNUSED_PAD src0_sel:BYTE_1 src1_sel:DWORD
	v_add_u32_e32 v8, s19, v137
	v_mul_lo_u32 v204, v12, s1
	v_mov_b32_e32 v12, 0
	ds_read2_b32 v[116:117], v8 offset1:1
	v_dot4c_i32_i8_e32 v12, v177, v0
	v_dot4c_i32_i8_e32 v12, v178, v1
	;; [unrolled: 1-line block ×7, first 2 shown]
	v_mul_lo_u32 v114, v206, v12
	v_cvt_f32_f16_e32 v12, v10
	s_waitcnt lgkmcnt(0)
	v_ashrrev_i32_e32 v10, s16, v116
	v_and_b32_e32 v201, 0x3030303, v10
	v_ashrrev_i32_e32 v10, s16, v117
	ds_read2_b32 v[116:117], v8 offset0:2 offset1:3
	v_and_b32_e32 v198, 0x3030303, v10
	v_dot4c_i32_i8_e32 v214, v201, v4
	v_dot4c_i32_i8_e32 v213, v205, v7
	;; [unrolled: 1-line block ×3, first 2 shown]
	s_waitcnt lgkmcnt(0)
	v_ashrrev_i32_e32 v10, s16, v116
	v_and_b32_e32 v199, 0x3030303, v10
	v_ashrrev_i32_e32 v10, s16, v117
	ds_read2_b32 v[116:117], v8 offset0:4 offset1:5
	v_and_b32_e32 v200, 0x3030303, v10
	v_dot4c_i32_i8_e32 v213, v204, v1
	v_dot4c_i32_i8_e32 v214, v198, v5
	;; [unrolled: 1-line block ×3, first 2 shown]
	s_waitcnt lgkmcnt(0)
	v_ashrrev_i32_e32 v10, s16, v116
	v_and_b32_e32 v191, 0x3030303, v10
	v_ashrrev_i32_e32 v10, s16, v117
	ds_read2_b32 v[116:117], v8 offset0:6 offset1:7
	v_and_b32_e32 v192, 0x3030303, v10
	v_add_u32_e32 v10, s20, v138
	v_dot4c_i32_i8_e32 v214, v199, v6
	v_dot4c_i32_i8_e32 v115, v186, v7
	s_waitcnt lgkmcnt(0)
	v_ashrrev_i32_e32 v8, s16, v116
	v_and_b32_e32 v193, 0x3030303, v8
	v_ashrrev_i32_e32 v8, s16, v117
	v_and_b32_e32 v194, 0x3030303, v8
	v_add3_u32 v8, v157, s18, v104
	ds_read_b32 v10, v10
	ds_read_u16 v8, v8
	v_dot4c_i32_i8_e32 v213, v204, v3
	v_dot4c_i32_i8_e32 v214, v200, v7
	v_mov_b32_e32 v222, 0
	s_waitcnt lgkmcnt(1)
	v_cvt_f32_f16_e32 v108, v10
	s_waitcnt lgkmcnt(0)
	v_bfe_u32 v15, v8, 4, 4
	v_mul_lo_u32 v203, v15, s1
	v_and_b32_e32 v209, 15, v8
	v_lshrrev_b32_sdwa v15, v169, v8 dst_sel:DWORD dst_unused:UNUSED_PAD src0_sel:DWORD src1_sel:BYTE_1
	v_and_b32_sdwa v212, v8, v170 dst_sel:DWORD dst_unused:UNUSED_PAD src0_sel:BYTE_1 src1_sel:DWORD
	v_add_u32_e32 v8, s19, v139
	ds_read2_b32 v[118:119], v8 offset1:1
	ds_read2_b32 v[120:121], v8 offset0:6 offset1:7
	v_cvt_f32_f16_sdwa v110, v10 dst_sel:DWORD dst_unused:UNUSED_PAD src0_sel:WORD_1
	v_mul_lo_u32 v211, v15, s1
	v_mov_b32_e32 v15, 0
	s_waitcnt lgkmcnt(1)
	v_ashrrev_i32_e32 v10, s16, v118
	v_and_b32_e32 v210, 0x3030303, v10
	v_ashrrev_i32_e32 v10, s16, v119
	ds_read2_b32 v[118:119], v8 offset0:2 offset1:3
	v_and_b32_e32 v122, 0x3030303, v10
	v_dot4c_i32_i8_e32 v15, v191, v0
	v_dot4c_i32_i8_e32 v15, v192, v1
	;; [unrolled: 1-line block ×3, first 2 shown]
	s_waitcnt lgkmcnt(0)
	v_ashrrev_i32_e32 v10, s16, v118
	v_and_b32_e32 v123, 0x3030303, v10
	v_ashrrev_i32_e32 v10, s16, v119
	ds_read2_b32 v[118:119], v8 offset0:4 offset1:5
	v_dot4c_i32_i8_e32 v15, v194, v3
	v_and_b32_e32 v171, 0x3030303, v10
	v_ashrrev_i32_e32 v8, s16, v120
	v_dot4c_i32_i8_e32 v215, v203, v4
	s_waitcnt lgkmcnt(0)
	v_ashrrev_i32_e32 v10, s16, v118
	v_mul_lo_u32 v116, v212, v15
	v_and_b32_e32 v15, 0x3030303, v10
	v_ashrrev_i32_e32 v10, s16, v119
	v_and_b32_e32 v119, 0x3030303, v8
	v_ashrrev_i32_e32 v8, s16, v121
	v_and_b32_e32 v117, 0x3030303, v10
	v_and_b32_e32 v121, 0x3030303, v8
	v_add3_u32 v8, v156, s18, v104
	v_add_u32_e32 v10, s20, v140
	ds_read_b32 v10, v10
	ds_read_u16 v8, v8
	v_add3_u32 v104, v155, s18, v104
	v_dot4c_i32_i8_e32 v215, v203, v5
	v_dot4c_i32_i8_e32 v216, v210, v4
	;; [unrolled: 1-line block ×3, first 2 shown]
	s_waitcnt lgkmcnt(0)
	v_bfe_u32 v106, v8, 4, 4
	v_mul_lo_u32 v176, v106, s1
	v_lshrrev_b32_sdwa v106, v169, v8 dst_sel:DWORD dst_unused:UNUSED_PAD src0_sel:DWORD src1_sel:BYTE_1
	v_mul_lo_u32 v195, v106, s1
	v_mov_b32_e32 v106, 0
	v_dot4c_i32_i8_e32 v106, v15, v0
	v_dot4c_i32_i8_e32 v106, v117, v1
	v_dot4c_i32_i8_e32 v106, v119, v2
	v_dot4c_i32_i8_e32 v106, v121, v3
	v_and_b32_sdwa v197, v8, v170 dst_sel:DWORD dst_unused:UNUSED_PAD src0_sel:BYTE_1 src1_sel:DWORD
	v_dot4c_i32_i8_e32 v217, v176, v4
	v_dot4c_i32_i8_e32 v217, v176, v5
	v_mul_lo_u32 v118, v197, v106
	v_add_u32_e32 v106, s19, v141
	ds_read2_b32 v[172:173], v106 offset1:1
	ds_read2_b32 v[174:175], v106 offset0:6 offset1:7
	v_dot4c_i32_i8_e32 v217, v176, v6
	v_dot4c_i32_i8_e32 v215, v203, v7
	;; [unrolled: 1-line block ×3, first 2 shown]
	s_waitcnt lgkmcnt(1)
	v_ashrrev_i32_e32 v120, s16, v172
	v_and_b32_e32 v189, 0x3030303, v120
	v_ashrrev_i32_e32 v120, s16, v173
	ds_read2_b32 v[172:173], v106 offset0:2 offset1:3
	v_and_b32_e32 v181, 0x3030303, v120
	v_dot4c_i32_i8_e32 v220, v189, v4
	v_dot4c_i32_i8_e32 v215, v211, v0
	;; [unrolled: 1-line block ×3, first 2 shown]
	s_waitcnt lgkmcnt(0)
	v_ashrrev_i32_e32 v120, s16, v172
	v_and_b32_e32 v182, 0x3030303, v120
	v_ashrrev_i32_e32 v120, s16, v173
	ds_read2_b32 v[172:173], v106 offset0:4 offset1:5
	v_ashrrev_i32_e32 v106, s16, v174
	v_and_b32_e32 v174, 0x3030303, v106
	v_ashrrev_i32_e32 v106, s16, v175
	v_and_b32_e32 v175, 0x3030303, v106
	v_add_u32_e32 v106, s20, v142
	ds_read_b32 v106, v106
	ds_read_u16 v104, v104
	v_and_b32_e32 v183, 0x3030303, v120
	s_waitcnt lgkmcnt(2)
	v_ashrrev_i32_e32 v120, s16, v172
	v_and_b32_e32 v172, 0x3030303, v120
	v_ashrrev_i32_e32 v120, s16, v173
	v_and_b32_e32 v173, 0x3030303, v120
	s_waitcnt lgkmcnt(0)
	v_bfe_u32 v120, v104, 4, 4
	v_mul_lo_u32 v190, v120, s1
	v_dot4c_i32_i8_e32 v221, v190, v4
	v_dot4c_i32_i8_e32 v221, v190, v5
	v_lshrrev_b32_sdwa v4, v169, v104 dst_sel:DWORD dst_unused:UNUSED_PAD src0_sel:DWORD src1_sel:BYTE_1
	v_dot4c_i32_i8_e32 v221, v190, v6
	v_mul_lo_u32 v207, v4, s1
	v_mov_b32_e32 v4, 0
	v_dot4c_i32_i8_e32 v221, v190, v7
	v_dot4c_i32_i8_e32 v4, v172, v0
	;; [unrolled: 1-line block ×16, first 2 shown]
	v_and_b32_sdwa v208, v104, v170 dst_sel:DWORD dst_unused:UNUSED_PAD src0_sel:BYTE_1 src1_sel:DWORD
	v_dot4c_i32_i8_e32 v215, v211, v3
	v_dot4c_i32_i8_e32 v216, v171, v7
	;; [unrolled: 1-line block ×5, first 2 shown]
	v_mul_lo_u32 v120, v208, v4
	ds_read_b128 v[4:7], v11 offset:1024
	ds_read_b128 v[0:3], v11 offset:1040
	v_mov_b32_e32 v218, 0
	v_mov_b32_e32 v219, 0
	v_mad_u64_u32 v[114:115], s[18:19], v196, v115, v[114:115]
	s_waitcnt lgkmcnt(1)
	v_dot4c_i32_i8_e32 v222, v205, v4
	v_dot4c_i32_i8_e32 v222, v205, v5
	;; [unrolled: 1-line block ×6, first 2 shown]
	s_waitcnt lgkmcnt(0)
	v_dot4c_i32_i8_e32 v219, v177, v0
	v_dot4c_i32_i8_e32 v218, v185, v6
	;; [unrolled: 1-line block ×8, first 2 shown]
	v_mul_lo_u32 v218, v218, v196
	v_dot4c_i32_i8_e32 v219, v180, v3
	v_dot4c_i32_i8_e32 v222, v204, v3
	v_cvt_f32_i32_e32 v115, v114
	v_cvt_f32_i32_e32 v215, v215
	v_mad_u64_u32 v[218:219], s[18:19], v219, v206, v[218:219]
	v_cvt_f32_i32_e32 v114, v218
	v_cvt_f32_i32_e32 v219, v213
	;; [unrolled: 1-line block ×3, first 2 shown]
	v_mov_b32_e32 v213, 0
	v_dot4c_i32_i8_e32 v213, v203, v4
	v_dot4c_i32_i8_e32 v213, v203, v5
	v_pk_mul_f32 v[218:219], v[14:15], v[218:219] op_sel_hi:[0,1]
	v_pk_fma_f32 v[218:219], v[12:13], v[114:115], v[218:219] op_sel_hi:[0,1,1] neg_lo:[0,0,1] neg_hi:[0,0,1]
	v_mov_b32_e32 v115, v112
	v_mov_b32_e32 v112, 0
	v_dot4c_i32_i8_e32 v213, v203, v6
	v_mov_b32_e32 v114, v113
	v_dot4c_i32_i8_e32 v112, v201, v4
	v_dot4c_i32_i8_e32 v213, v203, v7
	v_mov_b32_e32 v113, 0
	v_dot4c_i32_i8_e32 v112, v198, v5
	v_dot4c_i32_i8_e32 v113, v191, v0
	;; [unrolled: 1-line block ×10, first 2 shown]
	v_mul_lo_u32 v112, v112, v209
	v_dot4c_i32_i8_e32 v213, v211, v3
	v_pk_fma_f32 v[88:89], v[114:115], v[218:219], v[88:89]
	v_mad_u64_u32 v[112:113], s[18:19], v113, v212, v[112:113]
	v_mad_u64_u32 v[218:219], s[18:19], v209, v214, v[116:117]
	v_cvt_f32_i32_e32 v214, v213
	v_cvt_f32_i32_e32 v113, v218
	;; [unrolled: 1-line block ×3, first 2 shown]
	v_mov_b32_e32 v116, 0
	v_pk_mul_f32 v[214:215], v[110:111], v[214:215] op_sel_hi:[0,1]
	v_dot4c_i32_i8_e32 v116, v176, v4
	v_pk_fma_f32 v[112:113], v[108:109], v[112:113], v[214:215] op_sel_hi:[0,1,1] neg_lo:[0,0,1] neg_hi:[0,0,1]
	v_pk_fma_f32 v[98:99], v[114:115], v[112:113], v[98:99]
	v_mov_b32_e32 v112, 0
	v_dot4c_i32_i8_e32 v116, v176, v5
	v_dot4c_i32_i8_e32 v112, v210, v4
	;; [unrolled: 1-line block ×3, first 2 shown]
	v_mov_b32_e32 v113, 0
	v_dot4c_i32_i8_e32 v112, v122, v5
	v_dot4c_i32_i8_e32 v116, v176, v7
	;; [unrolled: 1-line block ×6, first 2 shown]
	v_and_b32_e32 v188, 15, v8
	v_dot4c_i32_i8_e32 v112, v171, v7
	v_dot4c_i32_i8_e32 v116, v195, v1
	;; [unrolled: 1-line block ×4, first 2 shown]
	v_mul_lo_u32 v112, v112, v188
	v_dot4c_i32_i8_e32 v113, v121, v3
	v_dot4c_i32_i8_e32 v116, v195, v3
	v_mad_u64_u32 v[214:215], s[18:19], v188, v216, v[118:119]
	s_nop 0
	v_mad_u64_u32 v[112:113], s[18:19], v113, v197, v[112:113]
	v_cvt_f32_f16_e32 v8, v10
	v_cvt_f32_f16_sdwa v10, v10 dst_sel:DWORD dst_unused:UNUSED_PAD src0_sel:WORD_1
	v_cvt_f32_i32_e32 v113, v214
	v_cvt_f32_i32_e32 v215, v217
	;; [unrolled: 1-line block ×4, first 2 shown]
	v_and_b32_e32 v202, 15, v104
	v_cvt_f32_f16_e32 v104, v106
	v_pk_mul_f32 v[214:215], v[10:11], v[214:215] op_sel_hi:[0,1]
	v_pk_fma_f32 v[112:113], v[8:9], v[112:113], v[214:215] op_sel_hi:[0,1,1] neg_lo:[0,0,1] neg_hi:[0,0,1]
	v_pk_fma_f32 v[94:95], v[114:115], v[112:113], v[94:95]
	v_mov_b32_e32 v113, 0
	v_mov_b32_e32 v112, 0
	v_dot4c_i32_i8_e32 v113, v190, v4
	v_dot4c_i32_i8_e32 v112, v189, v4
	;; [unrolled: 1-line block ×5, first 2 shown]
	v_mov_b32_e32 v5, 0
	v_dot4c_i32_i8_e32 v113, v190, v7
	v_dot4c_i32_i8_e32 v5, v172, v0
	;; [unrolled: 1-line block ×9, first 2 shown]
	v_mul_lo_u32 v4, v112, v202
	v_dot4c_i32_i8_e32 v5, v175, v3
	v_dot4c_i32_i8_e32 v113, v207, v3
	v_mad_u64_u32 v[2:3], s[18:19], v202, v220, v[120:121]
	s_nop 0
	v_mad_u64_u32 v[0:1], s[18:19], v5, v208, v[4:5]
	v_cvt_f32_f16_sdwa v106, v106 dst_sel:DWORD dst_unused:UNUSED_PAD src0_sel:WORD_1
	v_cvt_f32_i32_e32 v1, v2
	v_cvt_f32_i32_e32 v3, v221
	;; [unrolled: 1-line block ×4, first 2 shown]
	v_mov_b32_e32 v213, 0
	v_mov_b32_e32 v219, 0
	v_pk_mul_f32 v[2:3], v[106:107], v[2:3] op_sel_hi:[0,1]
	v_pk_fma_f32 v[0:1], v[104:105], v[0:1], v[2:3] op_sel_hi:[0,1,1] neg_lo:[0,0,1] neg_hi:[0,0,1]
	v_pk_fma_f32 v[86:87], v[114:115], v[0:1], v[86:87]
	ds_read2_b32 v[112:113], v13 offset0:64 offset1:96
	ds_read_b128 v[0:3], v11 offset:2048
	ds_read_b128 v[4:7], v11 offset:2064
	v_mov_b32_e32 v114, 0
	v_mov_b32_e32 v221, 0
	;; [unrolled: 1-line block ×3, first 2 shown]
	s_waitcnt lgkmcnt(1)
	v_dot4c_i32_i8_e32 v213, v205, v0
	s_waitcnt lgkmcnt(0)
	v_dot4c_i32_i8_e32 v114, v177, v4
	v_dot4c_i32_i8_e32 v114, v178, v5
	;; [unrolled: 1-line block ×7, first 2 shown]
	v_mul_lo_u32 v120, v114, v206
	v_mov_b32_e32 v114, 0
	v_dot4c_i32_i8_e32 v114, v191, v4
	v_dot4c_i32_i8_e32 v114, v192, v5
	v_dot4c_i32_i8_e32 v114, v193, v6
	v_mov_b32_e32 v115, 0
	v_dot4c_i32_i8_e32 v213, v205, v1
	v_mov_b32_e32 v218, 0
	v_dot4c_i32_i8_e32 v219, v203, v1
	v_dot4c_i32_i8_e32 v114, v194, v7
	v_mov_b32_e32 v220, 0
	v_dot4c_i32_i8_e32 v221, v176, v1
	v_mov_b32_e32 v222, 0
	v_dot4c_i32_i8_e32 v223, v190, v1
	v_dot4c_i32_i8_e32 v115, v187, v0
	;; [unrolled: 1-line block ×5, first 2 shown]
	v_mul_lo_u32 v118, v114, v212
	v_dot4c_i32_i8_e32 v220, v210, v0
	v_dot4c_i32_i8_e32 v221, v176, v2
	v_mov_b32_e32 v114, 0
	v_dot4c_i32_i8_e32 v222, v189, v0
	v_dot4c_i32_i8_e32 v223, v190, v2
	v_mov_b32_e32 v0, 0
	v_dot4c_i32_i8_e32 v213, v205, v3
	v_dot4c_i32_i8_e32 v219, v203, v3
	;; [unrolled: 1-line block ×38, first 2 shown]
	v_mul_lo_u32 v116, v114, v197
	v_dot4c_i32_i8_e32 v222, v183, v3
	v_dot4c_i32_i8_e32 v223, v207, v7
	v_mul_lo_u32 v114, v0, v208
	ds_read_b128 v[4:7], v11 offset:3072
	ds_read_b128 v[0:3], v11 offset:3088
	v_mov_b32_e32 v224, 0
	v_mov_b32_e32 v214, 0
	;; [unrolled: 1-line block ×3, first 2 shown]
	s_waitcnt lgkmcnt(1)
	v_dot4c_i32_i8_e32 v224, v205, v4
	v_dot4c_i32_i8_e32 v214, v187, v4
	;; [unrolled: 1-line block ×5, first 2 shown]
	s_waitcnt lgkmcnt(0)
	v_dot4c_i32_i8_e32 v215, v177, v0
	v_dot4c_i32_i8_e32 v214, v185, v6
	;; [unrolled: 1-line block ×4, first 2 shown]
	v_mad_u64_u32 v[216:217], s[18:19], v115, v196, v[120:121]
	v_mov_b32_e32 v115, 0
	v_dot4c_i32_i8_e32 v214, v186, v7
	v_dot4c_i32_i8_e32 v224, v204, v0
	;; [unrolled: 1-line block ×4, first 2 shown]
	v_mul_lo_u32 v214, v214, v196
	v_dot4c_i32_i8_e32 v224, v204, v1
	v_dot4c_i32_i8_e32 v215, v180, v3
	;; [unrolled: 1-line block ×5, first 2 shown]
	v_mad_u64_u32 v[214:215], s[18:19], v215, v206, v[214:215]
	v_dot4c_i32_i8_e32 v224, v204, v3
	v_cvt_f32_i32_e32 v215, v214
	v_cvt_f32_i32_e32 v214, v216
	v_cvt_f32_i32_e32 v216, v213
	v_mov_b32_e32 v213, 0
	v_dot4c_i32_i8_e32 v115, v200, v7
	v_cvt_f32_i32_e32 v217, v224
	v_dot4c_i32_i8_e32 v213, v203, v4
	v_dot4c_i32_i8_e32 v213, v203, v5
	v_mul_lo_u32 v120, v115, v209
	v_mov_b32_e32 v115, 0
	v_dot4c_i32_i8_e32 v115, v191, v0
	v_dot4c_i32_i8_e32 v213, v203, v6
	;; [unrolled: 1-line block ×5, first 2 shown]
	v_pk_mul_f32 v[216:217], v[14:15], v[216:217] op_sel_hi:[0,1]
	v_dot4c_i32_i8_e32 v213, v211, v0
	v_dot4c_i32_i8_e32 v115, v194, v3
	v_pk_fma_f32 v[214:215], v[12:13], v[214:215], v[216:217] op_sel_hi:[0,1,1] neg_lo:[0,0,1] neg_hi:[0,0,1]
	v_dot4c_i32_i8_e32 v213, v211, v1
	v_dot4c_i32_i8_e32 v213, v211, v2
	v_mad_u64_u32 v[216:217], s[18:19], v115, v212, v[120:121]
	v_mov_b32_e32 v115, 0
	v_dot4c_i32_i8_e32 v115, v210, v4
	v_pk_fma_f32 v[38:39], v[112:113], v[214:215], v[38:39]
	v_dot4c_i32_i8_e32 v213, v211, v3
	v_mad_u64_u32 v[214:215], s[18:19], v218, v209, v[118:119]
	v_dot4c_i32_i8_e32 v115, v122, v5
	v_cvt_f32_i32_e32 v215, v216
	v_cvt_f32_i32_e32 v217, v213
	;; [unrolled: 1-line block ×3, first 2 shown]
	v_dot4c_i32_i8_e32 v115, v123, v6
	v_cvt_f32_i32_e32 v214, v214
	v_dot4c_i32_i8_e32 v115, v171, v7
	v_pk_mul_f32 v[216:217], v[110:111], v[216:217] op_sel_hi:[0,1]
	v_mov_b32_e32 v120, 0
	v_pk_fma_f32 v[214:215], v[108:109], v[214:215], v[216:217] op_sel_hi:[0,1,1] neg_lo:[0,0,1] neg_hi:[0,0,1]
	v_mul_lo_u32 v118, v115, v188
	v_mov_b32_e32 v115, 0
	v_dot4c_i32_i8_e32 v115, v15, v0
	v_dot4c_i32_i8_e32 v115, v117, v1
	;; [unrolled: 1-line block ×3, first 2 shown]
	v_pk_fma_f32 v[36:37], v[112:113], v[214:215], v[36:37]
	v_dot4c_i32_i8_e32 v115, v121, v3
	v_mad_u64_u32 v[214:215], s[18:19], v220, v188, v[116:117]
	v_mov_b32_e32 v116, 0
	v_dot4c_i32_i8_e32 v120, v176, v4
	v_mad_u64_u32 v[216:217], s[18:19], v115, v197, v[118:119]
	v_mov_b32_e32 v115, 0
	v_dot4c_i32_i8_e32 v116, v190, v4
	v_dot4c_i32_i8_e32 v120, v176, v5
	v_dot4c_i32_i8_e32 v115, v189, v4
	v_dot4c_i32_i8_e32 v116, v190, v5
	v_dot4c_i32_i8_e32 v120, v176, v6
	v_dot4c_i32_i8_e32 v115, v181, v5
	v_dot4c_i32_i8_e32 v116, v190, v6
	v_mov_b32_e32 v5, 0
	v_dot4c_i32_i8_e32 v120, v176, v7
	v_dot4c_i32_i8_e32 v116, v190, v7
	;; [unrolled: 1-line block ×12, first 2 shown]
	v_mul_lo_u32 v4, v115, v202
	v_dot4c_i32_i8_e32 v116, v207, v2
	v_dot4c_i32_i8_e32 v5, v175, v3
	;; [unrolled: 1-line block ×4, first 2 shown]
	v_mad_u64_u32 v[0:1], s[18:19], v222, v202, v[114:115]
	v_mad_u64_u32 v[2:3], s[18:19], v5, v208, v[4:5]
	v_cvt_f32_i32_e32 v215, v216
	v_cvt_f32_i32_e32 v217, v120
	;; [unrolled: 1-line block ×8, first 2 shown]
	v_pk_mul_f32 v[216:217], v[10:11], v[216:217] op_sel_hi:[0,1]
	v_pk_mul_f32 v[2:3], v[106:107], v[2:3] op_sel_hi:[0,1]
	v_pk_fma_f32 v[214:215], v[8:9], v[214:215], v[216:217] op_sel_hi:[0,1,1] neg_lo:[0,0,1] neg_hi:[0,0,1]
	v_pk_fma_f32 v[0:1], v[104:105], v[0:1], v[2:3] op_sel_hi:[0,1,1] neg_lo:[0,0,1] neg_hi:[0,0,1]
	v_pk_fma_f32 v[34:35], v[112:113], v[214:215], v[34:35]
	v_pk_fma_f32 v[32:33], v[112:113], v[0:1], v[32:33]
	ds_read2_b32 v[112:113], v13 offset0:128 offset1:160
	ds_read_b128 v[0:3], v11 offset:4096
	ds_read_b128 v[4:7], v11 offset:4112
	v_mov_b32_e32 v114, 0
	v_mov_b32_e32 v213, 0
	;; [unrolled: 1-line block ×4, first 2 shown]
	s_waitcnt lgkmcnt(0)
	v_dot4c_i32_i8_e32 v114, v177, v4
	v_dot4c_i32_i8_e32 v114, v178, v5
	;; [unrolled: 1-line block ×4, first 2 shown]
	v_mov_b32_e32 v223, 0
	v_dot4c_i32_i8_e32 v213, v205, v0
	v_dot4c_i32_i8_e32 v219, v203, v0
	v_mul_lo_u32 v120, v114, v206
	v_mov_b32_e32 v114, 0
	v_dot4c_i32_i8_e32 v114, v191, v4
	v_dot4c_i32_i8_e32 v114, v192, v5
	;; [unrolled: 1-line block ×5, first 2 shown]
	v_mov_b32_e32 v115, 0
	v_dot4c_i32_i8_e32 v213, v205, v1
	v_mov_b32_e32 v218, 0
	v_dot4c_i32_i8_e32 v219, v203, v1
	v_dot4c_i32_i8_e32 v114, v194, v7
	v_mov_b32_e32 v220, 0
	v_dot4c_i32_i8_e32 v221, v176, v1
	v_mov_b32_e32 v222, 0
	v_dot4c_i32_i8_e32 v223, v190, v1
	v_dot4c_i32_i8_e32 v115, v187, v0
	;; [unrolled: 1-line block ×5, first 2 shown]
	v_mul_lo_u32 v118, v114, v212
	v_dot4c_i32_i8_e32 v220, v210, v0
	v_dot4c_i32_i8_e32 v221, v176, v2
	v_mov_b32_e32 v114, 0
	v_dot4c_i32_i8_e32 v222, v189, v0
	v_dot4c_i32_i8_e32 v223, v190, v2
	v_mov_b32_e32 v0, 0
	v_dot4c_i32_i8_e32 v213, v205, v3
	v_dot4c_i32_i8_e32 v219, v203, v3
	;; [unrolled: 1-line block ×38, first 2 shown]
	v_mul_lo_u32 v116, v114, v197
	v_dot4c_i32_i8_e32 v222, v183, v3
	v_dot4c_i32_i8_e32 v223, v207, v7
	v_mul_lo_u32 v114, v0, v208
	ds_read_b128 v[4:7], v11 offset:5120
	ds_read_b128 v[0:3], v11 offset:5136
	v_mov_b32_e32 v224, 0
	v_mov_b32_e32 v214, 0
	;; [unrolled: 1-line block ×3, first 2 shown]
	s_waitcnt lgkmcnt(1)
	v_dot4c_i32_i8_e32 v224, v205, v4
	v_dot4c_i32_i8_e32 v214, v187, v4
	;; [unrolled: 1-line block ×5, first 2 shown]
	s_waitcnt lgkmcnt(0)
	v_dot4c_i32_i8_e32 v215, v177, v0
	v_dot4c_i32_i8_e32 v214, v185, v6
	;; [unrolled: 1-line block ×4, first 2 shown]
	v_mad_u64_u32 v[216:217], s[18:19], v115, v196, v[120:121]
	v_mov_b32_e32 v115, 0
	v_dot4c_i32_i8_e32 v214, v186, v7
	v_dot4c_i32_i8_e32 v224, v204, v0
	v_dot4c_i32_i8_e32 v215, v179, v2
	v_dot4c_i32_i8_e32 v115, v201, v4
	v_mul_lo_u32 v214, v214, v196
	v_dot4c_i32_i8_e32 v224, v204, v1
	v_dot4c_i32_i8_e32 v215, v180, v3
	;; [unrolled: 1-line block ×5, first 2 shown]
	v_mad_u64_u32 v[214:215], s[18:19], v215, v206, v[214:215]
	v_dot4c_i32_i8_e32 v224, v204, v3
	v_cvt_f32_i32_e32 v215, v214
	v_cvt_f32_i32_e32 v214, v216
	;; [unrolled: 1-line block ×3, first 2 shown]
	v_mov_b32_e32 v213, 0
	v_dot4c_i32_i8_e32 v115, v200, v7
	v_cvt_f32_i32_e32 v217, v224
	v_dot4c_i32_i8_e32 v213, v203, v4
	v_dot4c_i32_i8_e32 v213, v203, v5
	v_mul_lo_u32 v120, v115, v209
	v_mov_b32_e32 v115, 0
	v_dot4c_i32_i8_e32 v115, v191, v0
	v_dot4c_i32_i8_e32 v213, v203, v6
	v_dot4c_i32_i8_e32 v115, v192, v1
	v_dot4c_i32_i8_e32 v213, v203, v7
	v_dot4c_i32_i8_e32 v115, v193, v2
	v_pk_mul_f32 v[216:217], v[14:15], v[216:217] op_sel_hi:[0,1]
	v_dot4c_i32_i8_e32 v213, v211, v0
	v_dot4c_i32_i8_e32 v115, v194, v3
	v_pk_fma_f32 v[214:215], v[12:13], v[214:215], v[216:217] op_sel_hi:[0,1,1] neg_lo:[0,0,1] neg_hi:[0,0,1]
	v_dot4c_i32_i8_e32 v213, v211, v1
	v_dot4c_i32_i8_e32 v213, v211, v2
	v_mad_u64_u32 v[216:217], s[18:19], v115, v212, v[120:121]
	v_mov_b32_e32 v115, 0
	v_dot4c_i32_i8_e32 v115, v210, v4
	v_pk_fma_f32 v[30:31], v[112:113], v[214:215], v[30:31]
	v_dot4c_i32_i8_e32 v213, v211, v3
	v_mad_u64_u32 v[214:215], s[18:19], v218, v209, v[118:119]
	v_dot4c_i32_i8_e32 v115, v122, v5
	v_cvt_f32_i32_e32 v215, v216
	v_cvt_f32_i32_e32 v217, v213
	;; [unrolled: 1-line block ×3, first 2 shown]
	v_dot4c_i32_i8_e32 v115, v123, v6
	v_cvt_f32_i32_e32 v214, v214
	v_dot4c_i32_i8_e32 v115, v171, v7
	v_pk_mul_f32 v[216:217], v[110:111], v[216:217] op_sel_hi:[0,1]
	v_mov_b32_e32 v120, 0
	v_pk_fma_f32 v[214:215], v[108:109], v[214:215], v[216:217] op_sel_hi:[0,1,1] neg_lo:[0,0,1] neg_hi:[0,0,1]
	v_mul_lo_u32 v118, v115, v188
	v_mov_b32_e32 v115, 0
	v_dot4c_i32_i8_e32 v115, v15, v0
	v_dot4c_i32_i8_e32 v115, v117, v1
	;; [unrolled: 1-line block ×3, first 2 shown]
	v_pk_fma_f32 v[28:29], v[112:113], v[214:215], v[28:29]
	v_dot4c_i32_i8_e32 v115, v121, v3
	v_mad_u64_u32 v[214:215], s[18:19], v220, v188, v[116:117]
	v_mov_b32_e32 v116, 0
	v_dot4c_i32_i8_e32 v120, v176, v4
	v_mad_u64_u32 v[216:217], s[18:19], v115, v197, v[118:119]
	v_mov_b32_e32 v115, 0
	v_dot4c_i32_i8_e32 v116, v190, v4
	v_dot4c_i32_i8_e32 v120, v176, v5
	;; [unrolled: 1-line block ×7, first 2 shown]
	v_mov_b32_e32 v5, 0
	v_dot4c_i32_i8_e32 v120, v176, v7
	v_dot4c_i32_i8_e32 v116, v190, v7
	;; [unrolled: 1-line block ×12, first 2 shown]
	v_mul_lo_u32 v4, v115, v202
	v_dot4c_i32_i8_e32 v116, v207, v2
	v_dot4c_i32_i8_e32 v5, v175, v3
	;; [unrolled: 1-line block ×4, first 2 shown]
	v_mad_u64_u32 v[0:1], s[18:19], v222, v202, v[114:115]
	v_mad_u64_u32 v[2:3], s[18:19], v5, v208, v[4:5]
	v_cvt_f32_i32_e32 v215, v216
	v_cvt_f32_i32_e32 v217, v120
	;; [unrolled: 1-line block ×8, first 2 shown]
	v_pk_mul_f32 v[216:217], v[10:11], v[216:217] op_sel_hi:[0,1]
	v_pk_mul_f32 v[2:3], v[106:107], v[2:3] op_sel_hi:[0,1]
	v_pk_fma_f32 v[214:215], v[8:9], v[214:215], v[216:217] op_sel_hi:[0,1,1] neg_lo:[0,0,1] neg_hi:[0,0,1]
	v_pk_fma_f32 v[0:1], v[104:105], v[0:1], v[2:3] op_sel_hi:[0,1,1] neg_lo:[0,0,1] neg_hi:[0,0,1]
	v_pk_fma_f32 v[26:27], v[112:113], v[214:215], v[26:27]
	v_pk_fma_f32 v[24:25], v[112:113], v[0:1], v[24:25]
	ds_read2_b32 v[112:113], v13 offset0:192 offset1:224
	ds_read_b128 v[0:3], v11 offset:6144
	ds_read_b128 v[4:7], v11 offset:6160
	v_mov_b32_e32 v114, 0
	v_mov_b32_e32 v217, 0
	;; [unrolled: 1-line block ×4, first 2 shown]
	s_waitcnt lgkmcnt(0)
	v_dot4c_i32_i8_e32 v114, v177, v4
	v_dot4c_i32_i8_e32 v114, v178, v5
	;; [unrolled: 1-line block ×4, first 2 shown]
	v_mov_b32_e32 v115, 0
	v_dot4c_i32_i8_e32 v217, v205, v0
	v_dot4c_i32_i8_e32 v219, v203, v0
	v_mul_lo_u32 v120, v114, v206
	v_mov_b32_e32 v114, 0
	v_dot4c_i32_i8_e32 v114, v191, v4
	v_dot4c_i32_i8_e32 v114, v192, v5
	;; [unrolled: 1-line block ×5, first 2 shown]
	v_mov_b32_e32 v216, 0
	v_dot4c_i32_i8_e32 v217, v205, v1
	v_mov_b32_e32 v218, 0
	v_dot4c_i32_i8_e32 v219, v203, v1
	v_dot4c_i32_i8_e32 v114, v194, v7
	v_mov_b32_e32 v215, 0
	v_dot4c_i32_i8_e32 v214, v176, v1
	v_mov_b32_e32 v213, 0
	v_dot4c_i32_i8_e32 v115, v190, v1
	v_dot4c_i32_i8_e32 v216, v187, v0
	;; [unrolled: 1-line block ×5, first 2 shown]
	v_mul_lo_u32 v118, v114, v212
	v_dot4c_i32_i8_e32 v215, v210, v0
	v_dot4c_i32_i8_e32 v214, v176, v2
	v_mov_b32_e32 v114, 0
	v_dot4c_i32_i8_e32 v213, v189, v0
	v_dot4c_i32_i8_e32 v115, v190, v2
	v_mov_b32_e32 v0, 0
	v_dot4c_i32_i8_e32 v217, v205, v3
	v_dot4c_i32_i8_e32 v219, v203, v3
	;; [unrolled: 1-line block ×38, first 2 shown]
	v_mul_lo_u32 v116, v114, v197
	v_dot4c_i32_i8_e32 v213, v183, v3
	v_dot4c_i32_i8_e32 v115, v207, v7
	v_mul_lo_u32 v114, v0, v208
	ds_read_b128 v[4:7], v11 offset:7168
	ds_read_b128 v[0:3], v11 offset:7184
	v_mov_b32_e32 v220, 0
	s_add_i32 s15, s15, 2
	s_add_i32 s16, s16, 2
	s_waitcnt lgkmcnt(1)
	v_dot4c_i32_i8_e32 v220, v187, v4
	v_mov_b32_e32 v187, 0
	v_dot4c_i32_i8_e32 v187, v205, v4
	v_dot4c_i32_i8_e32 v220, v184, v5
	;; [unrolled: 1-line block ×5, first 2 shown]
	v_mov_b32_e32 v185, 0
	v_dot4c_i32_i8_e32 v187, v205, v7
	s_waitcnt lgkmcnt(0)
	v_dot4c_i32_i8_e32 v185, v177, v0
	v_dot4c_i32_i8_e32 v187, v204, v0
	v_dot4c_i32_i8_e32 v185, v178, v1
	v_dot4c_i32_i8_e32 v220, v186, v7
	v_dot4c_i32_i8_e32 v187, v204, v1
	v_dot4c_i32_i8_e32 v185, v179, v2
	v_dot4c_i32_i8_e32 v187, v204, v2
	v_mul_lo_u32 v184, v220, v196
	v_dot4c_i32_i8_e32 v185, v180, v3
	v_dot4c_i32_i8_e32 v187, v204, v3
	v_mad_u64_u32 v[178:179], s[18:19], v216, v196, v[120:121]
	s_nop 0
	v_mad_u64_u32 v[184:185], s[18:19], v185, v206, v[184:185]
	v_cvt_f32_i32_e32 v179, v184
	v_cvt_f32_i32_e32 v185, v187
	v_cvt_f32_i32_e32 v184, v217
	v_cvt_f32_i32_e32 v178, v178
	v_mov_b32_e32 v120, 0
	v_dot4c_i32_i8_e32 v120, v191, v0
	v_pk_mul_f32 v[184:185], v[14:15], v[184:185] op_sel_hi:[0,1]
	v_mov_b32_e32 v14, 0
	v_dot4c_i32_i8_e32 v14, v203, v4
	v_pk_fma_f32 v[178:179], v[12:13], v[178:179], v[184:185] op_sel_hi:[0,1,1] neg_lo:[0,0,1] neg_hi:[0,0,1]
	v_mov_b32_e32 v12, 0
	v_dot4c_i32_i8_e32 v14, v203, v5
	v_dot4c_i32_i8_e32 v12, v201, v4
	;; [unrolled: 1-line block ×12, first 2 shown]
	v_mul_lo_u32 v12, v12, v209
	v_dot4c_i32_i8_e32 v120, v194, v3
	v_pk_fma_f32 v[22:23], v[112:113], v[178:179], v[22:23]
	v_dot4c_i32_i8_e32 v14, v211, v3
	v_mad_u64_u32 v[178:179], s[18:19], v218, v209, v[118:119]
	v_mad_u64_u32 v[184:185], s[18:19], v120, v212, v[12:13]
	v_cvt_f32_i32_e32 v179, v184
	v_cvt_f32_i32_e32 v185, v14
	;; [unrolled: 1-line block ×4, first 2 shown]
	v_mov_b32_e32 v12, 0
	v_dot4c_i32_i8_e32 v12, v210, v4
	v_pk_mul_f32 v[184:185], v[110:111], v[184:185] op_sel_hi:[0,1]
	v_pk_fma_f32 v[178:179], v[108:109], v[178:179], v[184:185] op_sel_hi:[0,1,1] neg_lo:[0,0,1] neg_hi:[0,0,1]
	v_mov_b32_e32 v108, 0
	v_dot4c_i32_i8_e32 v108, v176, v4
	v_dot4c_i32_i8_e32 v108, v176, v5
	;; [unrolled: 1-line block ×3, first 2 shown]
	v_mov_b32_e32 v110, 0
	v_dot4c_i32_i8_e32 v12, v122, v5
	v_dot4c_i32_i8_e32 v108, v176, v7
	v_dot4c_i32_i8_e32 v110, v15, v0
	v_dot4c_i32_i8_e32 v12, v123, v6
	v_dot4c_i32_i8_e32 v108, v195, v0
	v_dot4c_i32_i8_e32 v110, v117, v1
	v_dot4c_i32_i8_e32 v12, v171, v7
	v_dot4c_i32_i8_e32 v108, v195, v1
	v_dot4c_i32_i8_e32 v110, v119, v2
	v_dot4c_i32_i8_e32 v108, v195, v2
	v_mul_lo_u32 v12, v12, v188
	v_dot4c_i32_i8_e32 v110, v121, v3
	v_dot4c_i32_i8_e32 v108, v195, v3
	v_mad_u64_u32 v[14:15], s[18:19], v215, v188, v[116:117]
	s_nop 0
	v_mad_u64_u32 v[116:117], s[18:19], v110, v197, v[12:13]
	v_cvt_f32_i32_e32 v15, v116
	v_cvt_f32_i32_e32 v117, v108
	;; [unrolled: 1-line block ×4, first 2 shown]
	v_pk_fma_f32 v[20:21], v[112:113], v[178:179], v[20:21]
	v_add_u32_e32 v13, 4, v13
	v_pk_mul_f32 v[116:117], v[10:11], v[116:117] op_sel_hi:[0,1]
	v_mov_b32_e32 v10, 0
	v_pk_fma_f32 v[14:15], v[8:9], v[14:15], v[116:117] op_sel_hi:[0,1,1] neg_lo:[0,0,1] neg_hi:[0,0,1]
	v_mov_b32_e32 v8, 0
	v_dot4c_i32_i8_e32 v10, v190, v4
	v_dot4c_i32_i8_e32 v8, v189, v4
	;; [unrolled: 1-line block ×5, first 2 shown]
	v_mov_b32_e32 v5, 0
	v_dot4c_i32_i8_e32 v10, v190, v7
	v_dot4c_i32_i8_e32 v5, v172, v0
	;; [unrolled: 1-line block ×9, first 2 shown]
	v_mul_lo_u32 v4, v8, v202
	v_dot4c_i32_i8_e32 v5, v175, v3
	v_dot4c_i32_i8_e32 v10, v207, v3
	v_mad_u64_u32 v[0:1], s[18:19], v213, v202, v[114:115]
	s_nop 0
	v_mad_u64_u32 v[2:3], s[18:19], v5, v208, v[4:5]
	v_cvt_f32_i32_e32 v1, v2
	v_cvt_f32_i32_e32 v3, v10
	;; [unrolled: 1-line block ×4, first 2 shown]
	v_pk_fma_f32 v[18:19], v[112:113], v[14:15], v[18:19]
	v_add_u32_e32 v11, 32, v11
	v_pk_mul_f32 v[2:3], v[106:107], v[2:3] op_sel_hi:[0,1]
	v_pk_fma_f32 v[0:1], v[104:105], v[0:1], v[2:3] op_sel_hi:[0,1,1] neg_lo:[0,0,1] neg_hi:[0,0,1]
	v_pk_fma_f32 v[16:17], v[112:113], v[0:1], v[16:17]
	s_cmp_lt_u32 s17, 14
	s_cbranch_scc1 .LBB127_9
; %bb.10:                               ;   in Loop: Header=BB127_6 Depth=1
	s_or_b32 s15, s0, 1
	s_cmp_ge_i32 s15, s4
	s_barrier
	s_cbranch_scc1 .LBB127_5
; %bb.11:                               ;   in Loop: Header=BB127_6 Depth=1
	v_add_u32_e32 v8, s9, v144
	v_add_u32_e32 v0, v8, v97
	;; [unrolled: 1-line block ×9, first 2 shown]
	v_mad_i64_i32 v[112:113], s[16:17], v8, 36, v[100:101]
	v_add_u32_e32 v8, 8, v9
	v_mad_i64_i32 v[0:1], s[16:17], v0, 36, v[100:101]
	v_mad_i64_i32 v[2:3], s[16:17], v2, 36, v[100:101]
	;; [unrolled: 1-line block ×4, first 2 shown]
	v_mad_u64_u32 v[114:115], s[16:17], v8, 36, s[2:3]
	v_mad_i64_i32 v[10:11], s[16:17], v10, 36, v[100:101]
	v_mad_i64_i32 v[12:13], s[16:17], v12, 36, v[100:101]
	;; [unrolled: 1-line block ×3, first 2 shown]
	global_load_dword v8, v[114:115], off
	s_nop 0
	global_load_dword v0, v[0:1], off offset:4
	s_nop 0
	global_load_dword v1, v[2:3], off offset:4
	s_nop 0
	global_load_dword v2, v[4:5], off offset:4
	global_load_dword v3, v[6:7], off offset:4
	s_nop 0
	global_load_dword v4, v[10:11], off offset:4
	global_load_dword v5, v[12:13], off offset:4
	global_load_dword v6, v[14:15], off offset:4
	global_load_dword v7, v[112:113], off offset:4
	s_mov_b32 s15, 16
	s_mov_b32 s17, 14
	v_mov_b32_e32 v11, v160
	v_mov_b32_e32 v13, v159
	s_waitcnt vmcnt(8)
	v_cvt_f32_f16_e32 v8, v8
	s_waitcnt vmcnt(7)
	ds_write_b32 v105, v0
	s_waitcnt vmcnt(6)
	ds_write_b32 v109, v1
	s_waitcnt vmcnt(5)
	ds_write_b32 v124, v2
	s_waitcnt vmcnt(4)
	ds_write_b32 v126, v3
	s_waitcnt vmcnt(3)
	ds_write_b32 v128, v4
	s_waitcnt vmcnt(2)
	ds_write_b32 v130, v5
	s_waitcnt vmcnt(1)
	ds_write_b32 v132, v6
	s_waitcnt vmcnt(0)
	ds_write_b32 v134, v7
	ds_write_b32 v93, v8
	s_waitcnt lgkmcnt(0)
	s_barrier
.LBB127_12:                             ;   Parent Loop BB127_6 Depth=1
                                        ; =>  This Inner Loop Header: Depth=2
	s_add_i32 s16, s17, 2
	s_and_b32 s19, s16, 0x3ffffff8
	s_lshl_b32 s19, s19, 2
	v_add_u32_e32 v8, s19, v135
	ds_read2_b32 v[112:113], v13 offset1:32
	ds_read_b128 v[4:7], v11
	ds_read_b128 v[0:3], v11 offset:16
	ds_read2_b32 v[14:15], v8 offset1:1
	s_and_b32 s18, s15, -16
	v_add_u32_e32 v12, s18, v148
	s_add_i32 s18, s17, -14
	s_lshr_b32 s20, s16, 2
	s_waitcnt lgkmcnt(0)
	v_ashrrev_i32_e32 v10, s18, v14
	v_and_b32_e32 v186, 0x3030303, v10
	v_ashrrev_i32_e32 v10, s18, v15
	ds_read2_b32 v[14:15], v8 offset0:2 offset1:3
	v_and_b32_e32 v183, 0x3030303, v10
	s_and_b32 s20, s20, 0x3ffffffc
	v_mov_b32_e32 v203, 0
	v_mov_b32_e32 v205, 0
	s_waitcnt lgkmcnt(0)
	v_ashrrev_i32_e32 v10, s18, v14
	v_and_b32_e32 v184, 0x3030303, v10
	v_ashrrev_i32_e32 v10, s18, v15
	ds_read2_b32 v[14:15], v8 offset0:4 offset1:5
	v_and_b32_e32 v185, 0x3030303, v10
	v_mov_b32_e32 v213, 0
	v_mov_b32_e32 v217, 0
	;; [unrolled: 1-line block ×3, first 2 shown]
	s_waitcnt lgkmcnt(0)
	v_ashrrev_i32_e32 v10, s18, v14
	v_and_b32_e32 v179, 0x3030303, v10
	v_ashrrev_i32_e32 v10, s18, v15
	ds_read2_b32 v[14:15], v8 offset0:6 offset1:7
	v_and_b32_e32 v180, 0x3030303, v10
	v_add_u32_e32 v10, s20, v136
	v_mov_b32_e32 v204, 0
	v_mov_b32_e32 v211, 0
	s_waitcnt lgkmcnt(0)
	v_ashrrev_i32_e32 v8, s18, v14
	v_and_b32_e32 v181, 0x3030303, v8
	v_ashrrev_i32_e32 v8, s18, v15
	v_and_b32_e32 v182, 0x3030303, v8
	v_add3_u32 v8, v153, s17, v12
	ds_read_b32 v10, v10
	ds_read_u16 v114, v8 offset:25074
	v_mov_b32_e32 v216, 0
	v_dot4c_i32_i8_e32 v115, v186, v4
	v_mov_b32_e32 v208, 0
	s_waitcnt lgkmcnt(1)
	v_cvt_f32_f16_e32 v104, v10
	s_waitcnt lgkmcnt(0)
	v_bfe_u32 v8, v114, 4, 4
	v_mul_lo_u32 v192, v8, s1
	v_lshrrev_b32_sdwa v8, v169, v114 dst_sel:DWORD dst_unused:UNUSED_PAD src0_sel:DWORD src1_sel:BYTE_1
	v_mul_lo_u32 v199, v8, s1
	v_add_u32_e32 v8, s19, v137
	ds_read2_b32 v[14:15], v8 offset1:1
	v_cvt_f32_f16_sdwa v106, v10 dst_sel:DWORD dst_unused:UNUSED_PAD src0_sel:WORD_1
	v_dot4c_i32_i8_e32 v203, v192, v4
	v_dot4c_i32_i8_e32 v203, v192, v5
	;; [unrolled: 1-line block ×3, first 2 shown]
	s_waitcnt lgkmcnt(0)
	v_ashrrev_i32_e32 v10, s18, v14
	v_and_b32_e32 v196, 0x3030303, v10
	v_ashrrev_i32_e32 v10, s18, v15
	ds_read2_b32 v[14:15], v8 offset0:2 offset1:3
	v_and_b32_e32 v193, 0x3030303, v10
	v_dot4c_i32_i8_e32 v204, v196, v4
	v_dot4c_i32_i8_e32 v203, v192, v7
	v_mov_b32_e32 v214, 0
	s_waitcnt lgkmcnt(0)
	v_ashrrev_i32_e32 v10, s18, v14
	v_and_b32_e32 v194, 0x3030303, v10
	v_ashrrev_i32_e32 v10, s18, v15
	ds_read2_b32 v[14:15], v8 offset0:4 offset1:5
	v_and_b32_e32 v195, 0x3030303, v10
	v_mov_b32_e32 v215, 0
	v_mov_b32_e32 v218, 0
	v_dot4c_i32_i8_e32 v208, v179, v0
	s_waitcnt lgkmcnt(0)
	v_ashrrev_i32_e32 v10, s18, v14
	v_and_b32_e32 v188, 0x3030303, v10
	v_ashrrev_i32_e32 v10, s18, v15
	ds_read2_b32 v[14:15], v8 offset0:6 offset1:7
	v_and_b32_e32 v189, 0x3030303, v10
	v_add_u32_e32 v10, s20, v138
	v_dot4c_i32_i8_e32 v203, v199, v0
	v_dot4c_i32_i8_e32 v214, v188, v0
	s_waitcnt lgkmcnt(0)
	v_ashrrev_i32_e32 v8, s18, v14
	v_and_b32_e32 v190, 0x3030303, v8
	v_ashrrev_i32_e32 v8, s18, v15
	v_and_b32_e32 v191, 0x3030303, v8
	v_add3_u32 v8, v151, s17, v12
	ds_read_b32 v10, v10
	ds_read_u16 v202, v8 offset:26098
	v_dot4c_i32_i8_e32 v115, v183, v5
	v_dot4c_i32_i8_e32 v208, v180, v1
	;; [unrolled: 1-line block ×3, first 2 shown]
	s_waitcnt lgkmcnt(1)
	v_cvt_f32_f16_e32 v108, v10
	s_waitcnt lgkmcnt(0)
	v_bfe_u32 v8, v202, 4, 4
	v_mul_lo_u32 v198, v8, s1
	v_lshrrev_b32_sdwa v8, v169, v202 dst_sel:DWORD dst_unused:UNUSED_PAD src0_sel:DWORD src1_sel:BYTE_1
	v_mul_lo_u32 v201, v8, s1
	v_add_u32_e32 v8, s19, v139
	ds_read2_b32 v[14:15], v8 offset1:1
	ds_read2_b32 v[116:117], v8 offset0:4 offset1:5
	v_cvt_f32_f16_sdwa v110, v10 dst_sel:DWORD dst_unused:UNUSED_PAD src0_sel:WORD_1
	ds_read2_b32 v[122:123], v8 offset0:6 offset1:7
	v_dot4c_i32_i8_e32 v205, v198, v4
	s_waitcnt lgkmcnt(2)
	v_ashrrev_i32_e32 v10, s18, v14
	v_and_b32_e32 v200, 0x3030303, v10
	v_ashrrev_i32_e32 v10, s18, v15
	ds_read2_b32 v[14:15], v8 offset0:2 offset1:3
	v_and_b32_e32 v119, 0x3030303, v10
	s_waitcnt lgkmcnt(1)
	v_ashrrev_i32_e32 v8, s18, v122
	v_dot4c_i32_i8_e32 v205, v198, v5
	v_dot4c_i32_i8_e32 v205, v198, v6
	s_waitcnt lgkmcnt(0)
	v_ashrrev_i32_e32 v10, s18, v14
	v_and_b32_e32 v120, 0x3030303, v10
	v_ashrrev_i32_e32 v10, s18, v15
	v_and_b32_e32 v121, 0x3030303, v10
	;; [unrolled: 2-line block ×4, first 2 shown]
	v_and_b32_e32 v117, 0x3030303, v8
	v_ashrrev_i32_e32 v8, s18, v123
	v_add_u32_e32 v10, s20, v140
	v_add_u32_e32 v14, s19, v141
	v_and_b32_e32 v118, 0x3030303, v8
	v_add3_u32 v8, v149, s17, v12
	ds_read_b32 v10, v10
	ds_read_u16 v210, v8 offset:27122
	ds_read2_b32 v[122:123], v14 offset1:1
	ds_read2_b32 v[206:207], v14 offset0:6 offset1:7
	v_add3_u32 v12, v146, s17, v12
	v_dot4c_i32_i8_e32 v211, v200, v4
	s_waitcnt lgkmcnt(2)
	v_bfe_u32 v8, v210, 4, 4
	s_waitcnt lgkmcnt(1)
	v_ashrrev_i32_e32 v122, s18, v122
	v_and_b32_e32 v177, 0x3030303, v122
	v_ashrrev_i32_e32 v122, s18, v123
	v_and_b32_e32 v174, 0x3030303, v122
	ds_read2_b32 v[122:123], v14 offset0:2 offset1:3
	v_mul_lo_u32 v173, v8, s1
	v_dot4c_i32_i8_e32 v213, v173, v4
	v_dot4c_i32_i8_e32 v213, v173, v5
	;; [unrolled: 1-line block ×3, first 2 shown]
	s_waitcnt lgkmcnt(0)
	v_ashrrev_i32_e32 v122, s18, v122
	v_and_b32_e32 v175, 0x3030303, v122
	v_ashrrev_i32_e32 v122, s18, v123
	v_and_b32_e32 v176, 0x3030303, v122
	ds_read2_b32 v[122:123], v14 offset0:4 offset1:5
	v_ashrrev_i32_e32 v14, s18, v206
	v_and_b32_e32 v171, 0x3030303, v14
	v_ashrrev_i32_e32 v14, s18, v207
	v_and_b32_e32 v172, 0x3030303, v14
	v_add_u32_e32 v14, s20, v142
	ds_read_b32 v14, v14
	ds_read_u16 v212, v12 offset:28146
	v_lshrrev_b32_sdwa v8, v169, v210 dst_sel:DWORD dst_unused:UNUSED_PAD src0_sel:DWORD src1_sel:BYTE_1
	s_waitcnt lgkmcnt(2)
	v_ashrrev_i32_e32 v122, s18, v122
	v_dot4c_i32_i8_e32 v216, v177, v4
	v_dot4c_i32_i8_e32 v205, v198, v7
	s_waitcnt lgkmcnt(0)
	v_bfe_u32 v12, v212, 4, 4
	v_mul_lo_u32 v178, v12, s1
	v_dot4c_i32_i8_e32 v217, v178, v4
	v_dot4c_i32_i8_e32 v217, v178, v5
	;; [unrolled: 1-line block ×3, first 2 shown]
	v_lshrrev_b32_sdwa v4, v169, v212 dst_sel:DWORD dst_unused:UNUSED_PAD src0_sel:DWORD src1_sel:BYTE_1
	v_dot4c_i32_i8_e32 v213, v173, v7
	v_mul_lo_u32 v187, v8, s1
	v_and_b32_e32 v122, 0x3030303, v122
	v_ashrrev_i32_e32 v123, s18, v123
	v_dot4c_i32_i8_e32 v217, v178, v7
	v_mul_lo_u32 v197, v4, s1
	v_dot4c_i32_i8_e32 v205, v201, v0
	v_dot4c_i32_i8_e32 v215, v15, v0
	;; [unrolled: 1-line block ×3, first 2 shown]
	v_and_b32_e32 v123, 0x3030303, v123
	v_dot4c_i32_i8_e32 v218, v122, v0
	v_dot4c_i32_i8_e32 v217, v197, v0
	;; [unrolled: 1-line block ×35, first 2 shown]
	ds_read_b128 v[4:7], v11 offset:1024
	ds_read_b128 v[0:3], v11 offset:1040
	v_mov_b32_e32 v219, 0
	v_mov_b32_e32 v209, 0
	;; [unrolled: 1-line block ×3, first 2 shown]
	s_waitcnt lgkmcnt(1)
	v_dot4c_i32_i8_e32 v219, v192, v4
	v_dot4c_i32_i8_e32 v219, v192, v5
	;; [unrolled: 1-line block ×6, first 2 shown]
	s_waitcnt lgkmcnt(0)
	v_dot4c_i32_i8_e32 v220, v179, v0
	v_dot4c_i32_i8_e32 v209, v184, v6
	;; [unrolled: 1-line block ×7, first 2 shown]
	v_and_b32_e32 v207, 15, v114
	v_and_b32_sdwa v206, v114, v170 dst_sel:DWORD dst_unused:UNUSED_PAD src0_sel:BYTE_1 src1_sel:DWORD
	v_dot4c_i32_i8_e32 v219, v199, v2
	v_dot4c_i32_i8_e32 v220, v182, v3
	v_mul_lo_u32 v114, v206, v208
	v_mul_lo_u32 v208, v207, v209
                                        ; kill: def $vgpr209 killed $sgpr0 killed $exec
	v_dot4c_i32_i8_e32 v219, v199, v3
	v_mad_u64_u32 v[208:209], s[18:19], v206, v220, v[208:209]
	v_mad_u64_u32 v[114:115], s[18:19], v207, v115, v[114:115]
	v_cvt_f32_i32_e32 v115, v114
	v_cvt_f32_i32_e32 v114, v208
	;; [unrolled: 1-line block ×4, first 2 shown]
	v_mov_b32_e32 v219, 0
	v_dot4c_i32_i8_e32 v219, v198, v4
	v_dot4c_i32_i8_e32 v219, v198, v5
	v_pk_mul_f32 v[208:209], v[106:107], v[208:209] op_sel_hi:[0,1]
	v_pk_fma_f32 v[208:209], v[104:105], v[114:115], v[208:209] op_sel_hi:[0,1,1] neg_lo:[0,0,1] neg_hi:[0,0,1]
	v_mov_b32_e32 v114, v113
	v_mov_b32_e32 v113, 0
	v_dot4c_i32_i8_e32 v113, v196, v4
	v_dot4c_i32_i8_e32 v219, v198, v6
	v_mov_b32_e32 v203, 0
	v_dot4c_i32_i8_e32 v113, v193, v5
	v_dot4c_i32_i8_e32 v219, v198, v7
	;; [unrolled: 1-line block ×3, first 2 shown]
	v_mov_b32_e32 v115, v112
	v_dot4c_i32_i8_e32 v113, v194, v6
	v_dot4c_i32_i8_e32 v219, v201, v0
	;; [unrolled: 1-line block ×3, first 2 shown]
	v_pk_fma_f32 v[88:89], v[114:115], v[208:209], v[88:89]
	v_dot4c_i32_i8_e32 v113, v195, v7
	v_dot4c_i32_i8_e32 v219, v201, v1
	v_dot4c_i32_i8_e32 v203, v190, v2
	v_and_b32_e32 v209, 15, v202
	v_and_b32_sdwa v208, v202, v170 dst_sel:DWORD dst_unused:UNUSED_PAD src0_sel:BYTE_1 src1_sel:DWORD
	v_dot4c_i32_i8_e32 v219, v201, v2
	v_dot4c_i32_i8_e32 v203, v191, v3
	v_mul_lo_u32 v112, v208, v214
	v_mul_lo_u32 v202, v209, v113
                                        ; kill: def $vgpr113 killed $sgpr0 killed $exec
	v_dot4c_i32_i8_e32 v219, v201, v3
	v_mad_u64_u32 v[202:203], s[18:19], v208, v203, v[202:203]
	v_mad_u64_u32 v[112:113], s[18:19], v209, v204, v[112:113]
	v_cvt_f32_i32_e32 v113, v112
	v_cvt_f32_i32_e32 v112, v202
	v_cvt_f32_i32_e32 v203, v205
	v_cvt_f32_i32_e32 v202, v219
	v_mov_b32_e32 v214, 0
	v_dot4c_i32_i8_e32 v214, v173, v4
	v_dot4c_i32_i8_e32 v214, v173, v5
	v_pk_mul_f32 v[202:203], v[110:111], v[202:203] op_sel_hi:[0,1]
	v_pk_fma_f32 v[112:113], v[108:109], v[112:113], v[202:203] op_sel_hi:[0,1,1] neg_lo:[0,0,1] neg_hi:[0,0,1]
	v_pk_fma_f32 v[98:99], v[114:115], v[112:113], v[98:99]
	v_mov_b32_e32 v113, 0
	v_dot4c_i32_i8_e32 v113, v200, v4
	v_dot4c_i32_i8_e32 v214, v173, v6
	v_mov_b32_e32 v203, 0
	v_dot4c_i32_i8_e32 v113, v119, v5
	v_dot4c_i32_i8_e32 v214, v173, v7
	;; [unrolled: 1-line block ×9, first 2 shown]
	v_and_b32_e32 v205, 15, v210
	v_and_b32_sdwa v204, v210, v170 dst_sel:DWORD dst_unused:UNUSED_PAD src0_sel:BYTE_1 src1_sel:DWORD
	v_dot4c_i32_i8_e32 v214, v187, v2
	v_dot4c_i32_i8_e32 v203, v118, v3
	v_mul_lo_u32 v112, v204, v215
	v_mul_lo_u32 v202, v205, v113
                                        ; kill: def $vgpr113 killed $sgpr0 killed $exec
	v_dot4c_i32_i8_e32 v214, v187, v3
	v_mad_u64_u32 v[202:203], s[18:19], v204, v203, v[202:203]
	v_mad_u64_u32 v[112:113], s[18:19], v205, v211, v[112:113]
	v_cvt_f32_f16_e32 v8, v10
	v_cvt_f32_f16_sdwa v10, v10 dst_sel:DWORD dst_unused:UNUSED_PAD src0_sel:WORD_1
	v_cvt_f32_i32_e32 v113, v112
	v_cvt_f32_i32_e32 v112, v202
	;; [unrolled: 1-line block ×4, first 2 shown]
	v_cvt_f32_f16_e32 v12, v14
	v_cvt_f32_f16_sdwa v14, v14 dst_sel:DWORD dst_unused:UNUSED_PAD src0_sel:WORD_1
	v_mov_b32_e32 v214, 0
	v_pk_mul_f32 v[202:203], v[10:11], v[202:203] op_sel_hi:[0,1]
	v_pk_fma_f32 v[112:113], v[8:9], v[112:113], v[202:203] op_sel_hi:[0,1,1] neg_lo:[0,0,1] neg_hi:[0,0,1]
	v_pk_fma_f32 v[94:95], v[114:115], v[112:113], v[94:95]
	v_mov_b32_e32 v113, 0
	v_dot4c_i32_i8_e32 v113, v178, v4
	v_mov_b32_e32 v112, 0
	v_dot4c_i32_i8_e32 v113, v178, v5
	v_dot4c_i32_i8_e32 v112, v177, v4
	;; [unrolled: 1-line block ×3, first 2 shown]
	v_mov_b32_e32 v4, 0
	v_dot4c_i32_i8_e32 v112, v174, v5
	v_dot4c_i32_i8_e32 v113, v178, v7
	;; [unrolled: 1-line block ×9, first 2 shown]
	v_and_b32_e32 v203, 15, v212
	v_and_b32_sdwa v202, v212, v170 dst_sel:DWORD dst_unused:UNUSED_PAD src0_sel:BYTE_1 src1_sel:DWORD
	v_dot4c_i32_i8_e32 v113, v197, v2
	v_dot4c_i32_i8_e32 v4, v172, v3
	v_mul_lo_u32 v0, v202, v218
	v_mul_lo_u32 v2, v203, v112
                                        ; kill: def $vgpr1 killed $sgpr0 killed $exec
	v_dot4c_i32_i8_e32 v113, v197, v3
	v_mad_u64_u32 v[2:3], s[18:19], v202, v4, v[2:3]
	v_mad_u64_u32 v[0:1], s[18:19], v203, v216, v[0:1]
	v_cvt_f32_i32_e32 v1, v0
	v_cvt_f32_i32_e32 v0, v2
	;; [unrolled: 1-line block ×4, first 2 shown]
	v_mov_b32_e32 v212, 0
	v_mov_b32_e32 v217, 0
	;; [unrolled: 1-line block ×3, first 2 shown]
	v_pk_mul_f32 v[2:3], v[14:15], v[2:3] op_sel_hi:[0,1]
	v_pk_fma_f32 v[0:1], v[12:13], v[0:1], v[2:3] op_sel_hi:[0,1,1] neg_lo:[0,0,1] neg_hi:[0,0,1]
	v_pk_fma_f32 v[86:87], v[114:115], v[0:1], v[86:87]
	ds_read2_b32 v[112:113], v13 offset0:64 offset1:96
	ds_read_b128 v[0:3], v11 offset:2048
	ds_read_b128 v[4:7], v11 offset:2064
	v_mov_b32_e32 v115, 0
	v_mov_b32_e32 v210, 0
	;; [unrolled: 1-line block ×3, first 2 shown]
	s_waitcnt lgkmcnt(1)
	v_dot4c_i32_i8_e32 v212, v192, v0
	v_dot4c_i32_i8_e32 v214, v198, v0
	;; [unrolled: 1-line block ×14, first 2 shown]
	v_mov_b32_e32 v215, 0
	v_mov_b32_e32 v216, 0
	v_dot4c_i32_i8_e32 v217, v173, v3
	v_mov_b32_e32 v218, 0
	v_mov_b32_e32 v219, 0
	v_dot4c_i32_i8_e32 v220, v178, v3
	v_mov_b32_e32 v221, 0
	v_dot4c_i32_i8_e32 v115, v186, v0
	s_waitcnt lgkmcnt(0)
	v_dot4c_i32_i8_e32 v210, v179, v4
	v_dot4c_i32_i8_e32 v212, v199, v4
	;; [unrolled: 1-line block ×47, first 2 shown]
	ds_read_b128 v[4:7], v11 offset:3072
	ds_read_b128 v[0:3], v11 offset:3088
	v_mov_b32_e32 v222, 0
	v_mov_b32_e32 v114, 0
	;; [unrolled: 1-line block ×3, first 2 shown]
	s_waitcnt lgkmcnt(1)
	v_dot4c_i32_i8_e32 v222, v192, v4
	v_dot4c_i32_i8_e32 v222, v192, v5
	;; [unrolled: 1-line block ×6, first 2 shown]
	s_waitcnt lgkmcnt(0)
	v_dot4c_i32_i8_e32 v223, v179, v0
	v_dot4c_i32_i8_e32 v114, v184, v6
	;; [unrolled: 1-line block ×7, first 2 shown]
	v_mul_lo_u32 v210, v210, v206
                                        ; kill: def $vgpr211 killed $sgpr0 killed $exec
	v_dot4c_i32_i8_e32 v222, v199, v2
	v_dot4c_i32_i8_e32 v223, v182, v3
	v_mul_lo_u32 v114, v114, v207
	v_mad_u64_u32 v[210:211], s[18:19], v115, v207, v[210:211]
                                        ; kill: def $vgpr115 killed $sgpr0 killed $exec
	v_dot4c_i32_i8_e32 v222, v199, v3
	v_mad_u64_u32 v[114:115], s[18:19], v223, v206, v[114:115]
	v_cvt_f32_i32_e32 v115, v114
	v_cvt_f32_i32_e32 v114, v210
	;; [unrolled: 1-line block ×4, first 2 shown]
	v_mov_b32_e32 v212, 0
	v_dot4c_i32_i8_e32 v212, v198, v4
	v_dot4c_i32_i8_e32 v212, v198, v5
	v_pk_mul_f32 v[210:211], v[106:107], v[210:211] op_sel_hi:[0,1]
	v_pk_fma_f32 v[114:115], v[104:105], v[114:115], v[210:211] op_sel_hi:[0,1,1] neg_lo:[0,0,1] neg_hi:[0,0,1]
	v_pk_fma_f32 v[38:39], v[112:113], v[114:115], v[38:39]
	v_mov_b32_e32 v114, 0
	v_dot4c_i32_i8_e32 v114, v196, v4
	v_dot4c_i32_i8_e32 v212, v198, v6
	v_mov_b32_e32 v115, 0
	v_dot4c_i32_i8_e32 v114, v193, v5
	v_dot4c_i32_i8_e32 v212, v198, v7
	;; [unrolled: 1-line block ×11, first 2 shown]
	v_mul_lo_u32 v114, v114, v209
	v_mul_lo_u32 v210, v215, v208
                                        ; kill: def $vgpr211 killed $sgpr0 killed $exec
	v_dot4c_i32_i8_e32 v212, v201, v3
	v_mad_u64_u32 v[210:211], s[18:19], v213, v209, v[210:211]
	v_mad_u64_u32 v[114:115], s[18:19], v115, v208, v[114:115]
	v_cvt_f32_i32_e32 v115, v114
	v_cvt_f32_i32_e32 v114, v210
	;; [unrolled: 1-line block ×4, first 2 shown]
	v_mov_b32_e32 v212, 0
	v_dot4c_i32_i8_e32 v212, v173, v4
	v_dot4c_i32_i8_e32 v212, v173, v5
	v_pk_mul_f32 v[210:211], v[110:111], v[210:211] op_sel_hi:[0,1]
	v_pk_fma_f32 v[114:115], v[108:109], v[114:115], v[210:211] op_sel_hi:[0,1,1] neg_lo:[0,0,1] neg_hi:[0,0,1]
	v_pk_fma_f32 v[36:37], v[112:113], v[114:115], v[36:37]
	v_mov_b32_e32 v114, 0
	v_dot4c_i32_i8_e32 v114, v200, v4
	v_dot4c_i32_i8_e32 v212, v173, v6
	v_mov_b32_e32 v115, 0
	v_dot4c_i32_i8_e32 v114, v119, v5
	v_dot4c_i32_i8_e32 v212, v173, v7
	;; [unrolled: 1-line block ×11, first 2 shown]
	v_mul_lo_u32 v114, v114, v205
	v_mul_lo_u32 v210, v218, v204
                                        ; kill: def $vgpr211 killed $sgpr0 killed $exec
	v_dot4c_i32_i8_e32 v212, v187, v3
	v_mad_u64_u32 v[210:211], s[18:19], v216, v205, v[210:211]
	v_mad_u64_u32 v[114:115], s[18:19], v115, v204, v[114:115]
	v_cvt_f32_i32_e32 v115, v114
	v_cvt_f32_i32_e32 v114, v210
	;; [unrolled: 1-line block ×4, first 2 shown]
	v_mov_b32_e32 v212, 0
	v_mov_b32_e32 v214, 0
	;; [unrolled: 1-line block ×3, first 2 shown]
	v_pk_mul_f32 v[210:211], v[10:11], v[210:211] op_sel_hi:[0,1]
	v_pk_fma_f32 v[114:115], v[8:9], v[114:115], v[210:211] op_sel_hi:[0,1,1] neg_lo:[0,0,1] neg_hi:[0,0,1]
	v_pk_fma_f32 v[34:35], v[112:113], v[114:115], v[34:35]
	v_mov_b32_e32 v115, 0
	v_dot4c_i32_i8_e32 v115, v178, v4
	v_mov_b32_e32 v114, 0
	v_dot4c_i32_i8_e32 v115, v178, v5
	v_dot4c_i32_i8_e32 v114, v177, v4
	;; [unrolled: 1-line block ×3, first 2 shown]
	v_mov_b32_e32 v4, 0
	v_dot4c_i32_i8_e32 v114, v174, v5
	v_dot4c_i32_i8_e32 v115, v178, v7
	;; [unrolled: 1-line block ×11, first 2 shown]
	v_mul_lo_u32 v0, v114, v203
	v_mul_lo_u32 v2, v221, v202
                                        ; kill: def $vgpr1 killed $sgpr0 killed $exec
	v_dot4c_i32_i8_e32 v115, v197, v3
	v_mad_u64_u32 v[2:3], s[18:19], v219, v203, v[2:3]
	v_mad_u64_u32 v[0:1], s[18:19], v4, v202, v[0:1]
	v_cvt_f32_i32_e32 v1, v0
	v_cvt_f32_i32_e32 v0, v2
	;; [unrolled: 1-line block ×4, first 2 shown]
	v_mov_b32_e32 v220, 0
	v_mov_b32_e32 v115, 0
	;; [unrolled: 1-line block ×3, first 2 shown]
	v_pk_mul_f32 v[2:3], v[14:15], v[2:3] op_sel_hi:[0,1]
	v_pk_fma_f32 v[0:1], v[12:13], v[0:1], v[2:3] op_sel_hi:[0,1,1] neg_lo:[0,0,1] neg_hi:[0,0,1]
	v_pk_fma_f32 v[32:33], v[112:113], v[0:1], v[32:33]
	ds_read2_b32 v[112:113], v13 offset0:128 offset1:160
	ds_read_b128 v[0:3], v11 offset:4096
	ds_read_b128 v[4:7], v11 offset:4112
	v_mov_b32_e32 v213, 0
	v_mov_b32_e32 v215, 0
	;; [unrolled: 1-line block ×3, first 2 shown]
	s_waitcnt lgkmcnt(1)
	v_dot4c_i32_i8_e32 v212, v192, v0
	v_dot4c_i32_i8_e32 v214, v198, v0
	;; [unrolled: 1-line block ×15, first 2 shown]
	v_mov_b32_e32 v218, 0
	v_mov_b32_e32 v219, 0
	v_dot4c_i32_i8_e32 v220, v178, v3
	v_mov_b32_e32 v221, 0
	v_dot4c_i32_i8_e32 v115, v186, v0
	s_waitcnt lgkmcnt(0)
	v_dot4c_i32_i8_e32 v210, v179, v4
	v_dot4c_i32_i8_e32 v212, v199, v4
	;; [unrolled: 1-line block ×47, first 2 shown]
	ds_read_b128 v[4:7], v11 offset:5120
	ds_read_b128 v[0:3], v11 offset:5136
	v_mov_b32_e32 v222, 0
	v_mov_b32_e32 v114, 0
	;; [unrolled: 1-line block ×3, first 2 shown]
	s_waitcnt lgkmcnt(1)
	v_dot4c_i32_i8_e32 v222, v192, v4
	v_dot4c_i32_i8_e32 v222, v192, v5
	;; [unrolled: 1-line block ×6, first 2 shown]
	s_waitcnt lgkmcnt(0)
	v_dot4c_i32_i8_e32 v223, v179, v0
	v_dot4c_i32_i8_e32 v114, v184, v6
	;; [unrolled: 1-line block ×7, first 2 shown]
	v_mul_lo_u32 v210, v210, v206
                                        ; kill: def $vgpr211 killed $sgpr0 killed $exec
	v_dot4c_i32_i8_e32 v222, v199, v2
	v_dot4c_i32_i8_e32 v223, v182, v3
	v_mul_lo_u32 v114, v114, v207
	v_mad_u64_u32 v[210:211], s[18:19], v115, v207, v[210:211]
                                        ; kill: def $vgpr115 killed $sgpr0 killed $exec
	v_dot4c_i32_i8_e32 v222, v199, v3
	v_mad_u64_u32 v[114:115], s[18:19], v223, v206, v[114:115]
	v_cvt_f32_i32_e32 v115, v114
	v_cvt_f32_i32_e32 v114, v210
	;; [unrolled: 1-line block ×4, first 2 shown]
	v_mov_b32_e32 v212, 0
	v_dot4c_i32_i8_e32 v212, v198, v4
	v_dot4c_i32_i8_e32 v212, v198, v5
	v_pk_mul_f32 v[210:211], v[106:107], v[210:211] op_sel_hi:[0,1]
	v_pk_fma_f32 v[114:115], v[104:105], v[114:115], v[210:211] op_sel_hi:[0,1,1] neg_lo:[0,0,1] neg_hi:[0,0,1]
	v_pk_fma_f32 v[30:31], v[112:113], v[114:115], v[30:31]
	v_mov_b32_e32 v114, 0
	v_dot4c_i32_i8_e32 v114, v196, v4
	v_dot4c_i32_i8_e32 v212, v198, v6
	v_mov_b32_e32 v115, 0
	v_dot4c_i32_i8_e32 v114, v193, v5
	v_dot4c_i32_i8_e32 v212, v198, v7
	;; [unrolled: 1-line block ×11, first 2 shown]
	v_mul_lo_u32 v114, v114, v209
	v_mul_lo_u32 v210, v215, v208
                                        ; kill: def $vgpr211 killed $sgpr0 killed $exec
	v_dot4c_i32_i8_e32 v212, v201, v3
	v_mad_u64_u32 v[210:211], s[18:19], v213, v209, v[210:211]
	v_mad_u64_u32 v[114:115], s[18:19], v115, v208, v[114:115]
	v_cvt_f32_i32_e32 v115, v114
	v_cvt_f32_i32_e32 v114, v210
	;; [unrolled: 1-line block ×4, first 2 shown]
	v_mov_b32_e32 v212, 0
	v_dot4c_i32_i8_e32 v212, v173, v4
	v_dot4c_i32_i8_e32 v212, v173, v5
	v_pk_mul_f32 v[210:211], v[110:111], v[210:211] op_sel_hi:[0,1]
	v_pk_fma_f32 v[114:115], v[108:109], v[114:115], v[210:211] op_sel_hi:[0,1,1] neg_lo:[0,0,1] neg_hi:[0,0,1]
	v_pk_fma_f32 v[28:29], v[112:113], v[114:115], v[28:29]
	v_mov_b32_e32 v114, 0
	v_dot4c_i32_i8_e32 v114, v200, v4
	v_dot4c_i32_i8_e32 v212, v173, v6
	v_mov_b32_e32 v115, 0
	v_dot4c_i32_i8_e32 v114, v119, v5
	v_dot4c_i32_i8_e32 v212, v173, v7
	;; [unrolled: 1-line block ×11, first 2 shown]
	v_mul_lo_u32 v114, v114, v205
	v_mul_lo_u32 v210, v218, v204
                                        ; kill: def $vgpr211 killed $sgpr0 killed $exec
	v_dot4c_i32_i8_e32 v212, v187, v3
	v_mad_u64_u32 v[210:211], s[18:19], v216, v205, v[210:211]
	v_mad_u64_u32 v[114:115], s[18:19], v115, v204, v[114:115]
	v_cvt_f32_i32_e32 v115, v114
	v_cvt_f32_i32_e32 v114, v210
	v_cvt_f32_i32_e32 v211, v212
	v_cvt_f32_i32_e32 v210, v217
	v_mov_b32_e32 v214, 0
	v_mov_b32_e32 v217, 0
	;; [unrolled: 1-line block ×3, first 2 shown]
	v_pk_mul_f32 v[210:211], v[10:11], v[210:211] op_sel_hi:[0,1]
	v_pk_fma_f32 v[114:115], v[8:9], v[114:115], v[210:211] op_sel_hi:[0,1,1] neg_lo:[0,0,1] neg_hi:[0,0,1]
	v_pk_fma_f32 v[26:27], v[112:113], v[114:115], v[26:27]
	v_mov_b32_e32 v115, 0
	v_dot4c_i32_i8_e32 v115, v178, v4
	v_mov_b32_e32 v114, 0
	v_dot4c_i32_i8_e32 v115, v178, v5
	v_dot4c_i32_i8_e32 v114, v177, v4
	;; [unrolled: 1-line block ×3, first 2 shown]
	v_mov_b32_e32 v4, 0
	v_dot4c_i32_i8_e32 v114, v174, v5
	v_dot4c_i32_i8_e32 v115, v178, v7
	;; [unrolled: 1-line block ×11, first 2 shown]
	v_mul_lo_u32 v0, v114, v203
	v_mul_lo_u32 v2, v221, v202
                                        ; kill: def $vgpr1 killed $sgpr0 killed $exec
	v_dot4c_i32_i8_e32 v115, v197, v3
	v_mad_u64_u32 v[2:3], s[18:19], v219, v203, v[2:3]
	v_mad_u64_u32 v[0:1], s[18:19], v4, v202, v[0:1]
	v_cvt_f32_i32_e32 v1, v0
	v_cvt_f32_i32_e32 v0, v2
	;; [unrolled: 1-line block ×4, first 2 shown]
	v_mov_b32_e32 v210, 0
	v_mov_b32_e32 v114, 0
	;; [unrolled: 1-line block ×3, first 2 shown]
	v_pk_mul_f32 v[2:3], v[14:15], v[2:3] op_sel_hi:[0,1]
	v_pk_fma_f32 v[0:1], v[12:13], v[0:1], v[2:3] op_sel_hi:[0,1,1] neg_lo:[0,0,1] neg_hi:[0,0,1]
	v_pk_fma_f32 v[24:25], v[112:113], v[0:1], v[24:25]
	ds_read2_b32 v[112:113], v13 offset0:192 offset1:224
	ds_read_b128 v[0:3], v11 offset:6144
	ds_read_b128 v[4:7], v11 offset:6160
	v_mov_b32_e32 v216, 0
	v_mov_b32_e32 v218, 0
	;; [unrolled: 1-line block ×3, first 2 shown]
	s_waitcnt lgkmcnt(1)
	v_dot4c_i32_i8_e32 v214, v192, v0
	v_dot4c_i32_i8_e32 v217, v198, v0
	;; [unrolled: 1-line block ×15, first 2 shown]
	v_mov_b32_e32 v219, 0
	v_mov_b32_e32 v115, 0
	v_dot4c_i32_i8_e32 v114, v178, v3
	v_mov_b32_e32 v211, 0
	v_dot4c_i32_i8_e32 v213, v186, v0
	s_waitcnt lgkmcnt(0)
	v_dot4c_i32_i8_e32 v215, v179, v4
	v_dot4c_i32_i8_e32 v214, v199, v4
	;; [unrolled: 1-line block ×47, first 2 shown]
	ds_read_b128 v[4:7], v11 offset:7168
	ds_read_b128 v[0:3], v11 offset:7184
	v_mov_b32_e32 v220, 0
	s_add_i32 s15, s15, 2
	s_cmp_lt_u32 s16, 22
	s_waitcnt lgkmcnt(1)
	v_dot4c_i32_i8_e32 v220, v186, v4
	v_mov_b32_e32 v186, 0
	v_dot4c_i32_i8_e32 v186, v192, v4
	v_dot4c_i32_i8_e32 v220, v183, v5
	;; [unrolled: 1-line block ×5, first 2 shown]
	v_mov_b32_e32 v184, 0
	v_dot4c_i32_i8_e32 v186, v192, v7
	s_waitcnt lgkmcnt(0)
	v_dot4c_i32_i8_e32 v184, v179, v0
	v_dot4c_i32_i8_e32 v186, v199, v0
	;; [unrolled: 1-line block ×8, first 2 shown]
	v_mul_lo_u32 v180, v220, v207
	v_mul_lo_u32 v182, v215, v206
	v_dot4c_i32_i8_e32 v186, v199, v3
	v_mad_u64_u32 v[182:183], s[18:19], v213, v207, v[182:183]
	v_mad_u64_u32 v[180:181], s[18:19], v184, v206, v[180:181]
	v_cvt_f32_i32_e32 v181, v180
	v_cvt_f32_i32_e32 v180, v182
	;; [unrolled: 1-line block ×4, first 2 shown]
	v_mov_b32_e32 v179, 0
	v_dot4c_i32_i8_e32 v179, v198, v4
	v_dot4c_i32_i8_e32 v179, v198, v5
	v_pk_mul_f32 v[182:183], v[106:107], v[182:183] op_sel_hi:[0,1]
	v_pk_fma_f32 v[180:181], v[104:105], v[180:181], v[182:183] op_sel_hi:[0,1,1] neg_lo:[0,0,1] neg_hi:[0,0,1]
	v_mov_b32_e32 v104, 0
	v_dot4c_i32_i8_e32 v104, v196, v4
	v_dot4c_i32_i8_e32 v179, v198, v6
	v_mov_b32_e32 v182, 0
	v_dot4c_i32_i8_e32 v104, v193, v5
	v_dot4c_i32_i8_e32 v179, v198, v7
	;; [unrolled: 1-line block ×11, first 2 shown]
	v_mul_lo_u32 v104, v104, v209
	v_mul_lo_u32 v106, v218, v208
	v_pk_fma_f32 v[22:23], v[112:113], v[180:181], v[22:23]
	v_dot4c_i32_i8_e32 v179, v201, v3
	v_mad_u64_u32 v[180:181], s[18:19], v216, v209, v[106:107]
	v_mad_u64_u32 v[182:183], s[18:19], v182, v208, v[104:105]
	v_cvt_f32_i32_e32 v181, v182
	v_cvt_f32_i32_e32 v183, v179
	;; [unrolled: 1-line block ×4, first 2 shown]
	v_mov_b32_e32 v104, 0
	v_dot4c_i32_i8_e32 v104, v200, v4
	v_pk_mul_f32 v[182:183], v[110:111], v[182:183] op_sel_hi:[0,1]
	v_pk_fma_f32 v[180:181], v[108:109], v[180:181], v[182:183] op_sel_hi:[0,1,1] neg_lo:[0,0,1] neg_hi:[0,0,1]
	v_mov_b32_e32 v108, 0
	v_dot4c_i32_i8_e32 v108, v173, v4
	v_dot4c_i32_i8_e32 v108, v173, v5
	;; [unrolled: 1-line block ×3, first 2 shown]
	v_mov_b32_e32 v110, 0
	v_dot4c_i32_i8_e32 v104, v119, v5
	v_dot4c_i32_i8_e32 v108, v173, v7
	;; [unrolled: 1-line block ×11, first 2 shown]
	v_mul_lo_u32 v104, v104, v205
	v_mul_lo_u32 v106, v219, v204
	v_dot4c_i32_i8_e32 v108, v187, v3
	v_mad_u64_u32 v[116:117], s[18:19], v212, v205, v[106:107]
	v_mad_u64_u32 v[118:119], s[18:19], v110, v204, v[104:105]
	v_cvt_f32_i32_e32 v117, v118
	v_cvt_f32_i32_e32 v119, v108
	;; [unrolled: 1-line block ×4, first 2 shown]
                                        ; kill: def $vgpr15 killed $sgpr0 killed $exec
	v_pk_fma_f32 v[20:21], v[112:113], v[180:181], v[20:21]
	s_mov_b32 s17, s16
	v_pk_mul_f32 v[118:119], v[10:11], v[118:119] op_sel_hi:[0,1]
	v_mov_b32_e32 v10, 0
	v_dot4c_i32_i8_e32 v10, v178, v4
	v_pk_fma_f32 v[116:117], v[8:9], v[116:117], v[118:119] op_sel_hi:[0,1,1] neg_lo:[0,0,1] neg_hi:[0,0,1]
	v_mov_b32_e32 v8, 0
	v_dot4c_i32_i8_e32 v10, v178, v5
	v_dot4c_i32_i8_e32 v8, v177, v4
	v_dot4c_i32_i8_e32 v10, v178, v6
	v_mov_b32_e32 v4, 0
	v_dot4c_i32_i8_e32 v8, v174, v5
	v_dot4c_i32_i8_e32 v10, v178, v7
	;; [unrolled: 1-line block ×11, first 2 shown]
	v_mul_lo_u32 v0, v8, v203
	v_mul_lo_u32 v2, v211, v202
                                        ; kill: def $vgpr1 killed $sgpr0 killed $exec
	v_dot4c_i32_i8_e32 v10, v197, v3
	v_mad_u64_u32 v[2:3], s[18:19], v115, v203, v[2:3]
	v_mad_u64_u32 v[0:1], s[18:19], v4, v202, v[0:1]
	v_cvt_f32_i32_e32 v1, v0
	v_cvt_f32_i32_e32 v0, v2
	;; [unrolled: 1-line block ×4, first 2 shown]
	v_pk_fma_f32 v[18:19], v[112:113], v[116:117], v[18:19]
	v_add_u32_e32 v11, 32, v11
	v_pk_mul_f32 v[2:3], v[14:15], v[2:3] op_sel_hi:[0,1]
	v_pk_fma_f32 v[0:1], v[12:13], v[0:1], v[2:3] op_sel_hi:[0,1,1] neg_lo:[0,0,1] neg_hi:[0,0,1]
	v_pk_fma_f32 v[16:17], v[112:113], v[0:1], v[16:17]
	v_add_u32_e32 v13, 4, v13
	s_cbranch_scc1 .LBB127_12
; %bb.13:                               ;   in Loop: Header=BB127_6 Depth=1
	v_add_u32_e32 v8, s9, v145
	v_add_u32_e32 v0, v8, v97
	;; [unrolled: 1-line block ×9, first 2 shown]
	v_mad_i64_i32 v[112:113], s[16:17], v8, 36, v[100:101]
	v_add_u32_e32 v8, 12, v9
	v_mad_i64_i32 v[0:1], s[16:17], v0, 36, v[100:101]
	v_mad_i64_i32 v[2:3], s[16:17], v2, 36, v[100:101]
	;; [unrolled: 1-line block ×4, first 2 shown]
	v_mad_u64_u32 v[8:9], s[16:17], v8, 36, s[2:3]
	s_barrier
	v_mad_i64_i32 v[10:11], s[16:17], v10, 36, v[100:101]
	v_mad_i64_i32 v[12:13], s[16:17], v12, 36, v[100:101]
	;; [unrolled: 1-line block ×3, first 2 shown]
	global_load_dword v8, v[8:9], off
	s_nop 0
	global_load_dword v0, v[0:1], off offset:4
	s_nop 0
	global_load_dword v1, v[2:3], off offset:4
	;; [unrolled: 2-line block ×3, first 2 shown]
	global_load_dword v3, v[6:7], off offset:4
	s_nop 0
	global_load_dword v4, v[10:11], off offset:4
	global_load_dword v5, v[12:13], off offset:4
	;; [unrolled: 1-line block ×4, first 2 shown]
	s_mov_b32 s9, 24
	s_mov_b32 s16, 22
	v_mov_b32_e32 v113, v160
	v_mov_b32_e32 v115, v159
	s_waitcnt vmcnt(8)
	v_cvt_f32_f16_e32 v8, v8
	s_waitcnt vmcnt(7)
	ds_write_b32 v105, v0
	s_waitcnt vmcnt(6)
	ds_write_b32 v109, v1
	;; [unrolled: 2-line block ×8, first 2 shown]
	ds_write_b32 v93, v8
	s_waitcnt lgkmcnt(0)
	s_barrier
.LBB127_14:                             ;   Parent Loop BB127_6 Depth=1
                                        ; =>  This Inner Loop Header: Depth=2
	s_add_i32 s15, s16, 2
	s_and_b32 s18, s15, 0x3ffffff8
	s_lshl_b32 s18, s18, 2
	v_add_u32_e32 v10, s18, v135
	ds_read2_b32 v[120:121], v115 offset1:32
	ds_read_b128 v[4:7], v113
	ds_read_b128 v[0:3], v113 offset:16
	ds_read2_b32 v[8:9], v10 offset1:1
	s_sub_i32 s17, s16, 22
	s_and_b32 s19, s9, -16
	s_add_i32 s16, s16, s19
	s_lshr_b32 s19, s15, 2
	s_waitcnt lgkmcnt(0)
	v_ashrrev_i32_e32 v8, s17, v8
	v_and_b32_e32 v196, 0x3030303, v8
	v_ashrrev_i32_e32 v8, s17, v9
	v_and_b32_e32 v190, 0x3030303, v8
	ds_read2_b32 v[8:9], v10 offset0:2 offset1:3
	s_and_b32 s19, s19, 0x3ffffffc
	v_add_u32_e32 v122, s16, v164
	v_add_u32_e32 v204, s16, v163
	v_mov_b32_e32 v210, 0
	s_waitcnt lgkmcnt(0)
	v_ashrrev_i32_e32 v8, s17, v8
	v_and_b32_e32 v193, 0x3030303, v8
	v_ashrrev_i32_e32 v8, s17, v9
	v_and_b32_e32 v194, 0x3030303, v8
	ds_read2_b32 v[8:9], v10 offset0:4 offset1:5
	v_mov_b32_e32 v211, 0
	v_mov_b32_e32 v213, 0
	;; [unrolled: 1-line block ×4, first 2 shown]
	s_waitcnt lgkmcnt(0)
	v_ashrrev_i32_e32 v8, s17, v8
	v_and_b32_e32 v183, 0x3030303, v8
	v_ashrrev_i32_e32 v8, s17, v9
	v_and_b32_e32 v184, 0x3030303, v8
	ds_read2_b32 v[8:9], v10 offset0:6 offset1:7
	v_add_u32_e32 v10, s18, v137
	v_dot4c_i32_i8_e32 v210, v183, v0
	v_dot4c_i32_i8_e32 v123, v196, v4
	;; [unrolled: 1-line block ×3, first 2 shown]
	s_waitcnt lgkmcnt(0)
	v_ashrrev_i32_e32 v8, s17, v8
	v_and_b32_e32 v187, 0x3030303, v8
	v_ashrrev_i32_e32 v8, s17, v9
	v_and_b32_e32 v188, 0x3030303, v8
	v_add_u32_e32 v8, s19, v136
	ds_read_b32 v8, v8
	v_mov_b32_e32 v212, 0
	v_dot4c_i32_i8_e32 v123, v190, v5
	v_dot4c_i32_i8_e32 v210, v187, v2
	;; [unrolled: 1-line block ×3, first 2 shown]
	s_waitcnt lgkmcnt(0)
	v_cvt_f32_f16_e32 v112, v8
	v_cvt_f32_f16_sdwa v114, v8 dst_sel:DWORD dst_unused:UNUSED_PAD src0_sel:WORD_1
	ds_read2_b32 v[8:9], v10 offset1:1
	v_dot4c_i32_i8_e32 v210, v188, v3
	v_dot4c_i32_i8_e32 v123, v194, v7
	v_add_u32_e32 v202, s16, v162
	v_add_u32_e32 v201, s16, v161
	s_waitcnt lgkmcnt(0)
	v_ashrrev_i32_e32 v8, s17, v8
	v_and_b32_e32 v195, 0x3030303, v8
	v_ashrrev_i32_e32 v8, s17, v9
	v_and_b32_e32 v189, 0x3030303, v8
	ds_read2_b32 v[8:9], v10 offset0:2 offset1:3
	v_mov_b32_e32 v220, 0
	v_mov_b32_e32 v221, 0
	;; [unrolled: 1-line block ×4, first 2 shown]
	s_waitcnt lgkmcnt(0)
	v_ashrrev_i32_e32 v8, s17, v8
	v_and_b32_e32 v191, 0x3030303, v8
	v_ashrrev_i32_e32 v8, s17, v9
	v_and_b32_e32 v192, 0x3030303, v8
	ds_read2_b32 v[8:9], v10 offset0:4 offset1:5
	v_dot4c_i32_i8_e32 v203, v195, v4
	v_dot4c_i32_i8_e32 v203, v189, v5
	;; [unrolled: 1-line block ×4, first 2 shown]
	s_waitcnt lgkmcnt(0)
	v_ashrrev_i32_e32 v8, s17, v8
	v_and_b32_e32 v181, 0x3030303, v8
	v_ashrrev_i32_e32 v8, s17, v9
	v_and_b32_e32 v182, 0x3030303, v8
	ds_read2_b32 v[8:9], v10 offset0:6 offset1:7
	v_add_u32_e32 v10, s18, v139
	v_dot4c_i32_i8_e32 v214, v181, v0
	v_dot4c_i32_i8_e32 v214, v182, v1
	v_mov_b32_e32 v217, 0
	s_waitcnt lgkmcnt(0)
	v_ashrrev_i32_e32 v8, s17, v8
	v_and_b32_e32 v185, 0x3030303, v8
	v_ashrrev_i32_e32 v8, s17, v9
	v_and_b32_e32 v186, 0x3030303, v8
	v_add_u32_e32 v8, s19, v138
	ds_read_b32 v8, v8
	v_dot4c_i32_i8_e32 v214, v185, v2
	v_dot4c_i32_i8_e32 v214, v186, v3
	v_mov_b32_e32 v209, 0
	v_mov_b32_e32 v215, 0
	s_waitcnt lgkmcnt(0)
	v_cvt_f32_f16_e32 v116, v8
	v_cvt_f32_f16_sdwa v118, v8 dst_sel:DWORD dst_unused:UNUSED_PAD src0_sel:WORD_1
	ds_read2_b32 v[8:9], v10 offset1:1
	v_mov_b32_e32 v216, 0
	v_mov_b32_e32 v222, 0
	s_add_i32 s9, s9, 2
	s_cmp_lt_u32 s15, 30
	s_waitcnt lgkmcnt(0)
	v_ashrrev_i32_e32 v8, s17, v8
	v_and_b32_e32 v200, 0x3030303, v8
	v_ashrrev_i32_e32 v8, s17, v9
	v_and_b32_e32 v197, 0x3030303, v8
	ds_read2_b32 v[8:9], v10 offset0:2 offset1:3
	v_dot4c_i32_i8_e32 v209, v200, v4
	v_dot4c_i32_i8_e32 v209, v197, v5
	s_waitcnt lgkmcnt(0)
	v_ashrrev_i32_e32 v8, s17, v8
	v_and_b32_e32 v198, 0x3030303, v8
	v_ashrrev_i32_e32 v8, s17, v9
	v_and_b32_e32 v199, 0x3030303, v8
	ds_read2_b32 v[8:9], v10 offset0:4 offset1:5
	v_dot4c_i32_i8_e32 v209, v198, v6
	v_dot4c_i32_i8_e32 v209, v199, v7
	s_waitcnt lgkmcnt(0)
	v_ashrrev_i32_e32 v8, s17, v8
	v_and_b32_e32 v173, 0x3030303, v8
	v_ashrrev_i32_e32 v8, s17, v9
	v_and_b32_e32 v174, 0x3030303, v8
	ds_read2_b32 v[8:9], v10 offset0:6 offset1:7
	v_add_u32_e32 v10, s18, v141
	v_dot4c_i32_i8_e32 v217, v173, v0
	v_dot4c_i32_i8_e32 v217, v174, v1
	s_waitcnt lgkmcnt(0)
	v_ashrrev_i32_e32 v8, s17, v8
	v_and_b32_e32 v175, 0x3030303, v8
	v_ashrrev_i32_e32 v8, s17, v9
	v_and_b32_e32 v176, 0x3030303, v8
	v_add_u32_e32 v8, s19, v140
	ds_read_b32 v8, v8
	v_dot4c_i32_i8_e32 v217, v175, v2
	v_dot4c_i32_i8_e32 v217, v176, v3
	s_waitcnt lgkmcnt(0)
	v_cvt_f32_f16_e32 v108, v8
	v_cvt_f32_f16_sdwa v110, v8 dst_sel:DWORD dst_unused:UNUSED_PAD src0_sel:WORD_1
	ds_read2_b32 v[8:9], v10 offset1:1
	s_waitcnt lgkmcnt(0)
	v_ashrrev_i32_e32 v8, s17, v8
	v_and_b32_e32 v180, 0x3030303, v8
	v_ashrrev_i32_e32 v8, s17, v9
	v_and_b32_e32 v177, 0x3030303, v8
	ds_read2_b32 v[8:9], v10 offset0:2 offset1:3
	v_dot4c_i32_i8_e32 v215, v180, v4
	v_dot4c_i32_i8_e32 v215, v177, v5
	s_waitcnt lgkmcnt(0)
	v_ashrrev_i32_e32 v8, s17, v8
	v_and_b32_e32 v178, 0x3030303, v8
	v_ashrrev_i32_e32 v8, s17, v9
	v_and_b32_e32 v179, 0x3030303, v8
	ds_read2_b32 v[8:9], v10 offset0:4 offset1:5
	v_dot4c_i32_i8_e32 v215, v178, v6
	v_dot4c_i32_i8_e32 v215, v179, v7
	;; [unrolled: 8-line block ×3, first 2 shown]
	s_waitcnt lgkmcnt(0)
	v_ashrrev_i32_e32 v8, s17, v8
	v_and_b32_e32 v171, 0x3030303, v8
	v_ashrrev_i32_e32 v8, s17, v9
	v_and_b32_e32 v172, 0x3030303, v8
	v_add_u32_e32 v8, s19, v142
	ds_read_b32 v8, v8
	v_dot4c_i32_i8_e32 v216, v171, v2
	v_dot4c_i32_i8_e32 v216, v172, v3
	s_waitcnt lgkmcnt(0)
	v_cvt_f32_f16_e32 v104, v8
	v_cvt_f32_f16_sdwa v106, v8 dst_sel:DWORD dst_unused:UNUSED_PAD src0_sel:WORD_1
	ds_read_b128 v[12:15], v113 offset:1024
	ds_read_b128 v[8:11], v113 offset:1040
	ds_read_u16 v122, v122 offset:25074
	ds_read_u16 v204, v204 offset:26098
	s_waitcnt lgkmcnt(3)
	v_dot4c_i32_i8_e32 v211, v196, v12
	v_dot4c_i32_i8_e32 v211, v190, v13
	s_waitcnt lgkmcnt(1)
	v_bfe_u32 v205, v122, 4, 4
	v_mul_lo_u32 v208, v205, s1
	v_dot4c_i32_i8_e32 v213, v208, v4
	v_dot4c_i32_i8_e32 v218, v208, v12
	;; [unrolled: 1-line block ×7, first 2 shown]
	v_lshrrev_b32_sdwa v205, v169, v122 dst_sel:DWORD dst_unused:UNUSED_PAD src0_sel:DWORD src1_sel:BYTE_1
	v_dot4c_i32_i8_e32 v218, v208, v14
	v_dot4c_i32_i8_e32 v211, v194, v15
	;; [unrolled: 1-line block ×4, first 2 shown]
	v_mul_lo_u32 v207, v205, s1
	v_and_b32_sdwa v205, v122, v170 dst_sel:DWORD dst_unused:UNUSED_PAD src0_sel:BYTE_1 src1_sel:DWORD
	v_and_b32_e32 v206, 15, v122
	v_dot4c_i32_i8_e32 v218, v208, v15
	v_dot4c_i32_i8_e32 v212, v187, v10
	;; [unrolled: 1-line block ×3, first 2 shown]
	v_mul_lo_u32 v122, v206, v211
	v_mul_lo_u32 v210, v205, v210
	v_dot4c_i32_i8_e32 v218, v207, v8
                                        ; kill: def $vgpr211 killed $sgpr0 killed $exec
	v_dot4c_i32_i8_e32 v212, v188, v11
	v_dot4c_i32_i8_e32 v213, v207, v1
	;; [unrolled: 1-line block ×3, first 2 shown]
	v_mad_u64_u32 v[210:211], s[16:17], v206, v123, v[210:211]
                                        ; kill: def $vgpr123 killed $sgpr0 killed $exec
	v_dot4c_i32_i8_e32 v213, v207, v2
	v_dot4c_i32_i8_e32 v218, v207, v10
	v_mad_u64_u32 v[122:123], s[16:17], v205, v212, v[122:123]
	v_dot4c_i32_i8_e32 v213, v207, v3
	v_dot4c_i32_i8_e32 v218, v207, v11
	v_cvt_f32_i32_e32 v123, v122
	v_cvt_f32_i32_e32 v122, v210
	;; [unrolled: 1-line block ×4, first 2 shown]
	v_pk_mul_f32 v[122:123], v[112:113], v[122:123] op_sel_hi:[0,1]
	v_pk_fma_f32 v[210:211], v[114:115], v[210:211], v[122:123] op_sel:[0,0,1] op_sel_hi:[0,1,0] neg_lo:[1,0,0] neg_hi:[1,0,0]
	v_mov_b32_e32 v122, v121
	v_mov_b32_e32 v123, v120
	v_pk_fma_f32 v[88:89], v[122:123], v[210:211], v[88:89]
	s_waitcnt lgkmcnt(0)
	v_bfe_u32 v210, v204, 4, 4
	v_mul_lo_u32 v213, v210, s1
	v_mov_b32_e32 v120, 0
	v_dot4c_i32_i8_e32 v220, v213, v4
	v_dot4c_i32_i8_e32 v221, v213, v12
	;; [unrolled: 1-line block ×3, first 2 shown]
	v_mov_b32_e32 v121, 0
	v_dot4c_i32_i8_e32 v220, v213, v5
	v_dot4c_i32_i8_e32 v221, v213, v13
	v_dot4c_i32_i8_e32 v120, v189, v13
	v_dot4c_i32_i8_e32 v121, v181, v8
	v_dot4c_i32_i8_e32 v220, v213, v6
	v_lshrrev_b32_sdwa v210, v169, v204 dst_sel:DWORD dst_unused:UNUSED_PAD src0_sel:DWORD src1_sel:BYTE_1
	v_dot4c_i32_i8_e32 v221, v213, v14
	v_dot4c_i32_i8_e32 v120, v191, v14
	;; [unrolled: 1-line block ×4, first 2 shown]
	v_mul_lo_u32 v212, v210, s1
	v_dot4c_i32_i8_e32 v221, v213, v15
	v_dot4c_i32_i8_e32 v120, v192, v15
	;; [unrolled: 1-line block ×4, first 2 shown]
	v_and_b32_sdwa v210, v204, v170 dst_sel:DWORD dst_unused:UNUSED_PAD src0_sel:BYTE_1 src1_sel:DWORD
	v_and_b32_e32 v211, 15, v204
	v_dot4c_i32_i8_e32 v221, v212, v8
	v_dot4c_i32_i8_e32 v121, v186, v11
	;; [unrolled: 1-line block ×3, first 2 shown]
	v_mul_lo_u32 v120, v211, v120
	v_mul_lo_u32 v204, v210, v214
	v_dot4c_i32_i8_e32 v221, v212, v9
	v_dot4c_i32_i8_e32 v220, v212, v2
	;; [unrolled: 1-line block ×3, first 2 shown]
	v_mad_u64_u32 v[218:219], s[16:17], v211, v203, v[204:205]
	v_mad_u64_u32 v[120:121], s[16:17], v210, v121, v[120:121]
	ds_read_u16 v203, v202 offset:27122
	v_dot4c_i32_i8_e32 v220, v212, v3
	v_dot4c_i32_i8_e32 v221, v212, v11
	v_cvt_f32_i32_e32 v121, v120
	v_cvt_f32_i32_e32 v120, v218
	;; [unrolled: 1-line block ×4, first 2 shown]
	s_waitcnt lgkmcnt(0)
	v_bfe_u32 v202, v203, 4, 4
	v_pk_mul_f32 v[120:121], v[116:117], v[120:121] op_sel_hi:[0,1]
	v_mul_lo_u32 v214, v202, s1
	v_pk_fma_f32 v[120:121], v[118:119], v[218:219], v[120:121] op_sel:[0,0,1] op_sel_hi:[0,1,0] neg_lo:[1,0,0] neg_hi:[1,0,0]
	v_mov_b32_e32 v220, 0
	v_mov_b32_e32 v221, 0
	v_pk_fma_f32 v[98:99], v[122:123], v[120:121], v[98:99]
	v_mov_b32_e32 v120, 0
	v_dot4c_i32_i8_e32 v220, v214, v4
	v_dot4c_i32_i8_e32 v221, v214, v12
	;; [unrolled: 1-line block ×3, first 2 shown]
	v_mov_b32_e32 v121, 0
	v_dot4c_i32_i8_e32 v220, v214, v5
	v_dot4c_i32_i8_e32 v221, v214, v13
	;; [unrolled: 1-line block ×5, first 2 shown]
	v_lshrrev_b32_sdwa v202, v169, v203 dst_sel:DWORD dst_unused:UNUSED_PAD src0_sel:DWORD src1_sel:BYTE_1
	v_dot4c_i32_i8_e32 v221, v214, v14
	v_dot4c_i32_i8_e32 v120, v198, v14
	;; [unrolled: 1-line block ×4, first 2 shown]
	v_mul_lo_u32 v204, v202, s1
	v_dot4c_i32_i8_e32 v221, v214, v15
	v_dot4c_i32_i8_e32 v120, v199, v15
	;; [unrolled: 1-line block ×4, first 2 shown]
	v_and_b32_sdwa v202, v203, v170 dst_sel:DWORD dst_unused:UNUSED_PAD src0_sel:BYTE_1 src1_sel:DWORD
	v_and_b32_e32 v203, 15, v203
	v_dot4c_i32_i8_e32 v221, v204, v8
	v_dot4c_i32_i8_e32 v121, v176, v11
	;; [unrolled: 1-line block ×3, first 2 shown]
	v_mul_lo_u32 v120, v203, v120
	v_mul_lo_u32 v218, v202, v217
	v_dot4c_i32_i8_e32 v221, v204, v9
	v_dot4c_i32_i8_e32 v220, v204, v2
	;; [unrolled: 1-line block ×3, first 2 shown]
	v_mad_u64_u32 v[218:219], s[16:17], v203, v209, v[218:219]
	v_mad_u64_u32 v[120:121], s[16:17], v202, v121, v[120:121]
	v_dot4c_i32_i8_e32 v220, v204, v3
	v_dot4c_i32_i8_e32 v221, v204, v11
	v_cvt_f32_i32_e32 v121, v120
	v_cvt_f32_i32_e32 v120, v218
	;; [unrolled: 1-line block ×4, first 2 shown]
	v_mov_b32_e32 v217, 0
	v_pk_mul_f32 v[120:121], v[108:109], v[120:121] op_sel_hi:[0,1]
	v_dot4c_i32_i8_e32 v217, v180, v12
	v_pk_fma_f32 v[120:121], v[110:111], v[218:219], v[120:121] op_sel:[0,0,1] op_sel_hi:[0,1,0] neg_lo:[1,0,0] neg_hi:[1,0,0]
	v_pk_fma_f32 v[94:95], v[122:123], v[120:121], v[94:95]
	ds_read_u16 v121, v201 offset:28146
	v_mov_b32_e32 v219, 0
	v_mov_b32_e32 v218, 0
	v_dot4c_i32_i8_e32 v217, v177, v13
	v_dot4c_i32_i8_e32 v218, v117, v8
	s_waitcnt lgkmcnt(0)
	v_bfe_u32 v120, v121, 4, 4
	v_mul_lo_u32 v209, v120, s1
	v_dot4c_i32_i8_e32 v219, v209, v4
	v_lshrrev_b32_sdwa v4, v169, v121 dst_sel:DWORD dst_unused:UNUSED_PAD src0_sel:DWORD src1_sel:BYTE_1
	v_mul_lo_u32 v201, v4, s1
	v_mov_b32_e32 v4, 0
	v_dot4c_i32_i8_e32 v219, v209, v5
	v_dot4c_i32_i8_e32 v4, v209, v12
	;; [unrolled: 1-line block ×13, first 2 shown]
	v_and_b32_sdwa v120, v121, v170 dst_sel:DWORD dst_unused:UNUSED_PAD src0_sel:BYTE_1 src1_sel:DWORD
	v_and_b32_e32 v121, 15, v121
	v_dot4c_i32_i8_e32 v4, v201, v8
	v_dot4c_i32_i8_e32 v218, v172, v11
	;; [unrolled: 1-line block ×3, first 2 shown]
	v_mul_lo_u32 v0, v121, v217
	v_mul_lo_u32 v2, v120, v216
	v_dot4c_i32_i8_e32 v4, v201, v9
                                        ; kill: def $vgpr1 killed $sgpr0 killed $exec
	v_dot4c_i32_i8_e32 v219, v201, v3
	v_dot4c_i32_i8_e32 v4, v201, v10
	v_mad_u64_u32 v[2:3], s[16:17], v121, v215, v[2:3]
	v_mad_u64_u32 v[0:1], s[16:17], v120, v218, v[0:1]
	v_dot4c_i32_i8_e32 v4, v201, v11
	v_cvt_f32_i32_e32 v1, v0
	v_cvt_f32_i32_e32 v0, v2
	;; [unrolled: 1-line block ×4, first 2 shown]
	v_mov_b32_e32 v14, 0
	v_pk_mul_f32 v[0:1], v[104:105], v[0:1] op_sel_hi:[0,1]
	v_mov_b32_e32 v216, 0
	v_pk_fma_f32 v[0:1], v[106:107], v[2:3], v[0:1] op_sel:[0,0,1] op_sel_hi:[0,1,0] neg_lo:[1,0,0] neg_hi:[1,0,0]
	v_pk_fma_f32 v[86:87], v[122:123], v[0:1], v[86:87]
	ds_read2_b32 v[8:9], v115 offset0:64 offset1:96
	ds_read_b128 v[0:3], v113 offset:2048
	ds_read_b128 v[4:7], v113 offset:2064
	v_mov_b32_e32 v122, 0
	v_mov_b32_e32 v219, 0
	;; [unrolled: 1-line block ×3, first 2 shown]
	s_waitcnt lgkmcnt(1)
	v_dot4c_i32_i8_e32 v14, v208, v0
	v_dot4c_i32_i8_e32 v122, v213, v0
	;; [unrolled: 1-line block ×13, first 2 shown]
	v_mov_b32_e32 v12, 0
	v_mov_b32_e32 v15, 0
	v_dot4c_i32_i8_e32 v122, v213, v3
	v_mov_b32_e32 v123, 0
	v_mov_b32_e32 v215, 0
	v_dot4c_i32_i8_e32 v216, v214, v3
	;; [unrolled: 3-line block ×3, first 2 shown]
	v_mov_b32_e32 v220, 0
	v_dot4c_i32_i8_e32 v11, v196, v0
	s_waitcnt lgkmcnt(0)
	v_dot4c_i32_i8_e32 v12, v183, v4
	v_dot4c_i32_i8_e32 v14, v207, v4
	;; [unrolled: 1-line block ×47, first 2 shown]
	ds_read_b128 v[4:7], v113 offset:3072
	ds_read_b128 v[0:3], v113 offset:3088
	v_mov_b32_e32 v221, 0
	v_mov_b32_e32 v10, 0
	v_mul_lo_u32 v12, v12, v205
	s_waitcnt lgkmcnt(1)
	v_dot4c_i32_i8_e32 v221, v208, v4
	v_dot4c_i32_i8_e32 v221, v208, v5
	;; [unrolled: 1-line block ×6, first 2 shown]
	s_waitcnt lgkmcnt(0)
	v_dot4c_i32_i8_e32 v222, v183, v0
	v_dot4c_i32_i8_e32 v10, v193, v6
	;; [unrolled: 1-line block ×7, first 2 shown]
                                        ; kill: def $vgpr13 killed $sgpr0 killed $exec
	v_dot4c_i32_i8_e32 v221, v207, v2
	v_dot4c_i32_i8_e32 v222, v188, v3
	v_mul_lo_u32 v10, v10, v206
	v_mad_u64_u32 v[12:13], s[16:17], v11, v206, v[12:13]
                                        ; kill: def $vgpr11 killed $sgpr0 killed $exec
	v_dot4c_i32_i8_e32 v221, v207, v3
	v_mad_u64_u32 v[10:11], s[16:17], v222, v205, v[10:11]
	v_cvt_f32_i32_e32 v11, v10
	v_cvt_f32_i32_e32 v10, v12
	v_cvt_f32_i32_e32 v13, v221
	v_cvt_f32_i32_e32 v12, v14
	v_mov_b32_e32 v14, 0
	v_dot4c_i32_i8_e32 v14, v213, v4
	v_dot4c_i32_i8_e32 v14, v213, v5
	v_pk_mul_f32 v[12:13], v[114:115], v[12:13] op_sel_hi:[0,1]
	v_pk_fma_f32 v[10:11], v[112:113], v[10:11], v[12:13] op_sel_hi:[0,1,1] neg_lo:[0,0,1] neg_hi:[0,0,1]
	v_pk_fma_f32 v[38:39], v[8:9], v[10:11], v[38:39]
	v_mov_b32_e32 v10, 0
	v_dot4c_i32_i8_e32 v10, v195, v4
	v_dot4c_i32_i8_e32 v14, v213, v6
	v_mov_b32_e32 v11, 0
	v_dot4c_i32_i8_e32 v10, v189, v5
	v_dot4c_i32_i8_e32 v14, v213, v7
	;; [unrolled: 1-line block ×11, first 2 shown]
	v_mul_lo_u32 v10, v10, v211
	v_mul_lo_u32 v12, v123, v210
                                        ; kill: def $vgpr13 killed $sgpr0 killed $exec
	v_dot4c_i32_i8_e32 v14, v212, v3
	v_mad_u64_u32 v[12:13], s[16:17], v15, v211, v[12:13]
	v_mad_u64_u32 v[10:11], s[16:17], v11, v210, v[10:11]
	v_cvt_f32_i32_e32 v11, v10
	v_cvt_f32_i32_e32 v10, v12
	;; [unrolled: 1-line block ×4, first 2 shown]
	v_mov_b32_e32 v14, 0
	v_dot4c_i32_i8_e32 v14, v214, v4
	v_dot4c_i32_i8_e32 v14, v214, v5
	v_pk_mul_f32 v[12:13], v[118:119], v[12:13] op_sel_hi:[0,1]
	v_pk_fma_f32 v[10:11], v[116:117], v[10:11], v[12:13] op_sel_hi:[0,1,1] neg_lo:[0,0,1] neg_hi:[0,0,1]
	v_pk_fma_f32 v[36:37], v[8:9], v[10:11], v[36:37]
	v_mov_b32_e32 v10, 0
	v_dot4c_i32_i8_e32 v10, v200, v4
	v_dot4c_i32_i8_e32 v14, v214, v6
	v_mov_b32_e32 v11, 0
	v_dot4c_i32_i8_e32 v10, v197, v5
	v_dot4c_i32_i8_e32 v14, v214, v7
	;; [unrolled: 1-line block ×11, first 2 shown]
	v_mul_lo_u32 v10, v10, v203
	v_mul_lo_u32 v12, v217, v202
                                        ; kill: def $vgpr13 killed $sgpr0 killed $exec
	v_dot4c_i32_i8_e32 v14, v204, v3
	v_mad_u64_u32 v[12:13], s[16:17], v215, v203, v[12:13]
	v_mad_u64_u32 v[10:11], s[16:17], v11, v202, v[10:11]
	v_cvt_f32_i32_e32 v11, v10
	v_cvt_f32_i32_e32 v10, v12
	;; [unrolled: 1-line block ×4, first 2 shown]
	v_mov_b32_e32 v14, 0
	v_mov_b32_e32 v122, 0
	;; [unrolled: 1-line block ×3, first 2 shown]
	v_pk_mul_f32 v[12:13], v[110:111], v[12:13] op_sel_hi:[0,1]
	v_pk_fma_f32 v[10:11], v[108:109], v[10:11], v[12:13] op_sel_hi:[0,1,1] neg_lo:[0,0,1] neg_hi:[0,0,1]
	v_pk_fma_f32 v[34:35], v[8:9], v[10:11], v[34:35]
	v_mov_b32_e32 v11, 0
	v_dot4c_i32_i8_e32 v11, v209, v4
	v_mov_b32_e32 v10, 0
	v_dot4c_i32_i8_e32 v11, v209, v5
	v_dot4c_i32_i8_e32 v10, v180, v4
	;; [unrolled: 1-line block ×3, first 2 shown]
	v_mov_b32_e32 v4, 0
	v_dot4c_i32_i8_e32 v10, v177, v5
	v_dot4c_i32_i8_e32 v11, v209, v7
	;; [unrolled: 1-line block ×11, first 2 shown]
	v_mul_lo_u32 v0, v10, v121
	v_mul_lo_u32 v2, v220, v120
                                        ; kill: def $vgpr1 killed $sgpr0 killed $exec
	v_dot4c_i32_i8_e32 v11, v201, v3
	v_mad_u64_u32 v[2:3], s[16:17], v218, v121, v[2:3]
	v_mad_u64_u32 v[0:1], s[16:17], v4, v120, v[0:1]
	v_cvt_f32_i32_e32 v1, v0
	v_cvt_f32_i32_e32 v0, v2
	;; [unrolled: 1-line block ×4, first 2 shown]
	v_mov_b32_e32 v219, 0
	v_mov_b32_e32 v11, 0
	;; [unrolled: 1-line block ×3, first 2 shown]
	v_pk_mul_f32 v[2:3], v[106:107], v[2:3] op_sel_hi:[0,1]
	v_pk_fma_f32 v[0:1], v[104:105], v[0:1], v[2:3] op_sel_hi:[0,1,1] neg_lo:[0,0,1] neg_hi:[0,0,1]
	v_pk_fma_f32 v[32:33], v[8:9], v[0:1], v[32:33]
	ds_read2_b32 v[8:9], v115 offset0:128 offset1:160
	ds_read_b128 v[0:3], v113 offset:4096
	ds_read_b128 v[4:7], v113 offset:4112
	v_mov_b32_e32 v15, 0
	v_mov_b32_e32 v123, 0
	;; [unrolled: 1-line block ×3, first 2 shown]
	s_waitcnt lgkmcnt(1)
	v_dot4c_i32_i8_e32 v14, v208, v0
	v_dot4c_i32_i8_e32 v122, v213, v0
	;; [unrolled: 1-line block ×15, first 2 shown]
	v_mov_b32_e32 v217, 0
	v_mov_b32_e32 v218, 0
	v_dot4c_i32_i8_e32 v219, v209, v3
	v_mov_b32_e32 v220, 0
	v_dot4c_i32_i8_e32 v11, v196, v0
	s_waitcnt lgkmcnt(0)
	v_dot4c_i32_i8_e32 v12, v183, v4
	v_dot4c_i32_i8_e32 v14, v207, v4
	;; [unrolled: 1-line block ×47, first 2 shown]
	ds_read_b128 v[4:7], v113 offset:5120
	ds_read_b128 v[0:3], v113 offset:5136
	v_mov_b32_e32 v221, 0
	v_mov_b32_e32 v10, 0
	;; [unrolled: 1-line block ×3, first 2 shown]
	s_waitcnt lgkmcnt(1)
	v_dot4c_i32_i8_e32 v221, v208, v4
	v_dot4c_i32_i8_e32 v221, v208, v5
	;; [unrolled: 1-line block ×6, first 2 shown]
	s_waitcnt lgkmcnt(0)
	v_dot4c_i32_i8_e32 v222, v183, v0
	v_dot4c_i32_i8_e32 v10, v193, v6
	;; [unrolled: 1-line block ×7, first 2 shown]
	v_mul_lo_u32 v12, v12, v205
                                        ; kill: def $vgpr13 killed $sgpr0 killed $exec
	v_dot4c_i32_i8_e32 v221, v207, v2
	v_dot4c_i32_i8_e32 v222, v188, v3
	v_mul_lo_u32 v10, v10, v206
	v_mad_u64_u32 v[12:13], s[16:17], v11, v206, v[12:13]
                                        ; kill: def $vgpr11 killed $sgpr0 killed $exec
	v_dot4c_i32_i8_e32 v221, v207, v3
	v_mad_u64_u32 v[10:11], s[16:17], v222, v205, v[10:11]
	v_cvt_f32_i32_e32 v11, v10
	v_cvt_f32_i32_e32 v10, v12
	;; [unrolled: 1-line block ×4, first 2 shown]
	v_mov_b32_e32 v14, 0
	v_dot4c_i32_i8_e32 v14, v213, v4
	v_dot4c_i32_i8_e32 v14, v213, v5
	v_pk_mul_f32 v[12:13], v[114:115], v[12:13] op_sel_hi:[0,1]
	v_pk_fma_f32 v[10:11], v[112:113], v[10:11], v[12:13] op_sel_hi:[0,1,1] neg_lo:[0,0,1] neg_hi:[0,0,1]
	v_pk_fma_f32 v[30:31], v[8:9], v[10:11], v[30:31]
	v_mov_b32_e32 v10, 0
	v_dot4c_i32_i8_e32 v10, v195, v4
	v_dot4c_i32_i8_e32 v14, v213, v6
	v_mov_b32_e32 v11, 0
	v_dot4c_i32_i8_e32 v10, v189, v5
	v_dot4c_i32_i8_e32 v14, v213, v7
	;; [unrolled: 1-line block ×11, first 2 shown]
	v_mul_lo_u32 v10, v10, v211
	v_mul_lo_u32 v12, v123, v210
                                        ; kill: def $vgpr13 killed $sgpr0 killed $exec
	v_dot4c_i32_i8_e32 v14, v212, v3
	v_mad_u64_u32 v[12:13], s[16:17], v15, v211, v[12:13]
	v_mad_u64_u32 v[10:11], s[16:17], v11, v210, v[10:11]
	v_cvt_f32_i32_e32 v11, v10
	v_cvt_f32_i32_e32 v10, v12
	;; [unrolled: 1-line block ×4, first 2 shown]
	v_mov_b32_e32 v14, 0
	v_dot4c_i32_i8_e32 v14, v214, v4
	v_dot4c_i32_i8_e32 v14, v214, v5
	v_pk_mul_f32 v[12:13], v[118:119], v[12:13] op_sel_hi:[0,1]
	v_pk_fma_f32 v[10:11], v[116:117], v[10:11], v[12:13] op_sel_hi:[0,1,1] neg_lo:[0,0,1] neg_hi:[0,0,1]
	v_pk_fma_f32 v[28:29], v[8:9], v[10:11], v[28:29]
	v_mov_b32_e32 v10, 0
	v_dot4c_i32_i8_e32 v10, v200, v4
	v_dot4c_i32_i8_e32 v14, v214, v6
	v_mov_b32_e32 v11, 0
	v_dot4c_i32_i8_e32 v10, v197, v5
	v_dot4c_i32_i8_e32 v14, v214, v7
	;; [unrolled: 1-line block ×11, first 2 shown]
	v_mul_lo_u32 v10, v10, v203
	v_mul_lo_u32 v12, v217, v202
                                        ; kill: def $vgpr13 killed $sgpr0 killed $exec
	v_dot4c_i32_i8_e32 v14, v204, v3
	v_mad_u64_u32 v[12:13], s[16:17], v215, v203, v[12:13]
	v_mad_u64_u32 v[10:11], s[16:17], v11, v202, v[10:11]
	v_cvt_f32_i32_e32 v11, v10
	v_cvt_f32_i32_e32 v10, v12
	;; [unrolled: 1-line block ×4, first 2 shown]
	v_mov_b32_e32 v215, 0
	v_mov_b32_e32 v217, 0
	;; [unrolled: 1-line block ×3, first 2 shown]
	v_pk_mul_f32 v[12:13], v[110:111], v[12:13] op_sel_hi:[0,1]
	v_pk_fma_f32 v[10:11], v[108:109], v[10:11], v[12:13] op_sel_hi:[0,1,1] neg_lo:[0,0,1] neg_hi:[0,0,1]
	v_pk_fma_f32 v[26:27], v[8:9], v[10:11], v[26:27]
	v_mov_b32_e32 v11, 0
	v_dot4c_i32_i8_e32 v11, v209, v4
	v_mov_b32_e32 v10, 0
	v_dot4c_i32_i8_e32 v11, v209, v5
	v_dot4c_i32_i8_e32 v10, v180, v4
	;; [unrolled: 1-line block ×3, first 2 shown]
	v_mov_b32_e32 v4, 0
	v_dot4c_i32_i8_e32 v10, v177, v5
	v_dot4c_i32_i8_e32 v11, v209, v7
	;; [unrolled: 1-line block ×11, first 2 shown]
	v_mul_lo_u32 v0, v10, v121
	v_mul_lo_u32 v2, v220, v120
                                        ; kill: def $vgpr1 killed $sgpr0 killed $exec
	v_dot4c_i32_i8_e32 v11, v201, v3
	v_mad_u64_u32 v[2:3], s[16:17], v218, v121, v[2:3]
	v_mad_u64_u32 v[0:1], s[16:17], v4, v120, v[0:1]
	v_cvt_f32_i32_e32 v1, v0
	v_cvt_f32_i32_e32 v0, v2
	;; [unrolled: 1-line block ×4, first 2 shown]
	v_mov_b32_e32 v13, 0
	v_mov_b32_e32 v10, 0
	;; [unrolled: 1-line block ×3, first 2 shown]
	v_pk_mul_f32 v[2:3], v[106:107], v[2:3] op_sel_hi:[0,1]
	v_pk_fma_f32 v[0:1], v[104:105], v[0:1], v[2:3] op_sel_hi:[0,1,1] neg_lo:[0,0,1] neg_hi:[0,0,1]
	v_pk_fma_f32 v[24:25], v[8:9], v[0:1], v[24:25]
	ds_read2_b32 v[8:9], v115 offset0:192 offset1:224
	ds_read_b128 v[0:3], v113 offset:6144
	ds_read_b128 v[4:7], v113 offset:6160
	v_mov_b32_e32 v216, 0
	v_mov_b32_e32 v218, 0
	;; [unrolled: 1-line block ×3, first 2 shown]
	s_waitcnt lgkmcnt(1)
	v_dot4c_i32_i8_e32 v215, v208, v0
	v_dot4c_i32_i8_e32 v217, v213, v0
	;; [unrolled: 1-line block ×15, first 2 shown]
	v_mov_b32_e32 v219, 0
	v_mov_b32_e32 v11, 0
	v_dot4c_i32_i8_e32 v10, v209, v3
	v_mov_b32_e32 v12, 0
	v_dot4c_i32_i8_e32 v15, v196, v0
	s_waitcnt lgkmcnt(0)
	v_dot4c_i32_i8_e32 v123, v183, v4
	v_dot4c_i32_i8_e32 v215, v207, v4
	;; [unrolled: 1-line block ×47, first 2 shown]
	ds_read_b128 v[4:7], v113 offset:7168
	ds_read_b128 v[0:3], v113 offset:7184
	v_mov_b32_e32 v122, 0
	s_waitcnt lgkmcnt(1)
	v_dot4c_i32_i8_e32 v122, v196, v4
	v_mov_b32_e32 v196, 0
	v_dot4c_i32_i8_e32 v196, v208, v4
	v_dot4c_i32_i8_e32 v196, v208, v5
	;; [unrolled: 1-line block ×5, first 2 shown]
	v_mov_b32_e32 v190, 0
	s_waitcnt lgkmcnt(0)
	v_dot4c_i32_i8_e32 v190, v183, v0
	v_dot4c_i32_i8_e32 v196, v207, v0
	v_dot4c_i32_i8_e32 v122, v193, v6
	v_dot4c_i32_i8_e32 v190, v184, v1
	v_dot4c_i32_i8_e32 v196, v207, v1
	v_dot4c_i32_i8_e32 v122, v194, v7
	v_dot4c_i32_i8_e32 v190, v187, v2
	v_dot4c_i32_i8_e32 v196, v207, v2
	v_mul_lo_u32 v184, v123, v205
	v_dot4c_i32_i8_e32 v190, v188, v3
	v_dot4c_i32_i8_e32 v196, v207, v3
	v_mul_lo_u32 v122, v122, v206
                                        ; kill: def $vgpr123 killed $sgpr0 killed $exec
	v_mad_u64_u32 v[206:207], s[16:17], v15, v206, v[184:185]
	v_mov_b32_e32 v184, 0
	v_mad_u64_u32 v[122:123], s[16:17], v190, v205, v[122:123]
	v_dot4c_i32_i8_e32 v184, v213, v4
	v_cvt_f32_i32_e32 v123, v122
	v_cvt_f32_i32_e32 v122, v206
	;; [unrolled: 1-line block ×4, first 2 shown]
	v_mov_b32_e32 v15, 0
	v_dot4c_i32_i8_e32 v184, v213, v5
	v_dot4c_i32_i8_e32 v15, v195, v4
	;; [unrolled: 1-line block ×3, first 2 shown]
	v_mov_b32_e32 v183, 0
	v_dot4c_i32_i8_e32 v15, v189, v5
	v_dot4c_i32_i8_e32 v184, v213, v7
	;; [unrolled: 1-line block ×6, first 2 shown]
	v_pk_mul_f32 v[206:207], v[114:115], v[206:207] op_sel_hi:[0,1]
	v_dot4c_i32_i8_e32 v15, v192, v7
	v_dot4c_i32_i8_e32 v184, v212, v1
	;; [unrolled: 1-line block ×3, first 2 shown]
	v_pk_fma_f32 v[122:123], v[112:113], v[122:123], v[206:207] op_sel_hi:[0,1,1] neg_lo:[0,0,1] neg_hi:[0,0,1]
	v_dot4c_i32_i8_e32 v184, v212, v2
	v_dot4c_i32_i8_e32 v183, v186, v3
	v_mul_lo_u32 v112, v15, v211
	v_mul_lo_u32 v114, v218, v210
	v_pk_fma_f32 v[22:23], v[8:9], v[122:123], v[22:23]
	v_dot4c_i32_i8_e32 v184, v212, v3
	v_mad_u64_u32 v[122:123], s[16:17], v216, v211, v[114:115]
	v_mad_u64_u32 v[182:183], s[16:17], v183, v210, v[112:113]
	v_cvt_f32_i32_e32 v123, v182
	v_cvt_f32_i32_e32 v183, v184
	;; [unrolled: 1-line block ×4, first 2 shown]
	v_mov_b32_e32 v15, 0
	v_dot4c_i32_i8_e32 v15, v200, v4
	v_pk_mul_f32 v[182:183], v[118:119], v[182:183] op_sel_hi:[0,1]
	v_pk_fma_f32 v[122:123], v[116:117], v[122:123], v[182:183] op_sel_hi:[0,1,1] neg_lo:[0,0,1] neg_hi:[0,0,1]
	v_mov_b32_e32 v116, 0
	v_dot4c_i32_i8_e32 v116, v214, v4
	v_dot4c_i32_i8_e32 v116, v214, v5
	;; [unrolled: 1-line block ×3, first 2 shown]
	v_mov_b32_e32 v118, 0
	v_dot4c_i32_i8_e32 v15, v197, v5
	v_dot4c_i32_i8_e32 v116, v214, v7
	;; [unrolled: 1-line block ×11, first 2 shown]
	v_mul_lo_u32 v112, v15, v203
	v_mul_lo_u32 v114, v219, v202
	v_pk_fma_f32 v[20:21], v[8:9], v[122:123], v[20:21]
	v_dot4c_i32_i8_e32 v116, v204, v3
	v_mad_u64_u32 v[14:15], s[16:17], v14, v203, v[114:115]
	v_mad_u64_u32 v[122:123], s[16:17], v118, v202, v[112:113]
	v_cvt_f32_i32_e32 v15, v122
	v_cvt_f32_i32_e32 v123, v116
	;; [unrolled: 1-line block ×4, first 2 shown]
	v_mov_b32_e32 v13, 0
	v_dot4c_i32_i8_e32 v13, v180, v4
	v_pk_mul_f32 v[122:123], v[110:111], v[122:123] op_sel_hi:[0,1]
	v_pk_fma_f32 v[14:15], v[108:109], v[14:15], v[122:123] op_sel_hi:[0,1,1] neg_lo:[0,0,1] neg_hi:[0,0,1]
	v_pk_fma_f32 v[18:19], v[8:9], v[14:15], v[18:19]
	v_mov_b32_e32 v14, 0
	v_dot4c_i32_i8_e32 v14, v209, v4
	v_dot4c_i32_i8_e32 v14, v209, v5
	;; [unrolled: 1-line block ×3, first 2 shown]
	v_mov_b32_e32 v4, 0
	v_dot4c_i32_i8_e32 v13, v177, v5
	v_dot4c_i32_i8_e32 v14, v209, v7
	;; [unrolled: 1-line block ×11, first 2 shown]
	v_mul_lo_u32 v0, v13, v121
	v_mul_lo_u32 v2, v12, v120
                                        ; kill: def $vgpr1 killed $sgpr0 killed $exec
	v_dot4c_i32_i8_e32 v14, v201, v3
	v_mad_u64_u32 v[2:3], s[16:17], v11, v121, v[2:3]
	v_mad_u64_u32 v[0:1], s[16:17], v4, v120, v[0:1]
	v_cvt_f32_i32_e32 v1, v0
	v_cvt_f32_i32_e32 v0, v2
	;; [unrolled: 1-line block ×4, first 2 shown]
	v_add_u32_e32 v115, 4, v115
	v_add_u32_e32 v113, 32, v113
	s_mov_b32 s16, s15
	v_pk_mul_f32 v[2:3], v[106:107], v[2:3] op_sel_hi:[0,1]
	v_pk_fma_f32 v[0:1], v[104:105], v[0:1], v[2:3] op_sel_hi:[0,1,1] neg_lo:[0,0,1] neg_hi:[0,0,1]
	v_pk_fma_f32 v[16:17], v[8:9], v[0:1], v[16:17]
	s_cbranch_scc1 .LBB127_14
; %bb.15:                               ;   in Loop: Header=BB127_6 Depth=1
	s_barrier
	s_branch .LBB127_5
.LBB127_16:
	v_mov_b32_e32 v1, v45
.LBB127_17:
	v_cmp_gt_u32_e32 vcc, s8, v49
	s_and_saveexec_b64 s[0:1], vcc
	s_cbranch_execz .LBB127_68
; %bb.18:
	v_add_u32_e32 v0, s14, v41
	v_mul_lo_u32 v5, v49, s10
	v_cmp_gt_u32_e32 vcc, s10, v0
	s_and_saveexec_b64 s[0:1], vcc
	s_cbranch_execz .LBB127_20
; %bb.19:
	v_add_u32_e32 v2, v0, v5
	v_mov_b32_e32 v3, 0
	s_waitcnt lgkmcnt(0)
	v_lshl_add_u64 v[2:3], v[2:3], 2, s[12:13]
	global_store_dword v[2:3], v89, off
.LBB127_20:
	s_or_b64 exec, exec, s[0:1]
	v_add_u32_e32 v2, 32, v0
	v_cmp_gt_u32_e64 s[0:1], s10, v2
	s_and_saveexec_b64 s[2:3], s[0:1]
	s_cbranch_execz .LBB127_22
; %bb.21:
	v_add_u32_e32 v6, v2, v5
	v_mov_b32_e32 v7, 0
	s_waitcnt lgkmcnt(0)
	v_lshl_add_u64 v[6:7], v[6:7], 2, s[12:13]
	global_store_dword v[6:7], v99, off
.LBB127_22:
	s_or_b64 exec, exec, s[2:3]
	v_add_u32_e32 v3, 64, v0
	v_cmp_gt_u32_e64 s[2:3], s10, v3
	s_and_saveexec_b64 s[4:5], s[2:3]
	;; [unrolled: 12-line block ×3, first 2 shown]
	s_cbranch_execz .LBB127_26
; %bb.25:
	v_add_u32_e32 v6, v4, v5
	v_mov_b32_e32 v7, 0
	s_waitcnt lgkmcnt(0)
	v_lshl_add_u64 v[6:7], v[6:7], 2, s[12:13]
	global_store_dword v[6:7], v87, off
.LBB127_26:
	s_or_b64 exec, exec, s[6:7]
	v_add3_u32 v5, v1, s11, 8
	v_cmp_gt_u32_e64 s[6:7], s8, v5
	s_and_b64 exec, exec, s[6:7]
	s_cbranch_execz .LBB127_68
; %bb.27:
	v_mul_lo_u32 v5, v5, s10
	s_and_saveexec_b64 s[6:7], vcc
	s_cbranch_execnz .LBB127_69
; %bb.28:
	s_or_b64 exec, exec, s[6:7]
	s_and_saveexec_b64 s[6:7], s[0:1]
	s_cbranch_execnz .LBB127_70
.LBB127_29:
	s_or_b64 exec, exec, s[6:7]
	s_and_saveexec_b64 s[6:7], s[2:3]
	s_cbranch_execnz .LBB127_71
.LBB127_30:
	s_or_b64 exec, exec, s[6:7]
	s_and_saveexec_b64 s[6:7], s[4:5]
	s_cbranch_execz .LBB127_32
.LBB127_31:
	v_add_u32_e32 v6, v5, v4
	v_mov_b32_e32 v7, 0
	s_waitcnt lgkmcnt(0)
	v_lshl_add_u64 v[6:7], v[6:7], 2, s[12:13]
	global_store_dword v[6:7], v86, off
.LBB127_32:
	s_or_b64 exec, exec, s[6:7]
	v_add3_u32 v5, v1, s11, 16
	v_cmp_gt_u32_e64 s[6:7], s8, v5
	s_and_b64 exec, exec, s[6:7]
	s_cbranch_execz .LBB127_68
; %bb.33:
	v_mul_lo_u32 v5, v5, s10
	s_and_saveexec_b64 s[6:7], vcc
	s_cbranch_execnz .LBB127_72
; %bb.34:
	s_or_b64 exec, exec, s[6:7]
	s_and_saveexec_b64 s[6:7], s[0:1]
	s_cbranch_execnz .LBB127_73
.LBB127_35:
	s_or_b64 exec, exec, s[6:7]
	s_and_saveexec_b64 s[6:7], s[2:3]
	s_cbranch_execnz .LBB127_74
.LBB127_36:
	s_or_b64 exec, exec, s[6:7]
	s_and_saveexec_b64 s[6:7], s[4:5]
	s_cbranch_execz .LBB127_38
.LBB127_37:
	v_add_u32_e32 v6, v5, v4
	v_mov_b32_e32 v7, 0
	s_waitcnt lgkmcnt(0)
	v_lshl_add_u64 v[6:7], v[6:7], 2, s[12:13]
	global_store_dword v[6:7], v32, off
.LBB127_38:
	s_or_b64 exec, exec, s[6:7]
	v_add3_u32 v5, v1, s11, 24
	v_cmp_gt_u32_e64 s[6:7], s8, v5
	s_and_b64 exec, exec, s[6:7]
	s_cbranch_execz .LBB127_68
; %bb.39:
	v_mul_lo_u32 v5, v5, s10
	s_and_saveexec_b64 s[6:7], vcc
	s_cbranch_execnz .LBB127_75
; %bb.40:
	s_or_b64 exec, exec, s[6:7]
	s_and_saveexec_b64 s[6:7], s[0:1]
	s_cbranch_execnz .LBB127_76
.LBB127_41:
	s_or_b64 exec, exec, s[6:7]
	s_and_saveexec_b64 s[6:7], s[2:3]
	s_cbranch_execnz .LBB127_77
.LBB127_42:
	s_or_b64 exec, exec, s[6:7]
	s_and_saveexec_b64 s[6:7], s[4:5]
	s_cbranch_execz .LBB127_44
.LBB127_43:
	v_add_u32_e32 v6, v5, v4
	v_mov_b32_e32 v7, 0
	s_waitcnt lgkmcnt(0)
	v_lshl_add_u64 v[6:7], v[6:7], 2, s[12:13]
	global_store_dword v[6:7], v33, off
.LBB127_44:
	s_or_b64 exec, exec, s[6:7]
	v_add3_u32 v5, v1, s11, 32
	v_cmp_gt_u32_e64 s[6:7], s8, v5
	s_and_b64 exec, exec, s[6:7]
	s_cbranch_execz .LBB127_68
; %bb.45:
	v_mul_lo_u32 v5, v5, s10
	s_and_saveexec_b64 s[6:7], vcc
	s_cbranch_execnz .LBB127_78
; %bb.46:
	s_or_b64 exec, exec, s[6:7]
	s_and_saveexec_b64 s[6:7], s[0:1]
	s_cbranch_execnz .LBB127_79
.LBB127_47:
	s_or_b64 exec, exec, s[6:7]
	s_and_saveexec_b64 s[6:7], s[2:3]
	s_cbranch_execnz .LBB127_80
.LBB127_48:
	s_or_b64 exec, exec, s[6:7]
	s_and_saveexec_b64 s[6:7], s[4:5]
	s_cbranch_execz .LBB127_50
.LBB127_49:
	v_add_u32_e32 v6, v5, v4
	v_mov_b32_e32 v7, 0
	s_waitcnt lgkmcnt(0)
	v_lshl_add_u64 v[6:7], v[6:7], 2, s[12:13]
	global_store_dword v[6:7], v24, off
.LBB127_50:
	s_or_b64 exec, exec, s[6:7]
	v_add3_u32 v5, v1, s11, 40
	v_cmp_gt_u32_e64 s[6:7], s8, v5
	s_and_b64 exec, exec, s[6:7]
	s_cbranch_execz .LBB127_68
; %bb.51:
	v_mul_lo_u32 v5, v5, s10
	s_and_saveexec_b64 s[6:7], vcc
	s_cbranch_execnz .LBB127_81
; %bb.52:
	s_or_b64 exec, exec, s[6:7]
	s_and_saveexec_b64 s[6:7], s[0:1]
	s_cbranch_execnz .LBB127_82
.LBB127_53:
	s_or_b64 exec, exec, s[6:7]
	s_and_saveexec_b64 s[6:7], s[2:3]
	s_cbranch_execnz .LBB127_83
.LBB127_54:
	s_or_b64 exec, exec, s[6:7]
	s_and_saveexec_b64 s[6:7], s[4:5]
	s_cbranch_execz .LBB127_56
.LBB127_55:
	v_add_u32_e32 v6, v5, v4
	v_mov_b32_e32 v7, 0
	s_waitcnt lgkmcnt(0)
	v_lshl_add_u64 v[6:7], v[6:7], 2, s[12:13]
	global_store_dword v[6:7], v25, off
.LBB127_56:
	s_or_b64 exec, exec, s[6:7]
	v_add3_u32 v5, v1, s11, 48
	v_cmp_gt_u32_e64 s[6:7], s8, v5
	s_and_b64 exec, exec, s[6:7]
	s_cbranch_execz .LBB127_68
; %bb.57:
	v_mul_lo_u32 v5, v5, s10
	s_and_saveexec_b64 s[6:7], vcc
	s_cbranch_execnz .LBB127_84
; %bb.58:
	s_or_b64 exec, exec, s[6:7]
	s_and_saveexec_b64 s[6:7], s[0:1]
	s_cbranch_execnz .LBB127_85
.LBB127_59:
	s_or_b64 exec, exec, s[6:7]
	s_and_saveexec_b64 s[6:7], s[2:3]
	s_cbranch_execnz .LBB127_86
.LBB127_60:
	s_or_b64 exec, exec, s[6:7]
	s_and_saveexec_b64 s[6:7], s[4:5]
	s_cbranch_execz .LBB127_62
.LBB127_61:
	v_add_u32_e32 v6, v5, v4
	v_mov_b32_e32 v7, 0
	s_waitcnt lgkmcnt(0)
	v_lshl_add_u64 v[6:7], v[6:7], 2, s[12:13]
	global_store_dword v[6:7], v16, off
.LBB127_62:
	s_or_b64 exec, exec, s[6:7]
	v_add3_u32 v1, v1, s11, 56
	v_cmp_gt_u32_e64 s[6:7], s8, v1
	s_and_b64 exec, exec, s[6:7]
	s_cbranch_execz .LBB127_68
; %bb.63:
	v_mul_lo_u32 v1, v1, s10
	s_and_saveexec_b64 s[6:7], vcc
	s_cbranch_execnz .LBB127_87
; %bb.64:
	s_or_b64 exec, exec, s[6:7]
	s_and_saveexec_b64 s[6:7], s[0:1]
	s_cbranch_execnz .LBB127_88
.LBB127_65:
	s_or_b64 exec, exec, s[6:7]
	s_and_saveexec_b64 s[0:1], s[2:3]
	s_cbranch_execnz .LBB127_89
.LBB127_66:
	s_or_b64 exec, exec, s[0:1]
	s_and_b64 exec, exec, s[4:5]
	s_cbranch_execz .LBB127_68
.LBB127_67:
	v_add_u32_e32 v0, v1, v4
	v_mov_b32_e32 v1, 0
	s_waitcnt lgkmcnt(0)
	v_lshl_add_u64 v[0:1], v[0:1], 2, s[12:13]
	global_store_dword v[0:1], v17, off
.LBB127_68:
	s_endpgm
.LBB127_69:
	v_add_u32_e32 v6, v5, v0
	v_mov_b32_e32 v7, 0
	s_waitcnt lgkmcnt(0)
	v_lshl_add_u64 v[6:7], v[6:7], 2, s[12:13]
	global_store_dword v[6:7], v88, off
	s_or_b64 exec, exec, s[6:7]
	s_and_saveexec_b64 s[6:7], s[0:1]
	s_cbranch_execz .LBB127_29
.LBB127_70:
	v_add_u32_e32 v6, v5, v2
	v_mov_b32_e32 v7, 0
	s_waitcnt lgkmcnt(0)
	v_lshl_add_u64 v[6:7], v[6:7], 2, s[12:13]
	global_store_dword v[6:7], v98, off
	s_or_b64 exec, exec, s[6:7]
	s_and_saveexec_b64 s[6:7], s[2:3]
	s_cbranch_execz .LBB127_30
.LBB127_71:
	v_add_u32_e32 v6, v5, v3
	v_mov_b32_e32 v7, 0
	s_waitcnt lgkmcnt(0)
	v_lshl_add_u64 v[6:7], v[6:7], 2, s[12:13]
	global_store_dword v[6:7], v94, off
	s_or_b64 exec, exec, s[6:7]
	s_and_saveexec_b64 s[6:7], s[4:5]
	s_cbranch_execnz .LBB127_31
	s_branch .LBB127_32
.LBB127_72:
	v_add_u32_e32 v6, v5, v0
	v_mov_b32_e32 v7, 0
	s_waitcnt lgkmcnt(0)
	v_lshl_add_u64 v[6:7], v[6:7], 2, s[12:13]
	global_store_dword v[6:7], v38, off
	s_or_b64 exec, exec, s[6:7]
	s_and_saveexec_b64 s[6:7], s[0:1]
	s_cbranch_execz .LBB127_35
.LBB127_73:
	v_add_u32_e32 v6, v5, v2
	v_mov_b32_e32 v7, 0
	s_waitcnt lgkmcnt(0)
	v_lshl_add_u64 v[6:7], v[6:7], 2, s[12:13]
	global_store_dword v[6:7], v36, off
	s_or_b64 exec, exec, s[6:7]
	s_and_saveexec_b64 s[6:7], s[2:3]
	s_cbranch_execz .LBB127_36
.LBB127_74:
	v_add_u32_e32 v6, v5, v3
	v_mov_b32_e32 v7, 0
	s_waitcnt lgkmcnt(0)
	v_lshl_add_u64 v[6:7], v[6:7], 2, s[12:13]
	global_store_dword v[6:7], v34, off
	s_or_b64 exec, exec, s[6:7]
	s_and_saveexec_b64 s[6:7], s[4:5]
	s_cbranch_execnz .LBB127_37
	s_branch .LBB127_38
.LBB127_75:
	v_add_u32_e32 v6, v5, v0
	v_mov_b32_e32 v7, 0
	s_waitcnt lgkmcnt(0)
	v_lshl_add_u64 v[6:7], v[6:7], 2, s[12:13]
	global_store_dword v[6:7], v39, off
	s_or_b64 exec, exec, s[6:7]
	s_and_saveexec_b64 s[6:7], s[0:1]
	s_cbranch_execz .LBB127_41
.LBB127_76:
	v_add_u32_e32 v6, v5, v2
	v_mov_b32_e32 v7, 0
	s_waitcnt lgkmcnt(0)
	v_lshl_add_u64 v[6:7], v[6:7], 2, s[12:13]
	global_store_dword v[6:7], v37, off
	s_or_b64 exec, exec, s[6:7]
	s_and_saveexec_b64 s[6:7], s[2:3]
	s_cbranch_execz .LBB127_42
.LBB127_77:
	v_add_u32_e32 v6, v5, v3
	v_mov_b32_e32 v7, 0
	s_waitcnt lgkmcnt(0)
	v_lshl_add_u64 v[6:7], v[6:7], 2, s[12:13]
	global_store_dword v[6:7], v35, off
	s_or_b64 exec, exec, s[6:7]
	s_and_saveexec_b64 s[6:7], s[4:5]
	s_cbranch_execnz .LBB127_43
	s_branch .LBB127_44
.LBB127_78:
	v_add_u32_e32 v6, v5, v0
	v_mov_b32_e32 v7, 0
	s_waitcnt lgkmcnt(0)
	v_lshl_add_u64 v[6:7], v[6:7], 2, s[12:13]
	global_store_dword v[6:7], v30, off
	s_or_b64 exec, exec, s[6:7]
	s_and_saveexec_b64 s[6:7], s[0:1]
	s_cbranch_execz .LBB127_47
.LBB127_79:
	v_add_u32_e32 v6, v5, v2
	v_mov_b32_e32 v7, 0
	s_waitcnt lgkmcnt(0)
	v_lshl_add_u64 v[6:7], v[6:7], 2, s[12:13]
	global_store_dword v[6:7], v28, off
	s_or_b64 exec, exec, s[6:7]
	s_and_saveexec_b64 s[6:7], s[2:3]
	s_cbranch_execz .LBB127_48
.LBB127_80:
	v_add_u32_e32 v6, v5, v3
	v_mov_b32_e32 v7, 0
	s_waitcnt lgkmcnt(0)
	v_lshl_add_u64 v[6:7], v[6:7], 2, s[12:13]
	global_store_dword v[6:7], v26, off
	s_or_b64 exec, exec, s[6:7]
	s_and_saveexec_b64 s[6:7], s[4:5]
	s_cbranch_execnz .LBB127_49
	s_branch .LBB127_50
.LBB127_81:
	v_add_u32_e32 v6, v5, v0
	v_mov_b32_e32 v7, 0
	s_waitcnt lgkmcnt(0)
	v_lshl_add_u64 v[6:7], v[6:7], 2, s[12:13]
	global_store_dword v[6:7], v31, off
	s_or_b64 exec, exec, s[6:7]
	s_and_saveexec_b64 s[6:7], s[0:1]
	s_cbranch_execz .LBB127_53
.LBB127_82:
	v_add_u32_e32 v6, v5, v2
	v_mov_b32_e32 v7, 0
	s_waitcnt lgkmcnt(0)
	v_lshl_add_u64 v[6:7], v[6:7], 2, s[12:13]
	global_store_dword v[6:7], v29, off
	s_or_b64 exec, exec, s[6:7]
	s_and_saveexec_b64 s[6:7], s[2:3]
	s_cbranch_execz .LBB127_54
.LBB127_83:
	v_add_u32_e32 v6, v5, v3
	v_mov_b32_e32 v7, 0
	s_waitcnt lgkmcnt(0)
	v_lshl_add_u64 v[6:7], v[6:7], 2, s[12:13]
	global_store_dword v[6:7], v27, off
	s_or_b64 exec, exec, s[6:7]
	s_and_saveexec_b64 s[6:7], s[4:5]
	s_cbranch_execnz .LBB127_55
	s_branch .LBB127_56
.LBB127_84:
	v_add_u32_e32 v6, v5, v0
	v_mov_b32_e32 v7, 0
	s_waitcnt lgkmcnt(0)
	v_lshl_add_u64 v[6:7], v[6:7], 2, s[12:13]
	global_store_dword v[6:7], v22, off
	s_or_b64 exec, exec, s[6:7]
	s_and_saveexec_b64 s[6:7], s[0:1]
	s_cbranch_execz .LBB127_59
.LBB127_85:
	v_add_u32_e32 v6, v5, v2
	v_mov_b32_e32 v7, 0
	s_waitcnt lgkmcnt(0)
	v_lshl_add_u64 v[6:7], v[6:7], 2, s[12:13]
	global_store_dword v[6:7], v20, off
	s_or_b64 exec, exec, s[6:7]
	s_and_saveexec_b64 s[6:7], s[2:3]
	s_cbranch_execz .LBB127_60
.LBB127_86:
	v_add_u32_e32 v6, v5, v3
	v_mov_b32_e32 v7, 0
	s_waitcnt lgkmcnt(0)
	v_lshl_add_u64 v[6:7], v[6:7], 2, s[12:13]
	global_store_dword v[6:7], v18, off
	s_or_b64 exec, exec, s[6:7]
	s_and_saveexec_b64 s[6:7], s[4:5]
	s_cbranch_execnz .LBB127_61
	s_branch .LBB127_62
.LBB127_87:
	v_add_u32_e32 v6, v1, v0
	v_mov_b32_e32 v7, 0
	s_waitcnt lgkmcnt(0)
	v_lshl_add_u64 v[6:7], v[6:7], 2, s[12:13]
	global_store_dword v[6:7], v23, off
	s_or_b64 exec, exec, s[6:7]
	s_and_saveexec_b64 s[6:7], s[0:1]
	s_cbranch_execz .LBB127_65
.LBB127_88:
	v_add_u32_e32 v6, v1, v2
	v_mov_b32_e32 v7, 0
	s_waitcnt lgkmcnt(0)
	v_lshl_add_u64 v[6:7], v[6:7], 2, s[12:13]
	global_store_dword v[6:7], v21, off
	s_or_b64 exec, exec, s[6:7]
	s_and_saveexec_b64 s[0:1], s[2:3]
	s_cbranch_execz .LBB127_66
.LBB127_89:
	v_add_u32_e32 v2, v1, v3
	v_mov_b32_e32 v3, 0
	s_waitcnt lgkmcnt(0)
	v_lshl_add_u64 v[2:3], v[2:3], 2, s[12:13]
	global_store_dword v[2:3], v19, off
	s_or_b64 exec, exec, s[0:1]
	s_and_b64 exec, exec, s[4:5]
	s_cbranch_execnz .LBB127_67
	s_branch .LBB127_68
	.section	.rodata,"a",@progbits
	.p2align	6, 0x0
	.amdhsa_kernel _ZL12mul_mat_q2_KIfLb0EEvPKvS1_PT_iiiii
		.amdhsa_group_segment_fixed_size 31392
		.amdhsa_private_segment_fixed_size 0
		.amdhsa_kernarg_size 44
		.amdhsa_user_sgpr_count 2
		.amdhsa_user_sgpr_dispatch_ptr 0
		.amdhsa_user_sgpr_queue_ptr 0
		.amdhsa_user_sgpr_kernarg_segment_ptr 1
		.amdhsa_user_sgpr_dispatch_id 0
		.amdhsa_user_sgpr_kernarg_preload_length 0
		.amdhsa_user_sgpr_kernarg_preload_offset 0
		.amdhsa_user_sgpr_private_segment_size 0
		.amdhsa_uses_dynamic_stack 0
		.amdhsa_enable_private_segment 0
		.amdhsa_system_sgpr_workgroup_id_x 1
		.amdhsa_system_sgpr_workgroup_id_y 1
		.amdhsa_system_sgpr_workgroup_id_z 0
		.amdhsa_system_sgpr_workgroup_info 0
		.amdhsa_system_vgpr_workitem_id 1
		.amdhsa_next_free_vgpr 225
		.amdhsa_next_free_sgpr 22
		.amdhsa_accum_offset 228
		.amdhsa_reserve_vcc 1
		.amdhsa_float_round_mode_32 0
		.amdhsa_float_round_mode_16_64 0
		.amdhsa_float_denorm_mode_32 3
		.amdhsa_float_denorm_mode_16_64 3
		.amdhsa_dx10_clamp 1
		.amdhsa_ieee_mode 1
		.amdhsa_fp16_overflow 0
		.amdhsa_tg_split 0
		.amdhsa_exception_fp_ieee_invalid_op 0
		.amdhsa_exception_fp_denorm_src 0
		.amdhsa_exception_fp_ieee_div_zero 0
		.amdhsa_exception_fp_ieee_overflow 0
		.amdhsa_exception_fp_ieee_underflow 0
		.amdhsa_exception_fp_ieee_inexact 0
		.amdhsa_exception_int_div_zero 0
	.end_amdhsa_kernel
	.section	.text._ZL12mul_mat_q2_KIfLb0EEvPKvS1_PT_iiiii,"axG",@progbits,_ZL12mul_mat_q2_KIfLb0EEvPKvS1_PT_iiiii,comdat
.Lfunc_end127:
	.size	_ZL12mul_mat_q2_KIfLb0EEvPKvS1_PT_iiiii, .Lfunc_end127-_ZL12mul_mat_q2_KIfLb0EEvPKvS1_PT_iiiii
                                        ; -- End function
	.section	.AMDGPU.csdata,"",@progbits
; Kernel info:
; codeLenInByte = 24740
; NumSgprs: 28
; NumVgprs: 225
; NumAgprs: 0
; TotalNumVgprs: 225
; ScratchSize: 0
; MemoryBound: 0
; FloatMode: 240
; IeeeMode: 1
; LDSByteSize: 31392 bytes/workgroup (compile time only)
; SGPRBlocks: 3
; VGPRBlocks: 28
; NumSGPRsForWavesPerEU: 28
; NumVGPRsForWavesPerEU: 225
; AccumOffset: 228
; Occupancy: 2
; WaveLimiterHint : 0
; COMPUTE_PGM_RSRC2:SCRATCH_EN: 0
; COMPUTE_PGM_RSRC2:USER_SGPR: 2
; COMPUTE_PGM_RSRC2:TRAP_HANDLER: 0
; COMPUTE_PGM_RSRC2:TGID_X_EN: 1
; COMPUTE_PGM_RSRC2:TGID_Y_EN: 1
; COMPUTE_PGM_RSRC2:TGID_Z_EN: 0
; COMPUTE_PGM_RSRC2:TIDIG_COMP_CNT: 1
; COMPUTE_PGM_RSRC3_GFX90A:ACCUM_OFFSET: 56
; COMPUTE_PGM_RSRC3_GFX90A:TG_SPLIT: 0
	.section	.text._ZL12mul_mat_q2_KIfLb1EEvPKvS1_PT_iiiii,"axG",@progbits,_ZL12mul_mat_q2_KIfLb1EEvPKvS1_PT_iiiii,comdat
	.globl	_ZL12mul_mat_q2_KIfLb1EEvPKvS1_PT_iiiii ; -- Begin function _ZL12mul_mat_q2_KIfLb1EEvPKvS1_PT_iiiii
	.p2align	8
	.type	_ZL12mul_mat_q2_KIfLb1EEvPKvS1_PT_iiiii,@function
_ZL12mul_mat_q2_KIfLb1EEvPKvS1_PT_iiiii: ; @_ZL12mul_mat_q2_KIfLb1EEvPKvS1_PT_iiiii
; %bb.0:
	s_load_dwordx4 s[8:11], s[0:1], 0x18
	s_load_dword s14, s[0:1], 0x28
	s_lshl_b32 s15, s3, 6
	v_bfe_u32 v41, v0, 10, 10
	s_waitcnt lgkmcnt(0)
	s_cmpk_gt_i32 s8, 0xff
	s_cbranch_scc1 .LBB128_2
; %bb.1:
	v_bfe_u32 v1, v0, 10, 10
	s_mov_b32 s4, 0
	v_and_b32_e32 v35, 0x3ff, v0
	v_add_u32_e32 v43, s15, v1
	s_mov_b32 s5, s4
	s_mov_b64 s[6:7], 0
	s_branch .LBB128_3
.LBB128_2:
	s_mov_b64 s[6:7], -1
                                        ; implicit-def: $sgpr4_sgpr5
                                        ; implicit-def: $vgpr1
                                        ; implicit-def: $vgpr35
                                        ; implicit-def: $vgpr43
.LBB128_3:
	s_load_dwordx2 s[12:13], s[0:1], 0x10
	s_lshl_b32 s16, s2, 7
	s_andn2_b64 vcc, exec, s[6:7]
	v_mov_b64_e32 v[16:17], s[4:5]
	v_mov_b64_e32 v[24:25], s[4:5]
	;; [unrolled: 1-line block ×16, first 2 shown]
	s_cbranch_vccnz .LBB128_17
; %bb.4:
	s_ashr_i32 s4, s8, 31
	s_load_dwordx4 s[0:3], s[0:1], 0x0
	s_lshr_b32 s4, s4, 24
	s_add_i32 s4, s8, s4
	s_ashr_i32 s5, s11, 31
	s_ashr_i32 s4, s4, 8
	s_lshr_b32 s5, s5, 27
	s_add_i32 s5, s11, s5
	s_mul_i32 s6, s4, s16
	s_ashr_i32 s8, s5, 5
	s_mul_hi_i32 s7, s6, 0x54
	s_mulk_i32 s6, 0x54
	s_waitcnt lgkmcnt(0)
	s_add_u32 s6, s0, s6
	s_addc_u32 s7, s1, s7
	s_not_b32 s0, s16
	s_add_i32 s9, s0, s9
	v_and_b32_e32 v35, 0x3ff, v0
	v_lshlrev_b32_e32 v0, 2, v35
	v_min_i32_e32 v1, s9, v41
	s_movk_i32 s1, 0x84
	v_add_u32_e32 v4, 8, v41
	v_mul_lo_u32 v40, v1, s4
	v_mad_u64_u32 v[42:43], s[18:19], v1, s1, v[0:1]
	v_min_i32_e32 v1, s9, v4
	v_add_u32_e32 v5, 16, v41
	v_mul_lo_u32 v46, v1, s4
	v_mad_u64_u32 v[48:49], s[18:19], v1, s1, v[0:1]
	v_min_i32_e32 v1, s9, v5
	;; [unrolled: 4-line block ×7, first 2 shown]
	v_mul_lo_u32 v72, v1, s4
	v_mad_u64_u32 v[74:75], s[18:19], v1, s1, v[0:1]
	v_add_u32_e32 v1, 64, v41
	v_min_i32_e32 v1, s9, v1
	v_mul_lo_u32 v76, v1, s4
	v_mad_u64_u32 v[78:79], s[18:19], v1, s1, v[0:1]
	v_add_u32_e32 v1, 0x48, v41
	v_min_i32_e32 v1, s9, v1
	;; [unrolled: 4-line block ×8, first 2 shown]
	v_mul_lo_u32 v104, v1, s4
	v_mad_u64_u32 v[106:107], s[18:19], v1, s1, v[0:1]
	v_lshlrev_b32_e32 v47, 4, v41
	v_lshrrev_b32_e32 v1, 1, v35
	v_add_u32_e32 v1, v1, v47
	v_and_b32_e32 v1, 0x7f, v1
	v_min_i32_e32 v1, s9, v1
	v_ashrrev_i32_e32 v2, 31, v1
	v_lshrrev_b32_e32 v2, 28, v2
	v_add_u32_e32 v2, v1, v2
	v_and_b32_e32 v108, 1, v35
	v_ashrrev_i32_e32 v2, 4, v2
	v_lshrrev_b32_e32 v49, 3, v35
	v_mul_lo_u32 v110, v1, s4
	v_lshlrev_b32_e32 v2, 2, v2
	v_lshlrev_b32_e32 v3, 2, v108
	s_movk_i32 s11, 0x7280
	v_lshlrev_b32_e32 v12, 3, v1
	v_lshl_add_u32 v1, v41, 2, v49
	v_add3_u32 v11, v2, v3, s11
	v_min_i32_e32 v3, s9, v1
	v_ashrrev_i32_e32 v13, 31, v3
	v_lshrrev_b32_e32 v13, 30, v13
	v_mul_lo_u32 v116, v3, s4
	v_add_u32_e32 v13, v3, v13
	v_lshlrev_b32_e32 v14, 5, v3
	v_add_u32_e32 v3, 32, v1
	v_min_i32_e32 v3, s9, v3
	v_ashrrev_i32_e32 v15, 31, v3
	v_lshrrev_b32_e32 v15, 30, v15
	v_mul_lo_u32 v120, v3, s4
	v_add_u32_e32 v15, v3, v15
	v_lshlrev_b32_e32 v16, 5, v3
	v_add_u32_e32 v3, 64, v1
	v_min_i32_e32 v3, s9, v3
	v_ashrrev_i32_e32 v17, 31, v3
	v_add_u32_e32 v1, 0x60, v1
	v_lshrrev_b32_e32 v17, 30, v17
	v_min_i32_e32 v1, s9, v1
	v_mul_lo_u32 v124, v3, s4
	v_add_u32_e32 v17, v3, v17
	v_lshlrev_b32_e32 v18, 5, v3
	v_ashrrev_i32_e32 v3, 31, v1
	v_mov_b32_e32 v39, 0
	v_lshrrev_b32_e32 v3, 30, v3
	v_and_b32_e32 v38, 60, v0
	v_and_b32_e32 v114, 12, v0
	v_mul_lo_u32 v130, v1, s4
	v_add_u32_e32 v3, v1, v3
	v_lshlrev_b32_e32 v20, 5, v1
	v_and_b32_e32 v0, 28, v0
	v_mov_b32_e32 v1, v39
	v_lshl_add_u64 v[132:133], s[2:3], 0, v[0:1]
	v_lshrrev_b32_e32 v0, 2, v35
	v_lshl_add_u32 v0, v41, 3, v0
	v_and_b32_e32 v1, 63, v0
	s_add_i32 s9, s10, -1
	v_or_b32_e32 v22, s15, v1
	v_and_b32_e32 v0, 3, v35
	v_min_i32_e32 v22, s9, v22
	v_and_b32_e32 v2, 7, v35
	v_mad_u64_u32 v[134:135], s[18:19], v22, s8, v[0:1]
	v_lshlrev_b32_e32 v0, 2, v0
	v_cmp_lt_u32_e32 vcc, 3, v2
	v_and_b32_e32 v13, -4, v13
	v_lshlrev_b32_e32 v2, 2, v2
	s_movk_i32 s17, 0x6200
	v_and_b32_e32 v15, -4, v15
	v_and_b32_e32 v17, -4, v17
	;; [unrolled: 1-line block ×3, first 2 shown]
	v_add_u32_e32 v43, s15, v41
	v_lshl_or_b32 v0, v1, 4, v0
	v_add3_u32 v13, v13, v2, s17
	v_add3_u32 v15, v15, v2, s17
	;; [unrolled: 1-line block ×4, first 2 shown]
	v_cvt_f64_i32_e32 v[2:3], s9
	v_add_u32_e32 v51, 0x76a0, v0
	v_cvt_f64_u32_e32 v[0:1], v43
	v_and_b32_e32 v21, 31, v35
	v_min_f64 v[0:1], v[0:1], v[2:3]
	v_cvt_i32_f64_e32 v0, v[0:1]
	v_lshlrev_b32_e32 v21, 2, v21
	v_lshlrev_b32_e32 v55, 7, v41
	v_mul_lo_u32 v53, s8, v0
	v_or_b32_e32 v0, v55, v21
	v_add_u32_e32 v57, 0x4200, v0
	v_add_u32_e32 v0, 8, v43
	v_cvt_f64_u32_e32 v[0:1], v0
	v_min_f64 v[0:1], v[0:1], v[2:3]
	v_cvt_i32_f64_e32 v0, v[0:1]
	v_mul_lo_u32 v61, s8, v0
	v_lshl_or_b32 v0, v4, 7, v21
	v_add_u32_e32 v63, 0x4200, v0
	v_add_u32_e32 v0, 16, v43
	v_cvt_f64_u32_e32 v[0:1], v0
	v_min_f64 v[0:1], v[0:1], v[2:3]
	v_cvt_i32_f64_e32 v0, v[0:1]
	v_mul_lo_u32 v65, s8, v0
	v_lshl_or_b32 v0, v5, 7, v21
	;; [unrolled: 7-line block ×6, first 2 shown]
	v_add_u32_e32 v83, 0x4200, v0
	v_add_u32_e32 v0, 56, v43
	v_cvt_f64_u32_e32 v[0:1], v0
	v_min_f64 v[0:1], v[0:1], v[2:3]
	v_cvt_i32_f64_e32 v0, v[0:1]
	v_lshrrev_b32_e32 v34, 4, v35
	v_mul_lo_u32 v85, s8, v0
	v_lshl_or_b32 v0, v10, 7, v21
	v_add_u32_e32 v87, 0x4200, v0
	v_lshlrev_b32_e32 v0, 3, v35
	v_lshlrev_b32_e32 v7, 2, v34
	v_add_u32_e32 v1, 32, v35
	v_add3_u32 v91, v7, v0, s11
	v_mov_b32_e32 v0, 0x1080
	v_mad_u32_u24 v93, v35, s1, v0
	v_lshrrev_b32_e32 v0, 2, v1
	v_lshlrev_b32_e32 v2, 3, v1
	v_and_b32_e32 v0, 0x7c, v0
	v_add_u32_e32 v3, 64, v35
	v_add3_u32 v95, v2, v0, s11
	v_mov_b32_e32 v0, 0x2100
	v_mad_u32_u24 v97, v35, s1, v0
	v_lshrrev_b32_e32 v0, 2, v3
	v_lshlrev_b32_e32 v4, 3, v3
	v_and_b32_e32 v0, 0x7c, v0
	s_mov_b32 s0, 0
	v_add_u32_e32 v5, 0x60, v35
	v_add3_u32 v99, v4, v0, s11
	v_mov_b32_e32 v0, 0x3180
	v_mad_u32_u24 v101, v35, s1, v0
	v_lshrrev_b32_e32 v0, 2, v5
	s_mov_b32 s1, s0
	v_lshlrev_b32_e32 v6, 3, v5
	v_and_b32_e32 v0, 0x7c, v0
	v_and_b32_e32 v111, 0x1fc, v5
	v_lshlrev_b32_e32 v117, 5, v35
	v_and_b32_e32 v121, 0x1fc, v3
	v_and_b32_e32 v131, 0x1fc, v1
	;; [unrolled: 1-line block ×3, first 2 shown]
	v_mov_b64_e32 v[126:127], s[0:1]
	s_movk_i32 s5, 0x54
	v_cndmask_b32_e64 v112, 0, 1, vcc
	v_mov_b32_e32 v115, v39
	v_mul_u32_u24_e32 v89, 0x84, v35
	v_add3_u32 v103, v6, v0, s11
	v_lshrrev_b32_e32 v105, 3, v1
	v_lshrrev_b32_e32 v107, 3, v3
	;; [unrolled: 1-line block ×3, first 2 shown]
	v_or_b32_e32 v113, 0x4200, v111
	v_or_b32_e32 v125, 0x4200, v121
	;; [unrolled: 1-line block ×4, first 2 shown]
	v_add_u32_e32 v141, 0x6e08, v111
	v_add_u32_e32 v143, 0x6a08, v121
	;; [unrolled: 1-line block ×15, first 2 shown]
	s_mov_b32 s1, 0x1010101
	v_mov_b32_e32 v169, 4
	v_mov_b32_e32 v170, 15
	v_mov_b64_e32 v[58:59], v[126:127]
	v_mov_b64_e32 v[30:31], v[126:127]
	;; [unrolled: 1-line block ×15, first 2 shown]
	s_branch .LBB128_6
.LBB128_5:                              ;   in Loop: Header=BB128_6 Depth=1
	s_add_i32 s0, s0, 2
	s_cmp_ge_i32 s0, s4
	s_cbranch_scc1 .LBB128_16
.LBB128_6:                              ; =>This Loop Header: Depth=1
                                        ;     Child Loop BB128_7 Depth 2
                                        ;     Child Loop BB128_9 Depth 2
	;; [unrolled: 1-line block ×4, first 2 shown]
	s_mul_i32 s8, s0, 0x54
	s_mul_hi_u32 s9, s0, 0x54
	s_add_u32 s8, s6, s8
	s_addc_u32 s9, s7, s9
	v_mov_b64_e32 v[0:1], s[8:9]
	v_mad_u64_u32 v[2:3], s[8:9], v34, s5, v[0:1]
	v_lshl_add_u64 v[2:3], v[2:3], 0, v[38:39]
	v_lshl_add_u64 v[2:3], v[2:3], 0, 16
	v_mad_i64_i32 v[4:5], s[8:9], v40, s5, v[2:3]
	v_mad_i64_i32 v[6:7], s[8:9], v46, s5, v[2:3]
	;; [unrolled: 1-line block ×8, first 2 shown]
	global_load_dword v136, v[4:5], off
	global_load_dword v138, v[6:7], off
	;; [unrolled: 1-line block ×8, first 2 shown]
	v_mad_i64_i32 v[4:5], s[8:9], v76, s5, v[2:3]
	v_mad_i64_i32 v[6:7], s[8:9], v80, s5, v[2:3]
	;; [unrolled: 1-line block ×8, first 2 shown]
	global_load_dword v152, v[4:5], off
	global_load_dword v153, v[6:7], off
	;; [unrolled: 1-line block ×8, first 2 shown]
	v_mad_i64_i32 v[2:3], s[8:9], v110, s5, v[0:1]
	v_mad_u64_u32 v[0:1], s[8:9], v112, s5, v[0:1]
	v_lshl_add_u64 v[0:1], v[0:1], 0, v[114:115]
	v_mad_u64_u32 v[2:3], s[8:9], v108, s5, v[2:3]
	v_mad_i64_i32 v[4:5], s[8:9], v116, s5, v[0:1]
	v_mad_i64_i32 v[6:7], s[8:9], v120, s5, v[0:1]
	v_mad_i64_i32 v[8:9], s[8:9], v124, s5, v[0:1]
	v_mad_i64_i32 v[0:1], s[8:9], v130, s5, v[0:1]
	s_lshl_b32 s8, s0, 3
	s_nop 0
	v_add_u32_e32 v144, s8, v49
	global_load_dword v175, v[2:3], off offset:80
	global_load_dword v176, v[4:5], off
	global_load_dword v177, v[6:7], off
	s_nop 0
	global_load_dword v8, v[8:9], off
	s_nop 0
	global_load_dword v178, v[0:1], off
	v_add_u32_e32 v0, v144, v53
	v_add_u32_e32 v2, v144, v61
	;; [unrolled: 1-line block ×6, first 2 shown]
	v_mad_i64_i32 v[0:1], s[18:19], v0, 36, v[132:133]
	v_mad_i64_i32 v[2:3], s[18:19], v2, 36, v[132:133]
	;; [unrolled: 1-line block ×5, first 2 shown]
	v_add_u32_e32 v12, v144, v77
	v_add_u32_e32 v14, v144, v81
	;; [unrolled: 1-line block ×3, first 2 shown]
	v_mad_i64_i32 v[12:13], s[18:19], v12, 36, v[132:133]
	v_mad_i64_i32 v[14:15], s[18:19], v14, 36, v[132:133]
	;; [unrolled: 1-line block ×3, first 2 shown]
	v_mad_u64_u32 v[146:147], s[18:19], v9, 36, s[2:3]
	global_load_dword v0, v[0:1], off offset:4
	s_nop 0
	global_load_dword v1, v[2:3], off offset:4
	s_nop 0
	global_load_dword v2, v[4:5], off offset:4
	global_load_dword v3, v[6:7], off offset:4
	s_nop 0
	global_load_dword v4, v[10:11], off offset:4
	global_load_dword v5, v[146:147], off
	global_load_dword v6, v[12:13], off offset:4
	global_load_dword v7, v[14:15], off offset:4
	s_nop 0
	global_load_dword v10, v[144:145], off offset:4
	s_mov_b32 s17, -2
	v_mov_b32_e32 v11, v55
	v_mov_b32_e32 v13, v47
	s_waitcnt vmcnt(29)
	ds_write_b32 v42, v136
	s_waitcnt vmcnt(28)
	ds_write_b32 v48, v138
	;; [unrolled: 2-line block ×26, first 2 shown]
	s_waitcnt vmcnt(3)
	v_cvt_f32_f16_e32 v0, v5
	s_mov_b32 s9, 0
	s_waitcnt vmcnt(2)
	ds_write_b32 v79, v6
	s_waitcnt vmcnt(1)
	ds_write_b32 v83, v7
	;; [unrolled: 2-line block ×3, first 2 shown]
	ds_write_b32 v51, v0
	s_waitcnt lgkmcnt(0)
	s_barrier
.LBB128_7:                              ;   Parent Loop BB128_6 Depth=1
                                        ; =>  This Inner Loop Header: Depth=2
	s_and_b32 s11, s9, -16
	v_add_u32_e32 v136, s11, v117
	s_add_i32 s11, s17, 2
	s_and_b32 s18, s11, 0x3ffffff8
	s_lshl_b32 s18, s18, 2
	v_add_u32_e32 v0, 0x7400, v13
	v_add_u32_e32 v8, s18, v89
	ds_read2_b32 v[144:145], v0 offset0:168 offset1:200
	ds_read_b128 v[4:7], v11 offset:16896
	ds_read_b128 v[0:3], v11 offset:16912
	ds_read2_b32 v[14:15], v8 offset1:1
	ds_read2_b32 v[146:147], v8 offset0:4 offset1:5
	s_lshr_b32 s19, s11, 2
	s_and_b32 s19, s19, 0x3ffffffc
	v_mov_b32_e32 v148, 0
	s_waitcnt lgkmcnt(1)
	v_ashrrev_i32_e32 v10, s11, v14
	v_and_b32_e32 v175, 0x3030303, v10
	v_ashrrev_i32_e32 v10, s11, v15
	ds_read2_b32 v[14:15], v8 offset0:2 offset1:3
	v_and_b32_e32 v172, 0x3030303, v10
	v_mov_b32_e32 v218, 0
	v_mov_b32_e32 v219, 0
	;; [unrolled: 1-line block ×3, first 2 shown]
	s_waitcnt lgkmcnt(0)
	v_ashrrev_i32_e32 v10, s11, v14
	v_and_b32_e32 v173, 0x3030303, v10
	v_ashrrev_i32_e32 v10, s11, v15
	v_and_b32_e32 v174, 0x3030303, v10
	;; [unrolled: 2-line block ×3, first 2 shown]
	v_ashrrev_i32_e32 v10, s11, v147
	ds_read2_b32 v[146:147], v8 offset0:6 offset1:7
	v_and_b32_e32 v154, 0x3030303, v10
	v_add_u32_e32 v10, s19, v91
	v_mov_b32_e32 v220, 0
	v_mov_b32_e32 v221, 0
	s_waitcnt lgkmcnt(0)
	v_ashrrev_i32_e32 v8, s11, v146
	v_and_b32_e32 v155, 0x3030303, v8
	v_ashrrev_i32_e32 v8, s11, v147
	v_and_b32_e32 v171, 0x3030303, v8
	v_add3_u32 v8, v139, s17, v136
	ds_read_b32 v10, v10
	ds_read_u16 v12, v8 offset:8194
	s_add_i32 s9, s9, 2
	s_cmp_lt_u32 s11, 6
	s_waitcnt lgkmcnt(0)
	v_bfe_u32 v8, v12, 4, 4
	v_mul_lo_u32 v176, v8, s1
	v_mov_b32_e32 v8, 0
	v_and_b32_e32 v192, 15, v12
	v_lshrrev_b32_sdwa v14, v169, v12 dst_sel:DWORD dst_unused:UNUSED_PAD src0_sel:DWORD src1_sel:BYTE_1
	v_and_b32_sdwa v191, v12, v170 dst_sel:DWORD dst_unused:UNUSED_PAD src0_sel:BYTE_1 src1_sel:DWORD
	v_add_u32_e32 v12, s18, v93
	v_dot4c_i32_i8_e32 v8, v175, v4
	v_mul_lo_u32 v189, v14, s1
	v_mov_b32_e32 v14, 0
	ds_read2_b32 v[150:151], v12 offset1:1
	v_dot4c_i32_i8_e32 v8, v172, v5
	v_dot4c_i32_i8_e32 v14, v15, v0
	;; [unrolled: 1-line block ×8, first 2 shown]
	v_mul_lo_u32 v8, v192, v8
	v_dot4c_i32_i8_e32 v148, v176, v5
	v_mad_u64_u32 v[146:147], s[20:21], v191, v14, v[8:9]
	s_waitcnt lgkmcnt(0)
	v_ashrrev_i32_e32 v14, s11, v150
	v_and_b32_e32 v188, 0x3030303, v14
	v_ashrrev_i32_e32 v14, s11, v151
	ds_read2_b32 v[150:151], v12 offset0:2 offset1:3
	v_and_b32_e32 v185, 0x3030303, v14
	v_cvt_f32_i32_e32 v147, v146
	v_dot4c_i32_i8_e32 v148, v176, v6
	v_dot4c_i32_i8_e32 v148, v176, v7
	s_waitcnt lgkmcnt(0)
	v_ashrrev_i32_e32 v14, s11, v150
	v_and_b32_e32 v186, 0x3030303, v14
	v_ashrrev_i32_e32 v14, s11, v151
	ds_read2_b32 v[150:151], v12 offset0:4 offset1:5
	v_and_b32_e32 v187, 0x3030303, v14
	v_dot4c_i32_i8_e32 v148, v189, v0
	v_dot4c_i32_i8_e32 v148, v189, v1
	;; [unrolled: 1-line block ×3, first 2 shown]
	s_waitcnt lgkmcnt(0)
	v_ashrrev_i32_e32 v14, s11, v150
	v_and_b32_e32 v177, 0x3030303, v14
	v_ashrrev_i32_e32 v14, s11, v151
	ds_read2_b32 v[150:151], v12 offset0:6 offset1:7
	v_and_b32_e32 v178, 0x3030303, v14
	v_add_u32_e32 v14, s19, v95
	v_dot4c_i32_i8_e32 v148, v189, v3
	v_cvt_f32_f16_e32 v8, v10
	s_waitcnt lgkmcnt(0)
	v_ashrrev_i32_e32 v12, s11, v150
	v_and_b32_e32 v179, 0x3030303, v12
	v_ashrrev_i32_e32 v12, s11, v151
	v_and_b32_e32 v180, 0x3030303, v12
	v_add3_u32 v12, v135, s17, v136
	ds_read_b32 v14, v14
	ds_read_u16 v138, v12 offset:9218
	v_mov_b32_e32 v150, 0
	v_cvt_f32_f16_sdwa v10, v10 dst_sel:DWORD dst_unused:UNUSED_PAD src0_sel:WORD_1
	s_waitcnt lgkmcnt(0)
	v_bfe_u32 v12, v138, 4, 4
	v_mul_lo_u32 v190, v12, s1
	v_mov_b32_e32 v12, 0
	v_lshrrev_b32_sdwa v140, v169, v138 dst_sel:DWORD dst_unused:UNUSED_PAD src0_sel:DWORD src1_sel:BYTE_1
	v_dot4c_i32_i8_e32 v12, v188, v4
	v_mul_lo_u32 v201, v140, s1
	v_mov_b32_e32 v140, 0
	v_dot4c_i32_i8_e32 v12, v185, v5
	v_dot4c_i32_i8_e32 v140, v177, v0
	;; [unrolled: 1-line block ×5, first 2 shown]
	v_and_b32_e32 v206, 15, v138
	v_dot4c_i32_i8_e32 v140, v179, v2
	v_dot4c_i32_i8_e32 v140, v180, v3
	v_mul_lo_u32 v12, v206, v12
	v_and_b32_sdwa v204, v138, v170 dst_sel:DWORD dst_unused:UNUSED_PAD src0_sel:BYTE_1 src1_sel:DWORD
	v_add_u32_e32 v138, s18, v97
	v_mad_u64_u32 v[152:153], s[20:21], v204, v140, v[12:13]
	v_cvt_f32_i32_e32 v149, v152
	ds_read2_b32 v[152:153], v138 offset1:1
	v_dot4c_i32_i8_e32 v150, v190, v4
	v_dot4c_i32_i8_e32 v150, v190, v5
	;; [unrolled: 1-line block ×4, first 2 shown]
	s_waitcnt lgkmcnt(0)
	v_ashrrev_i32_e32 v140, s11, v152
	v_and_b32_e32 v200, 0x3030303, v140
	v_ashrrev_i32_e32 v140, s11, v153
	ds_read2_b32 v[152:153], v138 offset0:2 offset1:3
	v_and_b32_e32 v197, 0x3030303, v140
	v_dot4c_i32_i8_e32 v150, v201, v0
	v_dot4c_i32_i8_e32 v150, v201, v1
	;; [unrolled: 1-line block ×3, first 2 shown]
	s_waitcnt lgkmcnt(0)
	v_ashrrev_i32_e32 v140, s11, v152
	v_and_b32_e32 v198, 0x3030303, v140
	v_ashrrev_i32_e32 v140, s11, v153
	ds_read2_b32 v[152:153], v138 offset0:4 offset1:5
	v_and_b32_e32 v199, 0x3030303, v140
	v_dot4c_i32_i8_e32 v150, v201, v3
	v_cvt_f32_f16_e32 v12, v14
	v_cvt_f32_f16_sdwa v14, v14 dst_sel:DWORD dst_unused:UNUSED_PAD src0_sel:WORD_1
	s_waitcnt lgkmcnt(0)
	v_ashrrev_i32_e32 v140, s11, v152
	v_and_b32_e32 v193, 0x3030303, v140
	v_ashrrev_i32_e32 v140, s11, v153
	ds_read2_b32 v[152:153], v138 offset0:6 offset1:7
	v_and_b32_e32 v194, 0x3030303, v140
	v_add_u32_e32 v140, s19, v99
	s_waitcnt lgkmcnt(0)
	v_ashrrev_i32_e32 v138, s11, v152
	v_and_b32_e32 v195, 0x3030303, v138
	v_ashrrev_i32_e32 v138, s11, v153
	v_and_b32_e32 v196, 0x3030303, v138
	v_add3_u32 v138, v125, s17, v136
	ds_read_b32 v142, v140
	ds_read_u16 v140, v138 offset:10242
	v_add3_u32 v136, v113, s17, v136
	s_mov_b32 s17, s11
	s_waitcnt lgkmcnt(0)
	v_bfe_u32 v138, v140, 4, 4
	v_mul_lo_u32 v203, v138, s1
	v_mov_b32_e32 v138, 0
	v_lshrrev_b32_sdwa v146, v169, v140 dst_sel:DWORD dst_unused:UNUSED_PAD src0_sel:DWORD src1_sel:BYTE_1
	v_dot4c_i32_i8_e32 v138, v200, v4
	v_mul_lo_u32 v211, v146, s1
	v_mov_b32_e32 v146, 0
	v_dot4c_i32_i8_e32 v138, v197, v5
	v_dot4c_i32_i8_e32 v146, v193, v0
	;; [unrolled: 1-line block ×5, first 2 shown]
	v_and_b32_e32 v214, 15, v140
	v_dot4c_i32_i8_e32 v146, v195, v2
	v_dot4c_i32_i8_e32 v146, v196, v3
	v_mul_lo_u32 v138, v214, v138
	v_and_b32_sdwa v213, v140, v170 dst_sel:DWORD dst_unused:UNUSED_PAD src0_sel:BYTE_1 src1_sel:DWORD
	v_dot4c_i32_i8_e32 v218, v203, v4
	v_mad_u64_u32 v[152:153], s[20:21], v213, v146, v[138:139]
	v_add_u32_e32 v138, s18, v101
	v_cvt_f32_i32_e32 v151, v152
	ds_read2_b32 v[152:153], v138 offset1:1
	v_dot4c_i32_i8_e32 v218, v203, v5
	v_dot4c_i32_i8_e32 v218, v203, v6
	;; [unrolled: 1-line block ×4, first 2 shown]
	s_waitcnt lgkmcnt(0)
	v_ashrrev_i32_e32 v146, s11, v152
	v_and_b32_e32 v210, 0x3030303, v146
	v_ashrrev_i32_e32 v146, s11, v153
	ds_read2_b32 v[152:153], v138 offset0:2 offset1:3
	v_and_b32_e32 v207, 0x3030303, v146
	v_dot4c_i32_i8_e32 v218, v211, v1
	v_dot4c_i32_i8_e32 v218, v211, v2
	;; [unrolled: 1-line block ×3, first 2 shown]
	s_waitcnt lgkmcnt(0)
	v_ashrrev_i32_e32 v146, s11, v152
	v_and_b32_e32 v208, 0x3030303, v146
	v_ashrrev_i32_e32 v146, s11, v153
	ds_read2_b32 v[152:153], v138 offset0:4 offset1:5
	v_and_b32_e32 v209, 0x3030303, v146
	v_cvt_f32_f16_e32 v140, v142
	v_cvt_f32_f16_sdwa v142, v142 dst_sel:DWORD dst_unused:UNUSED_PAD src0_sel:WORD_1
	s_waitcnt lgkmcnt(0)
	v_ashrrev_i32_e32 v146, s11, v152
	v_and_b32_e32 v181, 0x3030303, v146
	v_ashrrev_i32_e32 v146, s11, v153
	ds_read2_b32 v[152:153], v138 offset0:6 offset1:7
	v_and_b32_e32 v182, 0x3030303, v146
	s_waitcnt lgkmcnt(0)
	v_ashrrev_i32_e32 v138, s11, v152
	v_and_b32_e32 v183, 0x3030303, v138
	v_ashrrev_i32_e32 v138, s11, v153
	v_and_b32_e32 v184, 0x3030303, v138
	v_add_u32_e32 v138, s19, v103
	ds_read_b32 v138, v138
	ds_read_u16 v136, v136 offset:11266
	v_mov_b32_e32 v152, 0
	s_waitcnt lgkmcnt(0)
	v_bfe_u32 v146, v136, 4, 4
	v_mul_lo_u32 v212, v146, s1
	v_mov_b32_e32 v146, 0
	v_dot4c_i32_i8_e32 v146, v210, v4
	v_dot4c_i32_i8_e32 v219, v212, v4
	;; [unrolled: 1-line block ×4, first 2 shown]
	v_lshrrev_b32_sdwa v5, v169, v136 dst_sel:DWORD dst_unused:UNUSED_PAD src0_sel:DWORD src1_sel:BYTE_1
	v_mul_lo_u32 v202, v5, s1
	v_mov_b32_e32 v5, 0
	v_dot4c_i32_i8_e32 v219, v212, v6
	v_dot4c_i32_i8_e32 v5, v181, v0
	v_dot4c_i32_i8_e32 v146, v208, v6
	v_dot4c_i32_i8_e32 v219, v212, v7
	v_dot4c_i32_i8_e32 v5, v182, v1
	v_dot4c_i32_i8_e32 v146, v209, v7
	v_and_b32_e32 v215, 15, v136
	v_dot4c_i32_i8_e32 v219, v202, v0
	v_dot4c_i32_i8_e32 v5, v183, v2
	v_mul_lo_u32 v4, v215, v146
	v_dot4c_i32_i8_e32 v219, v202, v1
	v_dot4c_i32_i8_e32 v5, v184, v3
	v_and_b32_sdwa v205, v136, v170 dst_sel:DWORD dst_unused:UNUSED_PAD src0_sel:BYTE_1 src1_sel:DWORD
	v_dot4c_i32_i8_e32 v219, v202, v2
	v_dot4c_i32_i8_e32 v219, v202, v3
	v_mad_u64_u32 v[0:1], s[18:19], v205, v5, v[4:5]
	v_cvt_f32_i32_e32 v153, v0
	ds_read_b128 v[4:7], v11 offset:17920
	ds_read_b128 v[0:3], v11 offset:17936
	v_mov_b32_e32 v146, 0
	v_cvt_f32_f16_e32 v136, v138
	v_cvt_f32_f16_sdwa v138, v138 dst_sel:DWORD dst_unused:UNUSED_PAD src0_sel:WORD_1
	s_waitcnt lgkmcnt(1)
	v_dot4c_i32_i8_e32 v152, v176, v4
	v_dot4c_i32_i8_e32 v152, v176, v5
	;; [unrolled: 1-line block ×6, first 2 shown]
	s_waitcnt lgkmcnt(0)
	v_dot4c_i32_i8_e32 v216, v15, v0
	v_dot4c_i32_i8_e32 v146, v173, v6
	;; [unrolled: 1-line block ×8, first 2 shown]
	v_mul_lo_u32 v146, v146, v192
	v_dot4c_i32_i8_e32 v216, v171, v3
	v_dot4c_i32_i8_e32 v152, v189, v3
	s_nop 1
	v_mad_u64_u32 v[216:217], s[18:19], v216, v191, v[146:147]
	v_cvt_f32_i32_e32 v146, v216
	v_cvt_f32_i32_e32 v217, v148
	;; [unrolled: 1-line block ×3, first 2 shown]
	v_mov_b32_e32 v152, 0
	v_dot4c_i32_i8_e32 v152, v190, v4
	v_dot4c_i32_i8_e32 v152, v190, v5
	v_pk_mul_f32 v[216:217], v[10:11], v[216:217] op_sel_hi:[0,1]
	v_pk_fma_f32 v[216:217], v[8:9], v[146:147], v[216:217] op_sel_hi:[0,1,1] neg_lo:[0,0,1] neg_hi:[0,0,1]
	v_mov_b32_e32 v147, v144
	v_mov_b32_e32 v144, 0
	;; [unrolled: 1-line block ×3, first 2 shown]
	v_dot4c_i32_i8_e32 v144, v188, v4
	v_dot4c_i32_i8_e32 v152, v190, v6
	v_mov_b32_e32 v145, 0
	v_dot4c_i32_i8_e32 v144, v185, v5
	v_dot4c_i32_i8_e32 v152, v190, v7
	;; [unrolled: 1-line block ×10, first 2 shown]
	v_mul_lo_u32 v144, v144, v206
	v_dot4c_i32_i8_e32 v145, v180, v3
	v_dot4c_i32_i8_e32 v152, v201, v3
	v_pk_fma_f32 v[126:127], v[146:147], v[216:217], v[126:127]
	s_nop 0
	v_mad_u64_u32 v[144:145], s[18:19], v145, v204, v[144:145]
	v_cvt_f32_i32_e32 v148, v144
	v_cvt_f32_i32_e32 v145, v150
	;; [unrolled: 1-line block ×3, first 2 shown]
	v_pk_mul_f32 v[144:145], v[14:15], v[144:145] op_sel_hi:[0,1]
	v_pk_fma_f32 v[144:145], v[12:13], v[148:149], v[144:145] op_sel_hi:[0,1,1] neg_lo:[0,0,1] neg_hi:[0,0,1]
	v_mov_b32_e32 v148, 0
	v_dot4c_i32_i8_e32 v148, v203, v4
	v_pk_fma_f32 v[128:129], v[146:147], v[144:145], v[128:129]
	v_mov_b32_e32 v144, 0
	v_dot4c_i32_i8_e32 v148, v203, v5
	v_dot4c_i32_i8_e32 v144, v200, v4
	;; [unrolled: 1-line block ×3, first 2 shown]
	v_mov_b32_e32 v145, 0
	v_dot4c_i32_i8_e32 v144, v197, v5
	v_dot4c_i32_i8_e32 v148, v203, v7
	;; [unrolled: 1-line block ×10, first 2 shown]
	v_mul_lo_u32 v144, v144, v214
	v_dot4c_i32_i8_e32 v145, v196, v3
	v_dot4c_i32_i8_e32 v148, v211, v3
	v_mov_b32_e32 v149, 0
	s_nop 0
	v_mad_u64_u32 v[144:145], s[18:19], v145, v213, v[144:145]
	v_cvt_f32_i32_e32 v150, v144
	v_cvt_f32_i32_e32 v145, v218
	;; [unrolled: 1-line block ×3, first 2 shown]
	v_mov_b32_e32 v218, 0
	v_pk_mul_f32 v[144:145], v[142:143], v[144:145] op_sel_hi:[0,1]
	v_pk_fma_f32 v[144:145], v[140:141], v[150:151], v[144:145] op_sel_hi:[0,1,1] neg_lo:[0,0,1] neg_hi:[0,0,1]
	v_pk_fma_f32 v[122:123], v[146:147], v[144:145], v[122:123]
	v_mov_b32_e32 v145, 0
	v_mov_b32_e32 v144, 0
	v_dot4c_i32_i8_e32 v145, v212, v4
	v_dot4c_i32_i8_e32 v144, v210, v4
	;; [unrolled: 1-line block ×5, first 2 shown]
	v_mov_b32_e32 v5, 0
	v_dot4c_i32_i8_e32 v145, v212, v7
	v_dot4c_i32_i8_e32 v5, v181, v0
	;; [unrolled: 1-line block ×9, first 2 shown]
	v_mul_lo_u32 v4, v144, v215
	v_dot4c_i32_i8_e32 v5, v184, v3
	v_dot4c_i32_i8_e32 v145, v202, v3
	v_mov_b32_e32 v151, 0
	s_nop 0
	v_mad_u64_u32 v[0:1], s[18:19], v5, v205, v[4:5]
	v_cvt_f32_i32_e32 v152, v0
	v_cvt_f32_i32_e32 v1, v219
	;; [unrolled: 1-line block ×3, first 2 shown]
	v_mov_b32_e32 v219, 0
	v_pk_mul_f32 v[0:1], v[138:139], v[0:1] op_sel_hi:[0,1]
	v_pk_fma_f32 v[0:1], v[136:137], v[152:153], v[0:1] op_sel_hi:[0,1,1] neg_lo:[0,0,1] neg_hi:[0,0,1]
	v_pk_fma_f32 v[118:119], v[146:147], v[0:1], v[118:119]
	v_add_u32_e32 v0, 0x7600, v13
	ds_read2_b32 v[144:145], v0 offset0:104 offset1:136
	ds_read_b128 v[4:7], v11 offset:18944
	ds_read_b128 v[0:3], v11 offset:18960
	v_mov_b32_e32 v146, 0
	v_mov_b32_e32 v147, 0
	s_waitcnt lgkmcnt(1)
	v_dot4c_i32_i8_e32 v146, v175, v4
	v_dot4c_i32_i8_e32 v146, v172, v5
	s_waitcnt lgkmcnt(0)
	v_dot4c_i32_i8_e32 v147, v15, v0
	v_dot4c_i32_i8_e32 v146, v173, v6
	;; [unrolled: 1-line block ×7, first 2 shown]
	v_mul_lo_u32 v146, v146, v192
	v_dot4c_i32_i8_e32 v218, v190, v4
	v_mad_u64_u32 v[146:147], s[18:19], v147, v191, v[146:147]
	v_cvt_f32_i32_e32 v152, v146
	v_mov_b32_e32 v146, 0
	v_dot4c_i32_i8_e32 v146, v188, v4
	v_mov_b32_e32 v147, 0
	v_dot4c_i32_i8_e32 v146, v185, v5
	v_dot4c_i32_i8_e32 v147, v177, v0
	;; [unrolled: 1-line block ×8, first 2 shown]
	v_mul_lo_u32 v146, v146, v206
	v_dot4c_i32_i8_e32 v220, v212, v4
	v_mad_u64_u32 v[146:147], s[18:19], v147, v204, v[146:147]
	v_cvt_f32_i32_e32 v150, v146
	v_mov_b32_e32 v146, 0
	v_dot4c_i32_i8_e32 v146, v200, v4
	v_mov_b32_e32 v147, 0
	v_dot4c_i32_i8_e32 v146, v197, v5
	v_dot4c_i32_i8_e32 v147, v193, v0
	;; [unrolled: 1-line block ×8, first 2 shown]
	v_mul_lo_u32 v146, v146, v214
	v_dot4c_i32_i8_e32 v218, v190, v5
	v_mad_u64_u32 v[146:147], s[18:19], v147, v213, v[146:147]
	v_cvt_f32_i32_e32 v148, v146
	v_mov_b32_e32 v146, 0
	v_dot4c_i32_i8_e32 v146, v210, v4
	v_dot4c_i32_i8_e32 v219, v203, v5
	;; [unrolled: 1-line block ×4, first 2 shown]
	v_mov_b32_e32 v5, 0
	v_dot4c_i32_i8_e32 v149, v176, v6
	v_dot4c_i32_i8_e32 v218, v190, v6
	;; [unrolled: 1-line block ×20, first 2 shown]
	v_mul_lo_u32 v4, v146, v215
	v_dot4c_i32_i8_e32 v220, v202, v1
	v_dot4c_i32_i8_e32 v5, v184, v3
	;; [unrolled: 1-line block ×6, first 2 shown]
	v_mad_u64_u32 v[0:1], s[18:19], v5, v205, v[4:5]
	v_dot4c_i32_i8_e32 v149, v189, v3
	v_dot4c_i32_i8_e32 v218, v201, v3
	;; [unrolled: 1-line block ×4, first 2 shown]
	v_cvt_f32_i32_e32 v146, v0
	ds_read_b128 v[4:7], v11 offset:19968
	ds_read_b128 v[0:3], v11 offset:19984
	v_mov_b32_e32 v147, 0
	s_waitcnt lgkmcnt(1)
	v_dot4c_i32_i8_e32 v147, v175, v4
	v_dot4c_i32_i8_e32 v147, v172, v5
	;; [unrolled: 1-line block ×8, first 2 shown]
	s_waitcnt lgkmcnt(0)
	v_dot4c_i32_i8_e32 v151, v189, v0
	v_mul_lo_u32 v216, v147, v192
	v_mov_b32_e32 v147, 0
	v_dot4c_i32_i8_e32 v147, v15, v0
	v_dot4c_i32_i8_e32 v147, v154, v1
	;; [unrolled: 1-line block ×7, first 2 shown]
	s_nop 1
	v_mad_u64_u32 v[216:217], s[18:19], v147, v191, v[216:217]
	v_cvt_f32_i32_e32 v153, v216
	v_cvt_f32_i32_e32 v217, v151
	;; [unrolled: 1-line block ×3, first 2 shown]
	v_mov_b32_e32 v147, 0
	v_dot4c_i32_i8_e32 v147, v188, v4
	v_mov_b32_e32 v149, 0
	v_dot4c_i32_i8_e32 v147, v185, v5
	v_pk_mul_f32 v[216:217], v[10:11], v[216:217] op_sel_hi:[0,1]
	v_dot4c_i32_i8_e32 v149, v190, v4
	v_dot4c_i32_i8_e32 v147, v186, v6
	v_pk_fma_f32 v[152:153], v[8:9], v[152:153], v[216:217] op_sel_hi:[0,1,1] neg_lo:[0,0,1] neg_hi:[0,0,1]
	v_dot4c_i32_i8_e32 v149, v190, v5
	v_dot4c_i32_i8_e32 v147, v187, v7
	v_pk_fma_f32 v[58:59], v[144:145], v[152:153], v[58:59]
	v_dot4c_i32_i8_e32 v149, v190, v6
	v_dot4c_i32_i8_e32 v149, v190, v7
	v_mul_lo_u32 v152, v147, v206
	v_mov_b32_e32 v147, 0
	v_dot4c_i32_i8_e32 v147, v177, v0
	v_dot4c_i32_i8_e32 v149, v201, v0
	;; [unrolled: 1-line block ×8, first 2 shown]
	v_add_u32_e32 v216, 0x7800, v13
	v_mov_b32_e32 v217, 0
	v_mad_u64_u32 v[152:153], s[18:19], v147, v204, v[152:153]
	v_cvt_f32_i32_e32 v151, v152
	v_cvt_f32_i32_e32 v153, v149
	;; [unrolled: 1-line block ×3, first 2 shown]
	v_mov_b32_e32 v147, 0
	v_dot4c_i32_i8_e32 v147, v200, v4
	v_dot4c_i32_i8_e32 v147, v197, v5
	v_pk_mul_f32 v[152:153], v[14:15], v[152:153] op_sel_hi:[0,1]
	v_pk_fma_f32 v[150:151], v[12:13], v[150:151], v[152:153] op_sel_hi:[0,1,1] neg_lo:[0,0,1] neg_hi:[0,0,1]
	v_mov_b32_e32 v152, 0
	v_dot4c_i32_i8_e32 v152, v203, v4
	v_dot4c_i32_i8_e32 v147, v198, v6
	;; [unrolled: 1-line block ×4, first 2 shown]
	v_pk_fma_f32 v[44:45], v[144:145], v[150:151], v[44:45]
	v_dot4c_i32_i8_e32 v152, v203, v6
	v_dot4c_i32_i8_e32 v152, v203, v7
	v_mul_lo_u32 v150, v147, v214
	v_mov_b32_e32 v147, 0
	v_dot4c_i32_i8_e32 v147, v193, v0
	v_dot4c_i32_i8_e32 v152, v211, v0
	;; [unrolled: 1-line block ×8, first 2 shown]
	s_nop 1
	v_mad_u64_u32 v[150:151], s[18:19], v147, v213, v[150:151]
	v_cvt_f32_i32_e32 v149, v150
	v_cvt_f32_i32_e32 v151, v152
	;; [unrolled: 1-line block ×3, first 2 shown]
	v_mov_b32_e32 v147, 0
	v_dot4c_i32_i8_e32 v147, v210, v4
	v_dot4c_i32_i8_e32 v147, v207, v5
	v_pk_mul_f32 v[150:151], v[142:143], v[150:151] op_sel_hi:[0,1]
	v_pk_fma_f32 v[148:149], v[140:141], v[148:149], v[150:151] op_sel_hi:[0,1,1] neg_lo:[0,0,1] neg_hi:[0,0,1]
	v_pk_fma_f32 v[36:37], v[144:145], v[148:149], v[36:37]
	v_mov_b32_e32 v148, 0
	v_dot4c_i32_i8_e32 v148, v212, v4
	v_dot4c_i32_i8_e32 v148, v212, v5
	v_dot4c_i32_i8_e32 v148, v212, v6
	v_mov_b32_e32 v5, 0
	v_dot4c_i32_i8_e32 v148, v212, v7
	v_dot4c_i32_i8_e32 v5, v181, v0
	;; [unrolled: 1-line block ×9, first 2 shown]
	v_mul_lo_u32 v4, v147, v215
	v_dot4c_i32_i8_e32 v5, v184, v3
	v_dot4c_i32_i8_e32 v148, v202, v3
	v_mov_b32_e32 v149, 0
	v_mov_b32_e32 v151, 0
	v_mad_u64_u32 v[0:1], s[18:19], v5, v205, v[4:5]
	v_cvt_f32_i32_e32 v147, v0
	v_cvt_f32_i32_e32 v1, v148
	;; [unrolled: 1-line block ×3, first 2 shown]
	v_mov_b32_e32 v220, 0
	v_pk_mul_f32 v[0:1], v[138:139], v[0:1] op_sel_hi:[0,1]
	v_pk_fma_f32 v[0:1], v[136:137], v[146:147], v[0:1] op_sel_hi:[0,1,1] neg_lo:[0,0,1] neg_hi:[0,0,1]
	v_pk_fma_f32 v[32:33], v[144:145], v[0:1], v[32:33]
	ds_read2_b32 v[144:145], v216 offset0:40 offset1:72
	ds_read_b128 v[4:7], v11 offset:20992
	ds_read_b128 v[0:3], v11 offset:21008
	v_mov_b32_e32 v146, 0
	v_mov_b32_e32 v147, 0
	s_waitcnt lgkmcnt(1)
	v_dot4c_i32_i8_e32 v146, v175, v4
	v_dot4c_i32_i8_e32 v146, v172, v5
	s_waitcnt lgkmcnt(0)
	v_dot4c_i32_i8_e32 v147, v15, v0
	v_dot4c_i32_i8_e32 v146, v173, v6
	;; [unrolled: 1-line block ×7, first 2 shown]
	v_mul_lo_u32 v146, v146, v192
	v_dot4c_i32_i8_e32 v217, v190, v4
	v_mad_u64_u32 v[146:147], s[18:19], v147, v191, v[146:147]
	v_cvt_f32_i32_e32 v152, v146
	v_mov_b32_e32 v146, 0
	v_dot4c_i32_i8_e32 v146, v188, v4
	v_mov_b32_e32 v147, 0
	v_dot4c_i32_i8_e32 v146, v185, v5
	v_dot4c_i32_i8_e32 v147, v177, v0
	;; [unrolled: 1-line block ×8, first 2 shown]
	v_mul_lo_u32 v146, v146, v206
	v_dot4c_i32_i8_e32 v221, v212, v4
	v_mad_u64_u32 v[146:147], s[18:19], v147, v204, v[146:147]
	v_cvt_f32_i32_e32 v150, v146
	v_mov_b32_e32 v146, 0
	v_dot4c_i32_i8_e32 v146, v200, v4
	v_mov_b32_e32 v147, 0
	v_dot4c_i32_i8_e32 v146, v197, v5
	v_dot4c_i32_i8_e32 v147, v193, v0
	;; [unrolled: 1-line block ×8, first 2 shown]
	v_mul_lo_u32 v146, v146, v214
	v_dot4c_i32_i8_e32 v217, v190, v5
	v_mad_u64_u32 v[146:147], s[18:19], v147, v213, v[146:147]
	v_cvt_f32_i32_e32 v148, v146
	v_mov_b32_e32 v146, 0
	v_dot4c_i32_i8_e32 v146, v210, v4
	v_dot4c_i32_i8_e32 v220, v203, v5
	;; [unrolled: 1-line block ×4, first 2 shown]
	v_mov_b32_e32 v5, 0
	v_dot4c_i32_i8_e32 v149, v176, v6
	v_dot4c_i32_i8_e32 v217, v190, v6
	;; [unrolled: 1-line block ×20, first 2 shown]
	v_mul_lo_u32 v4, v146, v215
	v_dot4c_i32_i8_e32 v221, v202, v1
	v_dot4c_i32_i8_e32 v5, v184, v3
	;; [unrolled: 1-line block ×6, first 2 shown]
	v_mad_u64_u32 v[0:1], s[18:19], v5, v205, v[4:5]
	v_dot4c_i32_i8_e32 v149, v189, v3
	v_dot4c_i32_i8_e32 v217, v201, v3
	;; [unrolled: 1-line block ×4, first 2 shown]
	v_cvt_f32_i32_e32 v146, v0
	ds_read_b128 v[4:7], v11 offset:22016
	ds_read_b128 v[0:3], v11 offset:22032
	v_mov_b32_e32 v147, 0
	s_waitcnt lgkmcnt(1)
	v_dot4c_i32_i8_e32 v147, v175, v4
	v_dot4c_i32_i8_e32 v147, v172, v5
	;; [unrolled: 1-line block ×8, first 2 shown]
	s_waitcnt lgkmcnt(0)
	v_dot4c_i32_i8_e32 v151, v189, v0
	v_mul_lo_u32 v218, v147, v192
	v_mov_b32_e32 v147, 0
	v_dot4c_i32_i8_e32 v147, v15, v0
	v_dot4c_i32_i8_e32 v147, v154, v1
	;; [unrolled: 1-line block ×7, first 2 shown]
	s_nop 1
	v_mad_u64_u32 v[218:219], s[18:19], v147, v191, v[218:219]
	v_cvt_f32_i32_e32 v153, v218
	v_cvt_f32_i32_e32 v219, v151
	;; [unrolled: 1-line block ×3, first 2 shown]
	v_mov_b32_e32 v147, 0
	v_dot4c_i32_i8_e32 v147, v188, v4
	v_mov_b32_e32 v149, 0
	v_dot4c_i32_i8_e32 v147, v185, v5
	v_pk_mul_f32 v[218:219], v[10:11], v[218:219] op_sel_hi:[0,1]
	v_dot4c_i32_i8_e32 v149, v190, v4
	v_dot4c_i32_i8_e32 v147, v186, v6
	v_pk_fma_f32 v[152:153], v[8:9], v[152:153], v[218:219] op_sel_hi:[0,1,1] neg_lo:[0,0,1] neg_hi:[0,0,1]
	v_dot4c_i32_i8_e32 v149, v190, v5
	v_dot4c_i32_i8_e32 v147, v187, v7
	v_pk_fma_f32 v[30:31], v[144:145], v[152:153], v[30:31]
	v_dot4c_i32_i8_e32 v149, v190, v6
	v_dot4c_i32_i8_e32 v149, v190, v7
	v_mul_lo_u32 v152, v147, v206
	v_mov_b32_e32 v147, 0
	v_dot4c_i32_i8_e32 v147, v177, v0
	v_dot4c_i32_i8_e32 v149, v201, v0
	v_dot4c_i32_i8_e32 v147, v178, v1
	v_dot4c_i32_i8_e32 v149, v201, v1
	v_dot4c_i32_i8_e32 v147, v179, v2
	v_dot4c_i32_i8_e32 v149, v201, v2
	v_dot4c_i32_i8_e32 v147, v180, v3
	v_dot4c_i32_i8_e32 v149, v201, v3
	v_mov_b32_e32 v218, 0
	s_nop 0
	v_mad_u64_u32 v[152:153], s[18:19], v147, v204, v[152:153]
	v_cvt_f32_i32_e32 v151, v152
	v_cvt_f32_i32_e32 v153, v149
	;; [unrolled: 1-line block ×3, first 2 shown]
	v_mov_b32_e32 v147, 0
	v_dot4c_i32_i8_e32 v147, v200, v4
	v_dot4c_i32_i8_e32 v147, v197, v5
	v_pk_mul_f32 v[152:153], v[14:15], v[152:153] op_sel_hi:[0,1]
	v_pk_fma_f32 v[150:151], v[12:13], v[150:151], v[152:153] op_sel_hi:[0,1,1] neg_lo:[0,0,1] neg_hi:[0,0,1]
	v_mov_b32_e32 v152, 0
	v_dot4c_i32_i8_e32 v152, v203, v4
	v_dot4c_i32_i8_e32 v147, v198, v6
	;; [unrolled: 1-line block ×4, first 2 shown]
	v_pk_fma_f32 v[28:29], v[144:145], v[150:151], v[28:29]
	v_dot4c_i32_i8_e32 v152, v203, v6
	v_dot4c_i32_i8_e32 v152, v203, v7
	v_mul_lo_u32 v150, v147, v214
	v_mov_b32_e32 v147, 0
	v_dot4c_i32_i8_e32 v147, v193, v0
	v_dot4c_i32_i8_e32 v152, v211, v0
	;; [unrolled: 1-line block ×8, first 2 shown]
	v_mov_b32_e32 v217, 0
	s_nop 0
	v_mad_u64_u32 v[150:151], s[18:19], v147, v213, v[150:151]
	v_cvt_f32_i32_e32 v149, v150
	v_cvt_f32_i32_e32 v151, v152
	;; [unrolled: 1-line block ×3, first 2 shown]
	v_mov_b32_e32 v147, 0
	v_dot4c_i32_i8_e32 v147, v210, v4
	v_dot4c_i32_i8_e32 v147, v207, v5
	v_pk_mul_f32 v[150:151], v[142:143], v[150:151] op_sel_hi:[0,1]
	v_pk_fma_f32 v[148:149], v[140:141], v[148:149], v[150:151] op_sel_hi:[0,1,1] neg_lo:[0,0,1] neg_hi:[0,0,1]
	v_pk_fma_f32 v[26:27], v[144:145], v[148:149], v[26:27]
	v_mov_b32_e32 v148, 0
	v_dot4c_i32_i8_e32 v148, v212, v4
	v_dot4c_i32_i8_e32 v148, v212, v5
	v_dot4c_i32_i8_e32 v148, v212, v6
	v_mov_b32_e32 v5, 0
	v_dot4c_i32_i8_e32 v148, v212, v7
	v_dot4c_i32_i8_e32 v5, v181, v0
	;; [unrolled: 1-line block ×9, first 2 shown]
	v_mul_lo_u32 v4, v147, v215
	v_dot4c_i32_i8_e32 v5, v184, v3
	v_dot4c_i32_i8_e32 v148, v202, v3
	v_mov_b32_e32 v149, 0
	v_mov_b32_e32 v151, 0
	v_mad_u64_u32 v[0:1], s[18:19], v5, v205, v[4:5]
	v_cvt_f32_i32_e32 v147, v0
	v_cvt_f32_i32_e32 v1, v148
	;; [unrolled: 1-line block ×3, first 2 shown]
	v_pk_mul_f32 v[0:1], v[138:139], v[0:1] op_sel_hi:[0,1]
	v_pk_fma_f32 v[0:1], v[136:137], v[146:147], v[0:1] op_sel_hi:[0,1,1] neg_lo:[0,0,1] neg_hi:[0,0,1]
	v_pk_fma_f32 v[24:25], v[144:145], v[0:1], v[24:25]
	ds_read2_b32 v[144:145], v216 offset0:104 offset1:136
	ds_read_b128 v[4:7], v11 offset:23040
	ds_read_b128 v[0:3], v11 offset:23056
	v_mov_b32_e32 v146, 0
	v_mov_b32_e32 v147, 0
	v_mov_b32_e32 v216, 0
	s_waitcnt lgkmcnt(1)
	v_dot4c_i32_i8_e32 v146, v175, v4
	v_dot4c_i32_i8_e32 v146, v172, v5
	s_waitcnt lgkmcnt(0)
	v_dot4c_i32_i8_e32 v147, v15, v0
	v_dot4c_i32_i8_e32 v146, v173, v6
	;; [unrolled: 1-line block ×7, first 2 shown]
	v_mul_lo_u32 v146, v146, v192
	v_dot4c_i32_i8_e32 v217, v190, v4
	v_mad_u64_u32 v[146:147], s[18:19], v147, v191, v[146:147]
	v_cvt_f32_i32_e32 v152, v146
	v_mov_b32_e32 v146, 0
	v_dot4c_i32_i8_e32 v146, v188, v4
	v_mov_b32_e32 v147, 0
	v_dot4c_i32_i8_e32 v146, v185, v5
	v_dot4c_i32_i8_e32 v147, v177, v0
	;; [unrolled: 1-line block ×8, first 2 shown]
	v_mul_lo_u32 v146, v146, v206
	v_dot4c_i32_i8_e32 v216, v212, v4
	v_mad_u64_u32 v[146:147], s[18:19], v147, v204, v[146:147]
	v_cvt_f32_i32_e32 v150, v146
	v_mov_b32_e32 v146, 0
	v_dot4c_i32_i8_e32 v146, v200, v4
	v_mov_b32_e32 v147, 0
	v_dot4c_i32_i8_e32 v146, v197, v5
	v_dot4c_i32_i8_e32 v147, v193, v0
	;; [unrolled: 1-line block ×8, first 2 shown]
	v_mul_lo_u32 v146, v146, v214
	v_dot4c_i32_i8_e32 v217, v190, v5
	v_mad_u64_u32 v[146:147], s[18:19], v147, v213, v[146:147]
	v_cvt_f32_i32_e32 v148, v146
	v_mov_b32_e32 v146, 0
	v_dot4c_i32_i8_e32 v146, v210, v4
	v_dot4c_i32_i8_e32 v218, v203, v5
	;; [unrolled: 1-line block ×4, first 2 shown]
	v_mov_b32_e32 v5, 0
	v_dot4c_i32_i8_e32 v149, v176, v6
	v_dot4c_i32_i8_e32 v217, v190, v6
	v_dot4c_i32_i8_e32 v218, v203, v6
	v_dot4c_i32_i8_e32 v216, v212, v6
	v_dot4c_i32_i8_e32 v5, v181, v0
	v_dot4c_i32_i8_e32 v149, v176, v7
	v_dot4c_i32_i8_e32 v217, v190, v7
	v_dot4c_i32_i8_e32 v218, v203, v7
	v_dot4c_i32_i8_e32 v146, v208, v6
	v_dot4c_i32_i8_e32 v216, v212, v7
	v_dot4c_i32_i8_e32 v5, v182, v1
	v_dot4c_i32_i8_e32 v149, v189, v0
	v_dot4c_i32_i8_e32 v217, v201, v0
	v_dot4c_i32_i8_e32 v218, v211, v0
	v_dot4c_i32_i8_e32 v146, v209, v7
	v_dot4c_i32_i8_e32 v216, v202, v0
	v_dot4c_i32_i8_e32 v5, v183, v2
	v_dot4c_i32_i8_e32 v149, v189, v1
	v_dot4c_i32_i8_e32 v217, v201, v1
	v_dot4c_i32_i8_e32 v218, v211, v1
	v_mul_lo_u32 v4, v146, v215
	v_dot4c_i32_i8_e32 v216, v202, v1
	v_dot4c_i32_i8_e32 v5, v184, v3
	;; [unrolled: 1-line block ×6, first 2 shown]
	v_mad_u64_u32 v[0:1], s[18:19], v5, v205, v[4:5]
	v_dot4c_i32_i8_e32 v149, v189, v3
	v_dot4c_i32_i8_e32 v217, v201, v3
	;; [unrolled: 1-line block ×4, first 2 shown]
	v_cvt_f32_i32_e32 v146, v0
	ds_read_b128 v[4:7], v11 offset:24064
	ds_read_b128 v[0:3], v11 offset:24080
	v_mov_b32_e32 v147, 0
	s_waitcnt lgkmcnt(1)
	v_dot4c_i32_i8_e32 v147, v175, v4
	v_dot4c_i32_i8_e32 v147, v172, v5
	;; [unrolled: 1-line block ×8, first 2 shown]
	s_waitcnt lgkmcnt(0)
	v_dot4c_i32_i8_e32 v151, v189, v0
	v_mul_lo_u32 v172, v147, v192
	v_mov_b32_e32 v147, 0
	v_dot4c_i32_i8_e32 v147, v15, v0
	v_dot4c_i32_i8_e32 v147, v154, v1
	;; [unrolled: 1-line block ×7, first 2 shown]
	v_mov_b32_e32 v15, 0
	v_dot4c_i32_i8_e32 v15, v177, v0
	v_mad_u64_u32 v[154:155], s[18:19], v147, v191, v[172:173]
	v_cvt_f32_i32_e32 v153, v154
	v_cvt_f32_i32_e32 v155, v151
	;; [unrolled: 1-line block ×3, first 2 shown]
	v_dot4c_i32_i8_e32 v15, v178, v1
	v_dot4c_i32_i8_e32 v15, v179, v2
	;; [unrolled: 1-line block ×3, first 2 shown]
	v_pk_mul_f32 v[154:155], v[10:11], v[154:155] op_sel_hi:[0,1]
	v_mov_b32_e32 v10, 0
	v_dot4c_i32_i8_e32 v10, v190, v4
	v_pk_fma_f32 v[152:153], v[8:9], v[152:153], v[154:155] op_sel_hi:[0,1,1] neg_lo:[0,0,1] neg_hi:[0,0,1]
	v_mov_b32_e32 v8, 0
	v_dot4c_i32_i8_e32 v10, v190, v5
	v_dot4c_i32_i8_e32 v8, v188, v4
	v_dot4c_i32_i8_e32 v10, v190, v6
	v_dot4c_i32_i8_e32 v8, v185, v5
	v_dot4c_i32_i8_e32 v10, v190, v7
	v_dot4c_i32_i8_e32 v8, v186, v6
	v_dot4c_i32_i8_e32 v10, v201, v0
	v_dot4c_i32_i8_e32 v8, v187, v7
	v_dot4c_i32_i8_e32 v10, v201, v1
	v_dot4c_i32_i8_e32 v10, v201, v2
	v_pk_fma_f32 v[22:23], v[144:145], v[152:153], v[22:23]
	v_mul_lo_u32 v8, v8, v206
	v_dot4c_i32_i8_e32 v10, v201, v3
	v_mad_u64_u32 v[152:153], s[18:19], v15, v204, v[8:9]
	v_cvt_f32_i32_e32 v151, v152
	s_nop 0
	v_cvt_f32_i32_e32 v153, v10
	v_cvt_f32_i32_e32 v152, v217
	v_mov_b32_e32 v10, 0
	v_dot4c_i32_i8_e32 v10, v203, v4
	v_mov_b32_e32 v8, 0
	v_pk_mul_f32 v[14:15], v[14:15], v[152:153] op_sel_hi:[0,1]
	v_dot4c_i32_i8_e32 v10, v203, v5
	v_pk_fma_f32 v[14:15], v[12:13], v[150:151], v[14:15] op_sel_hi:[0,1,1] neg_lo:[0,0,1] neg_hi:[0,0,1]
	v_dot4c_i32_i8_e32 v8, v200, v4
	v_dot4c_i32_i8_e32 v10, v203, v6
	v_mov_b32_e32 v12, 0
	v_dot4c_i32_i8_e32 v8, v197, v5
	v_dot4c_i32_i8_e32 v10, v203, v7
	;; [unrolled: 1-line block ×10, first 2 shown]
	v_mul_lo_u32 v8, v8, v214
	v_dot4c_i32_i8_e32 v12, v196, v3
	v_pk_fma_f32 v[20:21], v[144:145], v[14:15], v[20:21]
	v_dot4c_i32_i8_e32 v10, v211, v3
	v_add_u32_e32 v13, 4, v13
	v_mad_u64_u32 v[14:15], s[18:19], v12, v213, v[8:9]
	s_nop 0
	v_cvt_f32_i32_e32 v15, v10
	v_mov_b32_e32 v10, 0
	v_mov_b32_e32 v8, 0
	v_dot4c_i32_i8_e32 v10, v212, v4
	v_dot4c_i32_i8_e32 v8, v210, v4
	;; [unrolled: 1-line block ×5, first 2 shown]
	v_mov_b32_e32 v5, 0
	v_dot4c_i32_i8_e32 v10, v212, v7
	v_dot4c_i32_i8_e32 v5, v181, v0
	;; [unrolled: 1-line block ×9, first 2 shown]
	v_mul_lo_u32 v4, v8, v215
	v_dot4c_i32_i8_e32 v5, v184, v3
	v_dot4c_i32_i8_e32 v10, v202, v3
	v_cvt_f32_i32_e32 v149, v14
	v_cvt_f32_i32_e32 v14, v218
	v_mad_u64_u32 v[0:1], s[18:19], v5, v205, v[4:5]
	v_cvt_f32_i32_e32 v147, v0
	v_cvt_f32_i32_e32 v1, v10
	;; [unrolled: 1-line block ×3, first 2 shown]
	v_pk_mul_f32 v[14:15], v[142:143], v[14:15] op_sel_hi:[0,1]
	v_pk_fma_f32 v[14:15], v[140:141], v[148:149], v[14:15] op_sel_hi:[0,1,1] neg_lo:[0,0,1] neg_hi:[0,0,1]
	v_pk_fma_f32 v[18:19], v[144:145], v[14:15], v[18:19]
	v_pk_mul_f32 v[0:1], v[138:139], v[0:1] op_sel_hi:[0,1]
	v_pk_fma_f32 v[0:1], v[136:137], v[146:147], v[0:1] op_sel_hi:[0,1,1] neg_lo:[0,0,1] neg_hi:[0,0,1]
	v_pk_fma_f32 v[16:17], v[144:145], v[0:1], v[16:17]
	v_add_u32_e32 v11, 32, v11
	s_cbranch_scc1 .LBB128_7
; %bb.8:                                ;   in Loop: Header=BB128_6 Depth=1
	v_add_u32_e32 v8, s8, v105
	v_add_u32_e32 v0, v8, v53
	;; [unrolled: 1-line block ×9, first 2 shown]
	v_mad_i64_i32 v[144:145], s[18:19], v8, 36, v[132:133]
	v_add_u32_e32 v8, 4, v9
	v_mad_i64_i32 v[0:1], s[18:19], v0, 36, v[132:133]
	v_mad_i64_i32 v[2:3], s[18:19], v2, 36, v[132:133]
	;; [unrolled: 1-line block ×4, first 2 shown]
	v_mad_u64_u32 v[146:147], s[18:19], v8, 36, s[2:3]
	s_barrier
	v_mad_i64_i32 v[10:11], s[18:19], v10, 36, v[132:133]
	v_mad_i64_i32 v[12:13], s[18:19], v12, 36, v[132:133]
	;; [unrolled: 1-line block ×3, first 2 shown]
	global_load_dword v8, v[146:147], off
	s_nop 0
	global_load_dword v0, v[0:1], off offset:4
	s_nop 0
	global_load_dword v1, v[2:3], off offset:4
	;; [unrolled: 2-line block ×3, first 2 shown]
	global_load_dword v3, v[6:7], off offset:4
	s_nop 0
	global_load_dword v4, v[10:11], off offset:4
	global_load_dword v5, v[12:13], off offset:4
	;; [unrolled: 1-line block ×4, first 2 shown]
	s_mov_b32 s9, 8
	s_mov_b32 s11, 0
	v_mov_b32_e32 v11, v159
	v_mov_b32_e32 v13, v158
	s_waitcnt vmcnt(8)
	v_cvt_f32_f16_e32 v8, v8
	s_waitcnt vmcnt(7)
	ds_write_b32 v57, v0
	s_waitcnt vmcnt(6)
	ds_write_b32 v63, v1
	;; [unrolled: 2-line block ×8, first 2 shown]
	ds_write_b32 v51, v8
	s_waitcnt lgkmcnt(0)
	s_barrier
.LBB128_9:                              ;   Parent Loop BB128_6 Depth=1
                                        ; =>  This Inner Loop Header: Depth=2
	s_add_i32 s17, s11, 8
	s_and_b32 s19, s17, 0x3ffffff8
	s_lshl_b32 s19, s19, 2
	v_add_u32_e32 v8, s19, v89
	ds_read2_b32 v[144:145], v13 offset1:32
	ds_read_b128 v[4:7], v11
	ds_read_b128 v[0:3], v11 offset:16
	ds_read2_b32 v[14:15], v8 offset1:1
	s_lshr_b32 s20, s17, 2
	s_and_b32 s18, s9, -16
	v_add_u32_e32 v136, s11, v117
	s_and_b32 s20, s20, 0x3ffffffc
	s_waitcnt lgkmcnt(0)
	v_ashrrev_i32_e32 v10, s11, v14
	v_and_b32_e32 v187, 0x3030303, v10
	v_ashrrev_i32_e32 v10, s11, v15
	ds_read2_b32 v[14:15], v8 offset0:2 offset1:3
	v_and_b32_e32 v184, 0x3030303, v10
	v_mov_b32_e32 v213, 0
	v_mov_b32_e32 v215, 0
	;; [unrolled: 1-line block ×3, first 2 shown]
	s_waitcnt lgkmcnt(0)
	v_ashrrev_i32_e32 v10, s11, v14
	v_and_b32_e32 v185, 0x3030303, v10
	v_ashrrev_i32_e32 v10, s11, v15
	ds_read2_b32 v[14:15], v8 offset0:4 offset1:5
	v_and_b32_e32 v186, 0x3030303, v10
	v_mov_b32_e32 v221, 0
	v_mov_b32_e32 v147, 0
	;; [unrolled: 1-line block ×3, first 2 shown]
	s_waitcnt lgkmcnt(0)
	v_ashrrev_i32_e32 v10, s11, v14
	v_and_b32_e32 v177, 0x3030303, v10
	v_ashrrev_i32_e32 v10, s11, v15
	ds_read2_b32 v[14:15], v8 offset0:6 offset1:7
	v_and_b32_e32 v178, 0x3030303, v10
	v_add_u32_e32 v10, s20, v91
	v_mov_b32_e32 v216, 0
	v_mov_b32_e32 v220, 0
	s_waitcnt lgkmcnt(0)
	v_ashrrev_i32_e32 v8, s11, v14
	v_and_b32_e32 v179, 0x3030303, v8
	v_ashrrev_i32_e32 v8, s11, v15
	v_and_b32_e32 v180, 0x3030303, v8
	v_add3_u32 v8, v157, s18, v136
	ds_read_b32 v10, v10
	ds_read_u16 v8, v8
	v_dot4c_i32_i8_e32 v147, v187, v4
	v_dot4c_i32_i8_e32 v147, v184, v5
	;; [unrolled: 1-line block ×3, first 2 shown]
	s_waitcnt lgkmcnt(1)
	v_cvt_f32_f16_sdwa v14, v10 dst_sel:DWORD dst_unused:UNUSED_PAD src0_sel:WORD_1
	s_waitcnt lgkmcnt(0)
	v_bfe_u32 v12, v8, 4, 4
	v_mul_lo_u32 v205, v12, s1
	v_and_b32_e32 v196, 15, v8
	v_lshrrev_b32_sdwa v12, v169, v8 dst_sel:DWORD dst_unused:UNUSED_PAD src0_sel:DWORD src1_sel:BYTE_1
	v_and_b32_sdwa v206, v8, v170 dst_sel:DWORD dst_unused:UNUSED_PAD src0_sel:BYTE_1 src1_sel:DWORD
	v_add_u32_e32 v8, s19, v93
	v_mul_lo_u32 v204, v12, s1
	v_mov_b32_e32 v12, 0
	ds_read2_b32 v[148:149], v8 offset1:1
	v_dot4c_i32_i8_e32 v12, v177, v0
	v_dot4c_i32_i8_e32 v12, v178, v1
	;; [unrolled: 1-line block ×7, first 2 shown]
	v_mul_lo_u32 v146, v206, v12
	v_cvt_f32_f16_e32 v12, v10
	s_waitcnt lgkmcnt(0)
	v_ashrrev_i32_e32 v10, s11, v148
	v_and_b32_e32 v201, 0x3030303, v10
	v_ashrrev_i32_e32 v10, s11, v149
	ds_read2_b32 v[148:149], v8 offset0:2 offset1:3
	v_and_b32_e32 v198, 0x3030303, v10
	v_dot4c_i32_i8_e32 v214, v201, v4
	v_dot4c_i32_i8_e32 v213, v205, v7
	;; [unrolled: 1-line block ×3, first 2 shown]
	s_waitcnt lgkmcnt(0)
	v_ashrrev_i32_e32 v10, s11, v148
	v_and_b32_e32 v199, 0x3030303, v10
	v_ashrrev_i32_e32 v10, s11, v149
	ds_read2_b32 v[148:149], v8 offset0:4 offset1:5
	v_and_b32_e32 v200, 0x3030303, v10
	v_dot4c_i32_i8_e32 v213, v204, v1
	v_dot4c_i32_i8_e32 v214, v198, v5
	;; [unrolled: 1-line block ×3, first 2 shown]
	s_waitcnt lgkmcnt(0)
	v_ashrrev_i32_e32 v10, s11, v148
	v_and_b32_e32 v191, 0x3030303, v10
	v_ashrrev_i32_e32 v10, s11, v149
	ds_read2_b32 v[148:149], v8 offset0:6 offset1:7
	v_and_b32_e32 v192, 0x3030303, v10
	v_add_u32_e32 v10, s20, v95
	v_dot4c_i32_i8_e32 v214, v199, v6
	v_dot4c_i32_i8_e32 v147, v186, v7
	s_waitcnt lgkmcnt(0)
	v_ashrrev_i32_e32 v8, s11, v148
	v_and_b32_e32 v193, 0x3030303, v8
	v_ashrrev_i32_e32 v8, s11, v149
	v_and_b32_e32 v194, 0x3030303, v8
	v_add3_u32 v8, v156, s18, v136
	ds_read_b32 v10, v10
	ds_read_u16 v8, v8
	v_dot4c_i32_i8_e32 v213, v204, v3
	v_dot4c_i32_i8_e32 v214, v200, v7
	v_mov_b32_e32 v222, 0
	s_waitcnt lgkmcnt(1)
	v_cvt_f32_f16_e32 v140, v10
	s_waitcnt lgkmcnt(0)
	v_bfe_u32 v15, v8, 4, 4
	v_mul_lo_u32 v203, v15, s1
	v_and_b32_e32 v209, 15, v8
	v_lshrrev_b32_sdwa v15, v169, v8 dst_sel:DWORD dst_unused:UNUSED_PAD src0_sel:DWORD src1_sel:BYTE_1
	v_and_b32_sdwa v212, v8, v170 dst_sel:DWORD dst_unused:UNUSED_PAD src0_sel:BYTE_1 src1_sel:DWORD
	v_add_u32_e32 v8, s19, v97
	ds_read2_b32 v[150:151], v8 offset1:1
	ds_read2_b32 v[152:153], v8 offset0:6 offset1:7
	v_cvt_f32_f16_sdwa v142, v10 dst_sel:DWORD dst_unused:UNUSED_PAD src0_sel:WORD_1
	v_mul_lo_u32 v211, v15, s1
	v_mov_b32_e32 v15, 0
	s_waitcnt lgkmcnt(1)
	v_ashrrev_i32_e32 v10, s11, v150
	v_and_b32_e32 v210, 0x3030303, v10
	v_ashrrev_i32_e32 v10, s11, v151
	ds_read2_b32 v[150:151], v8 offset0:2 offset1:3
	v_and_b32_e32 v154, 0x3030303, v10
	v_dot4c_i32_i8_e32 v15, v191, v0
	v_dot4c_i32_i8_e32 v15, v192, v1
	;; [unrolled: 1-line block ×3, first 2 shown]
	s_waitcnt lgkmcnt(0)
	v_ashrrev_i32_e32 v10, s11, v150
	v_and_b32_e32 v155, 0x3030303, v10
	v_ashrrev_i32_e32 v10, s11, v151
	ds_read2_b32 v[150:151], v8 offset0:4 offset1:5
	v_dot4c_i32_i8_e32 v15, v194, v3
	v_and_b32_e32 v171, 0x3030303, v10
	v_ashrrev_i32_e32 v8, s11, v152
	v_dot4c_i32_i8_e32 v215, v203, v4
	s_waitcnt lgkmcnt(0)
	v_ashrrev_i32_e32 v10, s11, v150
	v_mul_lo_u32 v148, v212, v15
	v_and_b32_e32 v15, 0x3030303, v10
	v_ashrrev_i32_e32 v10, s11, v151
	v_and_b32_e32 v151, 0x3030303, v8
	v_ashrrev_i32_e32 v8, s11, v153
	v_and_b32_e32 v149, 0x3030303, v10
	v_and_b32_e32 v153, 0x3030303, v8
	v_add3_u32 v8, v143, s18, v136
	v_add_u32_e32 v10, s20, v99
	ds_read_b32 v10, v10
	ds_read_u16 v8, v8
	v_add3_u32 v136, v141, s18, v136
	v_dot4c_i32_i8_e32 v215, v203, v5
	v_dot4c_i32_i8_e32 v216, v210, v4
	;; [unrolled: 1-line block ×3, first 2 shown]
	s_waitcnt lgkmcnt(0)
	v_bfe_u32 v138, v8, 4, 4
	v_mul_lo_u32 v176, v138, s1
	v_lshrrev_b32_sdwa v138, v169, v8 dst_sel:DWORD dst_unused:UNUSED_PAD src0_sel:DWORD src1_sel:BYTE_1
	v_mul_lo_u32 v195, v138, s1
	v_mov_b32_e32 v138, 0
	v_dot4c_i32_i8_e32 v138, v15, v0
	v_dot4c_i32_i8_e32 v138, v149, v1
	;; [unrolled: 1-line block ×4, first 2 shown]
	v_and_b32_sdwa v197, v8, v170 dst_sel:DWORD dst_unused:UNUSED_PAD src0_sel:BYTE_1 src1_sel:DWORD
	v_dot4c_i32_i8_e32 v217, v176, v4
	v_dot4c_i32_i8_e32 v217, v176, v5
	v_mul_lo_u32 v150, v197, v138
	v_add_u32_e32 v138, s19, v101
	ds_read2_b32 v[172:173], v138 offset1:1
	ds_read2_b32 v[174:175], v138 offset0:6 offset1:7
	v_dot4c_i32_i8_e32 v217, v176, v6
	v_dot4c_i32_i8_e32 v215, v203, v7
	;; [unrolled: 1-line block ×3, first 2 shown]
	s_waitcnt lgkmcnt(1)
	v_ashrrev_i32_e32 v152, s11, v172
	v_and_b32_e32 v189, 0x3030303, v152
	v_ashrrev_i32_e32 v152, s11, v173
	ds_read2_b32 v[172:173], v138 offset0:2 offset1:3
	v_and_b32_e32 v181, 0x3030303, v152
	v_dot4c_i32_i8_e32 v220, v189, v4
	v_dot4c_i32_i8_e32 v215, v211, v0
	;; [unrolled: 1-line block ×3, first 2 shown]
	s_waitcnt lgkmcnt(0)
	v_ashrrev_i32_e32 v152, s11, v172
	v_and_b32_e32 v182, 0x3030303, v152
	v_ashrrev_i32_e32 v152, s11, v173
	ds_read2_b32 v[172:173], v138 offset0:4 offset1:5
	v_ashrrev_i32_e32 v138, s11, v174
	v_and_b32_e32 v174, 0x3030303, v138
	v_ashrrev_i32_e32 v138, s11, v175
	v_and_b32_e32 v175, 0x3030303, v138
	v_add_u32_e32 v138, s20, v103
	ds_read_b32 v138, v138
	ds_read_u16 v136, v136
	v_and_b32_e32 v183, 0x3030303, v152
	s_waitcnt lgkmcnt(2)
	v_ashrrev_i32_e32 v152, s11, v172
	v_and_b32_e32 v172, 0x3030303, v152
	v_ashrrev_i32_e32 v152, s11, v173
	v_and_b32_e32 v173, 0x3030303, v152
	s_waitcnt lgkmcnt(0)
	v_bfe_u32 v152, v136, 4, 4
	v_mul_lo_u32 v190, v152, s1
	v_dot4c_i32_i8_e32 v221, v190, v4
	v_dot4c_i32_i8_e32 v221, v190, v5
	v_lshrrev_b32_sdwa v4, v169, v136 dst_sel:DWORD dst_unused:UNUSED_PAD src0_sel:DWORD src1_sel:BYTE_1
	v_dot4c_i32_i8_e32 v221, v190, v6
	v_mul_lo_u32 v207, v4, s1
	v_mov_b32_e32 v4, 0
	v_dot4c_i32_i8_e32 v221, v190, v7
	v_dot4c_i32_i8_e32 v4, v172, v0
	v_dot4c_i32_i8_e32 v221, v207, v0
	v_dot4c_i32_i8_e32 v4, v173, v1
	v_dot4c_i32_i8_e32 v215, v211, v1
	v_dot4c_i32_i8_e32 v216, v154, v5
	v_dot4c_i32_i8_e32 v217, v195, v1
	v_dot4c_i32_i8_e32 v220, v181, v5
	v_dot4c_i32_i8_e32 v221, v207, v1
	v_dot4c_i32_i8_e32 v4, v174, v2
	v_dot4c_i32_i8_e32 v215, v211, v2
	v_dot4c_i32_i8_e32 v216, v155, v6
	v_dot4c_i32_i8_e32 v217, v195, v2
	v_dot4c_i32_i8_e32 v220, v182, v6
	v_dot4c_i32_i8_e32 v221, v207, v2
	v_dot4c_i32_i8_e32 v4, v175, v3
	v_and_b32_sdwa v208, v136, v170 dst_sel:DWORD dst_unused:UNUSED_PAD src0_sel:BYTE_1 src1_sel:DWORD
	v_dot4c_i32_i8_e32 v215, v211, v3
	v_dot4c_i32_i8_e32 v216, v171, v7
	;; [unrolled: 1-line block ×5, first 2 shown]
	v_mul_lo_u32 v152, v208, v4
	ds_read_b128 v[4:7], v11 offset:1024
	ds_read_b128 v[0:3], v11 offset:1040
	v_mov_b32_e32 v218, 0
	v_mov_b32_e32 v219, 0
	v_mad_u64_u32 v[146:147], s[18:19], v196, v147, v[146:147]
	s_waitcnt lgkmcnt(1)
	v_dot4c_i32_i8_e32 v222, v205, v4
	v_dot4c_i32_i8_e32 v222, v205, v5
	;; [unrolled: 1-line block ×6, first 2 shown]
	s_waitcnt lgkmcnt(0)
	v_dot4c_i32_i8_e32 v219, v177, v0
	v_dot4c_i32_i8_e32 v218, v185, v6
	;; [unrolled: 1-line block ×8, first 2 shown]
	v_mul_lo_u32 v218, v218, v196
	v_dot4c_i32_i8_e32 v219, v180, v3
	v_dot4c_i32_i8_e32 v222, v204, v3
	v_cvt_f32_i32_e32 v147, v146
	v_cvt_f32_i32_e32 v215, v215
	v_mad_u64_u32 v[218:219], s[18:19], v219, v206, v[218:219]
	v_cvt_f32_i32_e32 v146, v218
	v_cvt_f32_i32_e32 v219, v213
	;; [unrolled: 1-line block ×3, first 2 shown]
	v_mov_b32_e32 v213, 0
	v_dot4c_i32_i8_e32 v213, v203, v4
	v_dot4c_i32_i8_e32 v213, v203, v5
	v_pk_mul_f32 v[218:219], v[14:15], v[218:219] op_sel_hi:[0,1]
	v_pk_fma_f32 v[218:219], v[12:13], v[146:147], v[218:219] op_sel_hi:[0,1,1] neg_lo:[0,0,1] neg_hi:[0,0,1]
	v_mov_b32_e32 v147, v144
	v_mov_b32_e32 v144, 0
	v_dot4c_i32_i8_e32 v213, v203, v6
	v_mov_b32_e32 v146, v145
	v_dot4c_i32_i8_e32 v144, v201, v4
	v_dot4c_i32_i8_e32 v213, v203, v7
	v_mov_b32_e32 v145, 0
	v_dot4c_i32_i8_e32 v144, v198, v5
	v_dot4c_i32_i8_e32 v145, v191, v0
	;; [unrolled: 1-line block ×10, first 2 shown]
	v_mul_lo_u32 v144, v144, v209
	v_dot4c_i32_i8_e32 v213, v211, v3
	v_pk_fma_f32 v[126:127], v[146:147], v[218:219], v[126:127]
	v_mad_u64_u32 v[144:145], s[18:19], v145, v212, v[144:145]
	v_mad_u64_u32 v[218:219], s[18:19], v209, v214, v[148:149]
	v_cvt_f32_i32_e32 v214, v213
	v_cvt_f32_i32_e32 v145, v218
	;; [unrolled: 1-line block ×3, first 2 shown]
	v_mov_b32_e32 v148, 0
	v_pk_mul_f32 v[214:215], v[142:143], v[214:215] op_sel_hi:[0,1]
	v_dot4c_i32_i8_e32 v148, v176, v4
	v_pk_fma_f32 v[144:145], v[140:141], v[144:145], v[214:215] op_sel_hi:[0,1,1] neg_lo:[0,0,1] neg_hi:[0,0,1]
	v_pk_fma_f32 v[128:129], v[146:147], v[144:145], v[128:129]
	v_mov_b32_e32 v144, 0
	v_dot4c_i32_i8_e32 v148, v176, v5
	v_dot4c_i32_i8_e32 v144, v210, v4
	;; [unrolled: 1-line block ×3, first 2 shown]
	v_mov_b32_e32 v145, 0
	v_dot4c_i32_i8_e32 v144, v154, v5
	v_dot4c_i32_i8_e32 v148, v176, v7
	;; [unrolled: 1-line block ×6, first 2 shown]
	v_and_b32_e32 v188, 15, v8
	v_dot4c_i32_i8_e32 v144, v171, v7
	v_dot4c_i32_i8_e32 v148, v195, v1
	;; [unrolled: 1-line block ×4, first 2 shown]
	v_mul_lo_u32 v144, v144, v188
	v_dot4c_i32_i8_e32 v145, v153, v3
	v_dot4c_i32_i8_e32 v148, v195, v3
	v_mad_u64_u32 v[214:215], s[18:19], v188, v216, v[150:151]
	s_nop 0
	v_mad_u64_u32 v[144:145], s[18:19], v145, v197, v[144:145]
	v_cvt_f32_f16_e32 v8, v10
	v_cvt_f32_f16_sdwa v10, v10 dst_sel:DWORD dst_unused:UNUSED_PAD src0_sel:WORD_1
	v_cvt_f32_i32_e32 v145, v214
	v_cvt_f32_i32_e32 v215, v217
	;; [unrolled: 1-line block ×4, first 2 shown]
	v_and_b32_e32 v202, 15, v136
	v_cvt_f32_f16_e32 v136, v138
	v_pk_mul_f32 v[214:215], v[10:11], v[214:215] op_sel_hi:[0,1]
	v_pk_fma_f32 v[144:145], v[8:9], v[144:145], v[214:215] op_sel_hi:[0,1,1] neg_lo:[0,0,1] neg_hi:[0,0,1]
	v_pk_fma_f32 v[122:123], v[146:147], v[144:145], v[122:123]
	v_mov_b32_e32 v145, 0
	v_mov_b32_e32 v144, 0
	v_dot4c_i32_i8_e32 v145, v190, v4
	v_dot4c_i32_i8_e32 v144, v189, v4
	;; [unrolled: 1-line block ×5, first 2 shown]
	v_mov_b32_e32 v5, 0
	v_dot4c_i32_i8_e32 v145, v190, v7
	v_dot4c_i32_i8_e32 v5, v172, v0
	;; [unrolled: 1-line block ×9, first 2 shown]
	v_mul_lo_u32 v4, v144, v202
	v_dot4c_i32_i8_e32 v5, v175, v3
	v_dot4c_i32_i8_e32 v145, v207, v3
	v_mad_u64_u32 v[2:3], s[18:19], v202, v220, v[152:153]
	s_nop 0
	v_mad_u64_u32 v[0:1], s[18:19], v5, v208, v[4:5]
	v_cvt_f32_f16_sdwa v138, v138 dst_sel:DWORD dst_unused:UNUSED_PAD src0_sel:WORD_1
	v_cvt_f32_i32_e32 v1, v2
	v_cvt_f32_i32_e32 v3, v221
	;; [unrolled: 1-line block ×4, first 2 shown]
	v_mov_b32_e32 v213, 0
	v_mov_b32_e32 v219, 0
	v_pk_mul_f32 v[2:3], v[138:139], v[2:3] op_sel_hi:[0,1]
	v_pk_fma_f32 v[0:1], v[136:137], v[0:1], v[2:3] op_sel_hi:[0,1,1] neg_lo:[0,0,1] neg_hi:[0,0,1]
	v_pk_fma_f32 v[118:119], v[146:147], v[0:1], v[118:119]
	ds_read2_b32 v[144:145], v13 offset0:64 offset1:96
	ds_read_b128 v[0:3], v11 offset:2048
	ds_read_b128 v[4:7], v11 offset:2064
	v_mov_b32_e32 v146, 0
	v_mov_b32_e32 v221, 0
	;; [unrolled: 1-line block ×3, first 2 shown]
	s_waitcnt lgkmcnt(1)
	v_dot4c_i32_i8_e32 v213, v205, v0
	s_waitcnt lgkmcnt(0)
	v_dot4c_i32_i8_e32 v146, v177, v4
	v_dot4c_i32_i8_e32 v146, v178, v5
	v_dot4c_i32_i8_e32 v146, v179, v6
	v_dot4c_i32_i8_e32 v146, v180, v7
	v_dot4c_i32_i8_e32 v219, v203, v0
	v_dot4c_i32_i8_e32 v221, v176, v0
	v_dot4c_i32_i8_e32 v223, v190, v0
	v_mul_lo_u32 v152, v146, v206
	v_mov_b32_e32 v146, 0
	v_dot4c_i32_i8_e32 v146, v191, v4
	v_dot4c_i32_i8_e32 v146, v192, v5
	;; [unrolled: 1-line block ×3, first 2 shown]
	v_mov_b32_e32 v147, 0
	v_dot4c_i32_i8_e32 v213, v205, v1
	v_mov_b32_e32 v218, 0
	v_dot4c_i32_i8_e32 v219, v203, v1
	v_dot4c_i32_i8_e32 v146, v194, v7
	v_mov_b32_e32 v220, 0
	v_dot4c_i32_i8_e32 v221, v176, v1
	v_mov_b32_e32 v222, 0
	v_dot4c_i32_i8_e32 v223, v190, v1
	v_dot4c_i32_i8_e32 v147, v187, v0
	;; [unrolled: 1-line block ×5, first 2 shown]
	v_mul_lo_u32 v150, v146, v212
	v_dot4c_i32_i8_e32 v220, v210, v0
	v_dot4c_i32_i8_e32 v221, v176, v2
	v_mov_b32_e32 v146, 0
	v_dot4c_i32_i8_e32 v222, v189, v0
	v_dot4c_i32_i8_e32 v223, v190, v2
	v_mov_b32_e32 v0, 0
	v_dot4c_i32_i8_e32 v213, v205, v3
	v_dot4c_i32_i8_e32 v219, v203, v3
	v_dot4c_i32_i8_e32 v221, v176, v3
	v_dot4c_i32_i8_e32 v146, v15, v4
	v_dot4c_i32_i8_e32 v223, v190, v3
	v_dot4c_i32_i8_e32 v0, v172, v4
	v_dot4c_i32_i8_e32 v213, v204, v4
	v_dot4c_i32_i8_e32 v219, v211, v4
	v_dot4c_i32_i8_e32 v221, v195, v4
	v_dot4c_i32_i8_e32 v146, v149, v5
	v_dot4c_i32_i8_e32 v223, v207, v4
	v_dot4c_i32_i8_e32 v0, v173, v5
	v_dot4c_i32_i8_e32 v147, v184, v1
	v_dot4c_i32_i8_e32 v213, v204, v5
	v_dot4c_i32_i8_e32 v218, v198, v1
	v_dot4c_i32_i8_e32 v219, v211, v5
	v_dot4c_i32_i8_e32 v220, v154, v1
	v_dot4c_i32_i8_e32 v221, v195, v5
	v_dot4c_i32_i8_e32 v146, v151, v6
	v_dot4c_i32_i8_e32 v222, v181, v1
	v_dot4c_i32_i8_e32 v223, v207, v5
	v_dot4c_i32_i8_e32 v0, v174, v6
	v_dot4c_i32_i8_e32 v147, v185, v2
	v_dot4c_i32_i8_e32 v213, v204, v6
	v_dot4c_i32_i8_e32 v218, v199, v2
	v_dot4c_i32_i8_e32 v219, v211, v6
	v_dot4c_i32_i8_e32 v220, v155, v2
	v_dot4c_i32_i8_e32 v221, v195, v6
	v_dot4c_i32_i8_e32 v146, v153, v7
	v_dot4c_i32_i8_e32 v222, v182, v2
	v_dot4c_i32_i8_e32 v223, v207, v6
	v_dot4c_i32_i8_e32 v0, v175, v7
	v_dot4c_i32_i8_e32 v147, v186, v3
	v_dot4c_i32_i8_e32 v213, v204, v7
	v_dot4c_i32_i8_e32 v218, v200, v3
	v_dot4c_i32_i8_e32 v219, v211, v7
	v_dot4c_i32_i8_e32 v220, v171, v3
	v_dot4c_i32_i8_e32 v221, v195, v7
	v_mul_lo_u32 v148, v146, v197
	v_dot4c_i32_i8_e32 v222, v183, v3
	v_dot4c_i32_i8_e32 v223, v207, v7
	v_mul_lo_u32 v146, v0, v208
	ds_read_b128 v[4:7], v11 offset:3072
	ds_read_b128 v[0:3], v11 offset:3088
	v_mov_b32_e32 v224, 0
	v_mov_b32_e32 v214, 0
	;; [unrolled: 1-line block ×3, first 2 shown]
	s_waitcnt lgkmcnt(1)
	v_dot4c_i32_i8_e32 v224, v205, v4
	v_dot4c_i32_i8_e32 v214, v187, v4
	;; [unrolled: 1-line block ×5, first 2 shown]
	s_waitcnt lgkmcnt(0)
	v_dot4c_i32_i8_e32 v215, v177, v0
	v_dot4c_i32_i8_e32 v214, v185, v6
	;; [unrolled: 1-line block ×4, first 2 shown]
	v_mad_u64_u32 v[216:217], s[18:19], v147, v196, v[152:153]
	v_mov_b32_e32 v147, 0
	v_dot4c_i32_i8_e32 v214, v186, v7
	v_dot4c_i32_i8_e32 v224, v204, v0
	v_dot4c_i32_i8_e32 v215, v179, v2
	v_dot4c_i32_i8_e32 v147, v201, v4
	v_mul_lo_u32 v214, v214, v196
	v_dot4c_i32_i8_e32 v224, v204, v1
	v_dot4c_i32_i8_e32 v215, v180, v3
	;; [unrolled: 1-line block ×5, first 2 shown]
	v_mad_u64_u32 v[214:215], s[18:19], v215, v206, v[214:215]
	v_dot4c_i32_i8_e32 v224, v204, v3
	v_cvt_f32_i32_e32 v215, v214
	v_cvt_f32_i32_e32 v214, v216
	;; [unrolled: 1-line block ×3, first 2 shown]
	v_mov_b32_e32 v213, 0
	v_dot4c_i32_i8_e32 v147, v200, v7
	v_cvt_f32_i32_e32 v217, v224
	v_dot4c_i32_i8_e32 v213, v203, v4
	v_dot4c_i32_i8_e32 v213, v203, v5
	v_mul_lo_u32 v152, v147, v209
	v_mov_b32_e32 v147, 0
	v_dot4c_i32_i8_e32 v147, v191, v0
	v_dot4c_i32_i8_e32 v213, v203, v6
	;; [unrolled: 1-line block ×5, first 2 shown]
	v_pk_mul_f32 v[216:217], v[14:15], v[216:217] op_sel_hi:[0,1]
	v_dot4c_i32_i8_e32 v213, v211, v0
	v_dot4c_i32_i8_e32 v147, v194, v3
	v_pk_fma_f32 v[214:215], v[12:13], v[214:215], v[216:217] op_sel_hi:[0,1,1] neg_lo:[0,0,1] neg_hi:[0,0,1]
	v_dot4c_i32_i8_e32 v213, v211, v1
	v_dot4c_i32_i8_e32 v213, v211, v2
	v_mad_u64_u32 v[216:217], s[18:19], v147, v212, v[152:153]
	v_mov_b32_e32 v147, 0
	v_dot4c_i32_i8_e32 v147, v210, v4
	v_pk_fma_f32 v[58:59], v[144:145], v[214:215], v[58:59]
	v_dot4c_i32_i8_e32 v213, v211, v3
	v_mad_u64_u32 v[214:215], s[18:19], v218, v209, v[150:151]
	v_dot4c_i32_i8_e32 v147, v154, v5
	v_cvt_f32_i32_e32 v215, v216
	v_cvt_f32_i32_e32 v217, v213
	;; [unrolled: 1-line block ×3, first 2 shown]
	v_dot4c_i32_i8_e32 v147, v155, v6
	v_cvt_f32_i32_e32 v214, v214
	v_dot4c_i32_i8_e32 v147, v171, v7
	v_pk_mul_f32 v[216:217], v[142:143], v[216:217] op_sel_hi:[0,1]
	v_mov_b32_e32 v152, 0
	v_pk_fma_f32 v[214:215], v[140:141], v[214:215], v[216:217] op_sel_hi:[0,1,1] neg_lo:[0,0,1] neg_hi:[0,0,1]
	v_mul_lo_u32 v150, v147, v188
	v_mov_b32_e32 v147, 0
	v_dot4c_i32_i8_e32 v147, v15, v0
	v_dot4c_i32_i8_e32 v147, v149, v1
	;; [unrolled: 1-line block ×3, first 2 shown]
	v_pk_fma_f32 v[44:45], v[144:145], v[214:215], v[44:45]
	v_dot4c_i32_i8_e32 v147, v153, v3
	v_mad_u64_u32 v[214:215], s[18:19], v220, v188, v[148:149]
	v_mov_b32_e32 v148, 0
	v_dot4c_i32_i8_e32 v152, v176, v4
	v_mad_u64_u32 v[216:217], s[18:19], v147, v197, v[150:151]
	v_mov_b32_e32 v147, 0
	v_dot4c_i32_i8_e32 v148, v190, v4
	v_dot4c_i32_i8_e32 v152, v176, v5
	;; [unrolled: 1-line block ×7, first 2 shown]
	v_mov_b32_e32 v5, 0
	v_dot4c_i32_i8_e32 v152, v176, v7
	v_dot4c_i32_i8_e32 v148, v190, v7
	;; [unrolled: 1-line block ×12, first 2 shown]
	v_mul_lo_u32 v4, v147, v202
	v_dot4c_i32_i8_e32 v148, v207, v2
	v_dot4c_i32_i8_e32 v5, v175, v3
	;; [unrolled: 1-line block ×4, first 2 shown]
	v_mad_u64_u32 v[0:1], s[18:19], v222, v202, v[146:147]
	v_mad_u64_u32 v[2:3], s[18:19], v5, v208, v[4:5]
	v_cvt_f32_i32_e32 v215, v216
	v_cvt_f32_i32_e32 v217, v152
	;; [unrolled: 1-line block ×8, first 2 shown]
	v_pk_mul_f32 v[216:217], v[10:11], v[216:217] op_sel_hi:[0,1]
	v_pk_mul_f32 v[2:3], v[138:139], v[2:3] op_sel_hi:[0,1]
	v_pk_fma_f32 v[214:215], v[8:9], v[214:215], v[216:217] op_sel_hi:[0,1,1] neg_lo:[0,0,1] neg_hi:[0,0,1]
	v_pk_fma_f32 v[0:1], v[136:137], v[0:1], v[2:3] op_sel_hi:[0,1,1] neg_lo:[0,0,1] neg_hi:[0,0,1]
	v_pk_fma_f32 v[36:37], v[144:145], v[214:215], v[36:37]
	v_pk_fma_f32 v[32:33], v[144:145], v[0:1], v[32:33]
	ds_read2_b32 v[144:145], v13 offset0:128 offset1:160
	ds_read_b128 v[0:3], v11 offset:4096
	ds_read_b128 v[4:7], v11 offset:4112
	v_mov_b32_e32 v146, 0
	v_mov_b32_e32 v213, 0
	;; [unrolled: 1-line block ×4, first 2 shown]
	s_waitcnt lgkmcnt(0)
	v_dot4c_i32_i8_e32 v146, v177, v4
	v_dot4c_i32_i8_e32 v146, v178, v5
	;; [unrolled: 1-line block ×4, first 2 shown]
	v_mov_b32_e32 v223, 0
	v_dot4c_i32_i8_e32 v213, v205, v0
	v_dot4c_i32_i8_e32 v219, v203, v0
	v_mul_lo_u32 v152, v146, v206
	v_mov_b32_e32 v146, 0
	v_dot4c_i32_i8_e32 v146, v191, v4
	v_dot4c_i32_i8_e32 v146, v192, v5
	;; [unrolled: 1-line block ×5, first 2 shown]
	v_mov_b32_e32 v147, 0
	v_dot4c_i32_i8_e32 v213, v205, v1
	v_mov_b32_e32 v218, 0
	v_dot4c_i32_i8_e32 v219, v203, v1
	v_dot4c_i32_i8_e32 v146, v194, v7
	v_mov_b32_e32 v220, 0
	v_dot4c_i32_i8_e32 v221, v176, v1
	v_mov_b32_e32 v222, 0
	v_dot4c_i32_i8_e32 v223, v190, v1
	v_dot4c_i32_i8_e32 v147, v187, v0
	;; [unrolled: 1-line block ×5, first 2 shown]
	v_mul_lo_u32 v150, v146, v212
	v_dot4c_i32_i8_e32 v220, v210, v0
	v_dot4c_i32_i8_e32 v221, v176, v2
	v_mov_b32_e32 v146, 0
	v_dot4c_i32_i8_e32 v222, v189, v0
	v_dot4c_i32_i8_e32 v223, v190, v2
	v_mov_b32_e32 v0, 0
	v_dot4c_i32_i8_e32 v213, v205, v3
	v_dot4c_i32_i8_e32 v219, v203, v3
	v_dot4c_i32_i8_e32 v221, v176, v3
	v_dot4c_i32_i8_e32 v146, v15, v4
	v_dot4c_i32_i8_e32 v223, v190, v3
	v_dot4c_i32_i8_e32 v0, v172, v4
	v_dot4c_i32_i8_e32 v213, v204, v4
	v_dot4c_i32_i8_e32 v219, v211, v4
	v_dot4c_i32_i8_e32 v221, v195, v4
	v_dot4c_i32_i8_e32 v146, v149, v5
	v_dot4c_i32_i8_e32 v223, v207, v4
	v_dot4c_i32_i8_e32 v0, v173, v5
	v_dot4c_i32_i8_e32 v147, v184, v1
	v_dot4c_i32_i8_e32 v213, v204, v5
	v_dot4c_i32_i8_e32 v218, v198, v1
	v_dot4c_i32_i8_e32 v219, v211, v5
	v_dot4c_i32_i8_e32 v220, v154, v1
	v_dot4c_i32_i8_e32 v221, v195, v5
	v_dot4c_i32_i8_e32 v146, v151, v6
	v_dot4c_i32_i8_e32 v222, v181, v1
	v_dot4c_i32_i8_e32 v223, v207, v5
	v_dot4c_i32_i8_e32 v0, v174, v6
	v_dot4c_i32_i8_e32 v147, v185, v2
	v_dot4c_i32_i8_e32 v213, v204, v6
	v_dot4c_i32_i8_e32 v218, v199, v2
	v_dot4c_i32_i8_e32 v219, v211, v6
	v_dot4c_i32_i8_e32 v220, v155, v2
	v_dot4c_i32_i8_e32 v221, v195, v6
	v_dot4c_i32_i8_e32 v146, v153, v7
	v_dot4c_i32_i8_e32 v222, v182, v2
	v_dot4c_i32_i8_e32 v223, v207, v6
	v_dot4c_i32_i8_e32 v0, v175, v7
	v_dot4c_i32_i8_e32 v147, v186, v3
	v_dot4c_i32_i8_e32 v213, v204, v7
	v_dot4c_i32_i8_e32 v218, v200, v3
	v_dot4c_i32_i8_e32 v219, v211, v7
	v_dot4c_i32_i8_e32 v220, v171, v3
	v_dot4c_i32_i8_e32 v221, v195, v7
	v_mul_lo_u32 v148, v146, v197
	v_dot4c_i32_i8_e32 v222, v183, v3
	v_dot4c_i32_i8_e32 v223, v207, v7
	v_mul_lo_u32 v146, v0, v208
	ds_read_b128 v[4:7], v11 offset:5120
	ds_read_b128 v[0:3], v11 offset:5136
	v_mov_b32_e32 v224, 0
	v_mov_b32_e32 v214, 0
	;; [unrolled: 1-line block ×3, first 2 shown]
	s_waitcnt lgkmcnt(1)
	v_dot4c_i32_i8_e32 v224, v205, v4
	v_dot4c_i32_i8_e32 v214, v187, v4
	;; [unrolled: 1-line block ×5, first 2 shown]
	s_waitcnt lgkmcnt(0)
	v_dot4c_i32_i8_e32 v215, v177, v0
	v_dot4c_i32_i8_e32 v214, v185, v6
	;; [unrolled: 1-line block ×4, first 2 shown]
	v_mad_u64_u32 v[216:217], s[18:19], v147, v196, v[152:153]
	v_mov_b32_e32 v147, 0
	v_dot4c_i32_i8_e32 v214, v186, v7
	v_dot4c_i32_i8_e32 v224, v204, v0
	v_dot4c_i32_i8_e32 v215, v179, v2
	v_dot4c_i32_i8_e32 v147, v201, v4
	v_mul_lo_u32 v214, v214, v196
	v_dot4c_i32_i8_e32 v224, v204, v1
	v_dot4c_i32_i8_e32 v215, v180, v3
	;; [unrolled: 1-line block ×5, first 2 shown]
	v_mad_u64_u32 v[214:215], s[18:19], v215, v206, v[214:215]
	v_dot4c_i32_i8_e32 v224, v204, v3
	v_cvt_f32_i32_e32 v215, v214
	v_cvt_f32_i32_e32 v214, v216
	;; [unrolled: 1-line block ×3, first 2 shown]
	v_mov_b32_e32 v213, 0
	v_dot4c_i32_i8_e32 v147, v200, v7
	v_cvt_f32_i32_e32 v217, v224
	v_dot4c_i32_i8_e32 v213, v203, v4
	v_dot4c_i32_i8_e32 v213, v203, v5
	v_mul_lo_u32 v152, v147, v209
	v_mov_b32_e32 v147, 0
	v_dot4c_i32_i8_e32 v147, v191, v0
	v_dot4c_i32_i8_e32 v213, v203, v6
	;; [unrolled: 1-line block ×5, first 2 shown]
	v_pk_mul_f32 v[216:217], v[14:15], v[216:217] op_sel_hi:[0,1]
	v_dot4c_i32_i8_e32 v213, v211, v0
	v_dot4c_i32_i8_e32 v147, v194, v3
	v_pk_fma_f32 v[214:215], v[12:13], v[214:215], v[216:217] op_sel_hi:[0,1,1] neg_lo:[0,0,1] neg_hi:[0,0,1]
	v_dot4c_i32_i8_e32 v213, v211, v1
	v_dot4c_i32_i8_e32 v213, v211, v2
	v_mad_u64_u32 v[216:217], s[18:19], v147, v212, v[152:153]
	v_mov_b32_e32 v147, 0
	v_dot4c_i32_i8_e32 v147, v210, v4
	v_pk_fma_f32 v[30:31], v[144:145], v[214:215], v[30:31]
	v_dot4c_i32_i8_e32 v213, v211, v3
	v_mad_u64_u32 v[214:215], s[18:19], v218, v209, v[150:151]
	v_dot4c_i32_i8_e32 v147, v154, v5
	v_cvt_f32_i32_e32 v215, v216
	v_cvt_f32_i32_e32 v217, v213
	;; [unrolled: 1-line block ×3, first 2 shown]
	v_dot4c_i32_i8_e32 v147, v155, v6
	v_cvt_f32_i32_e32 v214, v214
	v_dot4c_i32_i8_e32 v147, v171, v7
	v_pk_mul_f32 v[216:217], v[142:143], v[216:217] op_sel_hi:[0,1]
	v_mov_b32_e32 v152, 0
	v_pk_fma_f32 v[214:215], v[140:141], v[214:215], v[216:217] op_sel_hi:[0,1,1] neg_lo:[0,0,1] neg_hi:[0,0,1]
	v_mul_lo_u32 v150, v147, v188
	v_mov_b32_e32 v147, 0
	v_dot4c_i32_i8_e32 v147, v15, v0
	v_dot4c_i32_i8_e32 v147, v149, v1
	;; [unrolled: 1-line block ×3, first 2 shown]
	v_pk_fma_f32 v[28:29], v[144:145], v[214:215], v[28:29]
	v_dot4c_i32_i8_e32 v147, v153, v3
	v_mad_u64_u32 v[214:215], s[18:19], v220, v188, v[148:149]
	v_mov_b32_e32 v148, 0
	v_dot4c_i32_i8_e32 v152, v176, v4
	v_mad_u64_u32 v[216:217], s[18:19], v147, v197, v[150:151]
	v_mov_b32_e32 v147, 0
	v_dot4c_i32_i8_e32 v148, v190, v4
	v_dot4c_i32_i8_e32 v152, v176, v5
	;; [unrolled: 1-line block ×7, first 2 shown]
	v_mov_b32_e32 v5, 0
	v_dot4c_i32_i8_e32 v152, v176, v7
	v_dot4c_i32_i8_e32 v148, v190, v7
	;; [unrolled: 1-line block ×12, first 2 shown]
	v_mul_lo_u32 v4, v147, v202
	v_dot4c_i32_i8_e32 v148, v207, v2
	v_dot4c_i32_i8_e32 v5, v175, v3
	;; [unrolled: 1-line block ×4, first 2 shown]
	v_mad_u64_u32 v[0:1], s[18:19], v222, v202, v[146:147]
	v_mad_u64_u32 v[2:3], s[18:19], v5, v208, v[4:5]
	v_cvt_f32_i32_e32 v215, v216
	v_cvt_f32_i32_e32 v217, v152
	v_cvt_f32_i32_e32 v216, v221
	v_cvt_f32_i32_e32 v1, v2
	v_cvt_f32_i32_e32 v3, v148
	v_cvt_f32_i32_e32 v2, v223
	v_cvt_f32_i32_e32 v214, v214
	v_cvt_f32_i32_e32 v0, v0
	v_pk_mul_f32 v[216:217], v[10:11], v[216:217] op_sel_hi:[0,1]
	v_pk_mul_f32 v[2:3], v[138:139], v[2:3] op_sel_hi:[0,1]
	v_pk_fma_f32 v[214:215], v[8:9], v[214:215], v[216:217] op_sel_hi:[0,1,1] neg_lo:[0,0,1] neg_hi:[0,0,1]
	v_pk_fma_f32 v[0:1], v[136:137], v[0:1], v[2:3] op_sel_hi:[0,1,1] neg_lo:[0,0,1] neg_hi:[0,0,1]
	v_pk_fma_f32 v[26:27], v[144:145], v[214:215], v[26:27]
	v_pk_fma_f32 v[24:25], v[144:145], v[0:1], v[24:25]
	ds_read2_b32 v[144:145], v13 offset0:192 offset1:224
	ds_read_b128 v[0:3], v11 offset:6144
	ds_read_b128 v[4:7], v11 offset:6160
	v_mov_b32_e32 v146, 0
	v_mov_b32_e32 v217, 0
	;; [unrolled: 1-line block ×4, first 2 shown]
	s_waitcnt lgkmcnt(0)
	v_dot4c_i32_i8_e32 v146, v177, v4
	v_dot4c_i32_i8_e32 v146, v178, v5
	;; [unrolled: 1-line block ×4, first 2 shown]
	v_mov_b32_e32 v147, 0
	v_dot4c_i32_i8_e32 v217, v205, v0
	v_dot4c_i32_i8_e32 v219, v203, v0
	v_mul_lo_u32 v152, v146, v206
	v_mov_b32_e32 v146, 0
	v_dot4c_i32_i8_e32 v146, v191, v4
	v_dot4c_i32_i8_e32 v146, v192, v5
	;; [unrolled: 1-line block ×5, first 2 shown]
	v_mov_b32_e32 v216, 0
	v_dot4c_i32_i8_e32 v217, v205, v1
	v_mov_b32_e32 v218, 0
	v_dot4c_i32_i8_e32 v219, v203, v1
	v_dot4c_i32_i8_e32 v146, v194, v7
	v_mov_b32_e32 v215, 0
	v_dot4c_i32_i8_e32 v214, v176, v1
	v_mov_b32_e32 v213, 0
	v_dot4c_i32_i8_e32 v147, v190, v1
	v_dot4c_i32_i8_e32 v216, v187, v0
	;; [unrolled: 1-line block ×5, first 2 shown]
	v_mul_lo_u32 v150, v146, v212
	v_dot4c_i32_i8_e32 v215, v210, v0
	v_dot4c_i32_i8_e32 v214, v176, v2
	v_mov_b32_e32 v146, 0
	v_dot4c_i32_i8_e32 v213, v189, v0
	v_dot4c_i32_i8_e32 v147, v190, v2
	v_mov_b32_e32 v0, 0
	v_dot4c_i32_i8_e32 v217, v205, v3
	v_dot4c_i32_i8_e32 v219, v203, v3
	;; [unrolled: 1-line block ×38, first 2 shown]
	v_mul_lo_u32 v148, v146, v197
	v_dot4c_i32_i8_e32 v213, v183, v3
	v_dot4c_i32_i8_e32 v147, v207, v7
	v_mul_lo_u32 v146, v0, v208
	ds_read_b128 v[4:7], v11 offset:7168
	ds_read_b128 v[0:3], v11 offset:7184
	v_mov_b32_e32 v220, 0
	s_add_i32 s9, s9, 2
	s_add_i32 s11, s11, 2
	s_waitcnt lgkmcnt(1)
	v_dot4c_i32_i8_e32 v220, v187, v4
	v_mov_b32_e32 v187, 0
	v_dot4c_i32_i8_e32 v187, v205, v4
	v_dot4c_i32_i8_e32 v220, v184, v5
	;; [unrolled: 1-line block ×5, first 2 shown]
	v_mov_b32_e32 v185, 0
	v_dot4c_i32_i8_e32 v187, v205, v7
	s_waitcnt lgkmcnt(0)
	v_dot4c_i32_i8_e32 v185, v177, v0
	v_dot4c_i32_i8_e32 v187, v204, v0
	;; [unrolled: 1-line block ×7, first 2 shown]
	v_mul_lo_u32 v184, v220, v196
	v_dot4c_i32_i8_e32 v185, v180, v3
	v_dot4c_i32_i8_e32 v187, v204, v3
	v_mad_u64_u32 v[178:179], s[18:19], v216, v196, v[152:153]
	s_nop 0
	v_mad_u64_u32 v[184:185], s[18:19], v185, v206, v[184:185]
	v_cvt_f32_i32_e32 v179, v184
	v_cvt_f32_i32_e32 v185, v187
	;; [unrolled: 1-line block ×4, first 2 shown]
	v_mov_b32_e32 v152, 0
	v_dot4c_i32_i8_e32 v152, v191, v0
	v_pk_mul_f32 v[184:185], v[14:15], v[184:185] op_sel_hi:[0,1]
	v_mov_b32_e32 v14, 0
	v_dot4c_i32_i8_e32 v14, v203, v4
	v_pk_fma_f32 v[178:179], v[12:13], v[178:179], v[184:185] op_sel_hi:[0,1,1] neg_lo:[0,0,1] neg_hi:[0,0,1]
	v_mov_b32_e32 v12, 0
	v_dot4c_i32_i8_e32 v14, v203, v5
	v_dot4c_i32_i8_e32 v12, v201, v4
	;; [unrolled: 1-line block ×12, first 2 shown]
	v_mul_lo_u32 v12, v12, v209
	v_dot4c_i32_i8_e32 v152, v194, v3
	v_pk_fma_f32 v[22:23], v[144:145], v[178:179], v[22:23]
	v_dot4c_i32_i8_e32 v14, v211, v3
	v_mad_u64_u32 v[178:179], s[18:19], v218, v209, v[150:151]
	v_mad_u64_u32 v[184:185], s[18:19], v152, v212, v[12:13]
	v_cvt_f32_i32_e32 v179, v184
	v_cvt_f32_i32_e32 v185, v14
	;; [unrolled: 1-line block ×4, first 2 shown]
	v_mov_b32_e32 v12, 0
	v_dot4c_i32_i8_e32 v12, v210, v4
	v_pk_mul_f32 v[184:185], v[142:143], v[184:185] op_sel_hi:[0,1]
	v_pk_fma_f32 v[178:179], v[140:141], v[178:179], v[184:185] op_sel_hi:[0,1,1] neg_lo:[0,0,1] neg_hi:[0,0,1]
	v_mov_b32_e32 v140, 0
	v_dot4c_i32_i8_e32 v140, v176, v4
	v_dot4c_i32_i8_e32 v140, v176, v5
	;; [unrolled: 1-line block ×3, first 2 shown]
	v_mov_b32_e32 v142, 0
	v_dot4c_i32_i8_e32 v12, v154, v5
	v_dot4c_i32_i8_e32 v140, v176, v7
	;; [unrolled: 1-line block ×10, first 2 shown]
	v_mul_lo_u32 v12, v12, v188
	v_dot4c_i32_i8_e32 v142, v153, v3
	v_dot4c_i32_i8_e32 v140, v195, v3
	v_mad_u64_u32 v[14:15], s[18:19], v215, v188, v[148:149]
	s_nop 0
	v_mad_u64_u32 v[148:149], s[18:19], v142, v197, v[12:13]
	v_cvt_f32_i32_e32 v15, v148
	v_cvt_f32_i32_e32 v149, v140
	;; [unrolled: 1-line block ×4, first 2 shown]
	v_pk_fma_f32 v[20:21], v[144:145], v[178:179], v[20:21]
	v_add_u32_e32 v13, 4, v13
	v_pk_mul_f32 v[148:149], v[10:11], v[148:149] op_sel_hi:[0,1]
	v_mov_b32_e32 v10, 0
	v_pk_fma_f32 v[14:15], v[8:9], v[14:15], v[148:149] op_sel_hi:[0,1,1] neg_lo:[0,0,1] neg_hi:[0,0,1]
	v_mov_b32_e32 v8, 0
	v_dot4c_i32_i8_e32 v10, v190, v4
	v_dot4c_i32_i8_e32 v8, v189, v4
	;; [unrolled: 1-line block ×5, first 2 shown]
	v_mov_b32_e32 v5, 0
	v_dot4c_i32_i8_e32 v10, v190, v7
	v_dot4c_i32_i8_e32 v5, v172, v0
	;; [unrolled: 1-line block ×9, first 2 shown]
	v_mul_lo_u32 v4, v8, v202
	v_dot4c_i32_i8_e32 v5, v175, v3
	v_dot4c_i32_i8_e32 v10, v207, v3
	v_mad_u64_u32 v[0:1], s[18:19], v213, v202, v[146:147]
	s_nop 0
	v_mad_u64_u32 v[2:3], s[18:19], v5, v208, v[4:5]
	v_cvt_f32_i32_e32 v1, v2
	v_cvt_f32_i32_e32 v3, v10
	;; [unrolled: 1-line block ×4, first 2 shown]
	v_pk_fma_f32 v[18:19], v[144:145], v[14:15], v[18:19]
	v_add_u32_e32 v11, 32, v11
	v_pk_mul_f32 v[2:3], v[138:139], v[2:3] op_sel_hi:[0,1]
	v_pk_fma_f32 v[0:1], v[136:137], v[0:1], v[2:3] op_sel_hi:[0,1,1] neg_lo:[0,0,1] neg_hi:[0,0,1]
	v_pk_fma_f32 v[16:17], v[144:145], v[0:1], v[16:17]
	s_cmp_lt_u32 s17, 14
	s_cbranch_scc1 .LBB128_9
; %bb.10:                               ;   in Loop: Header=BB128_6 Depth=1
	s_or_b32 s9, s0, 1
	s_cmp_ge_i32 s9, s4
	s_barrier
	s_cbranch_scc1 .LBB128_5
; %bb.11:                               ;   in Loop: Header=BB128_6 Depth=1
	v_add_u32_e32 v8, s8, v107
	v_add_u32_e32 v0, v8, v53
	;; [unrolled: 1-line block ×9, first 2 shown]
	v_mad_i64_i32 v[144:145], s[18:19], v8, 36, v[132:133]
	v_add_u32_e32 v8, 8, v9
	v_mad_i64_i32 v[0:1], s[18:19], v0, 36, v[132:133]
	v_mad_i64_i32 v[2:3], s[18:19], v2, 36, v[132:133]
	;; [unrolled: 1-line block ×4, first 2 shown]
	v_mad_u64_u32 v[146:147], s[18:19], v8, 36, s[2:3]
	v_mad_i64_i32 v[10:11], s[18:19], v10, 36, v[132:133]
	v_mad_i64_i32 v[12:13], s[18:19], v12, 36, v[132:133]
	;; [unrolled: 1-line block ×3, first 2 shown]
	global_load_dword v8, v[146:147], off
	s_nop 0
	global_load_dword v0, v[0:1], off offset:4
	s_nop 0
	global_load_dword v1, v[2:3], off offset:4
	;; [unrolled: 2-line block ×3, first 2 shown]
	global_load_dword v3, v[6:7], off offset:4
	s_nop 0
	global_load_dword v4, v[10:11], off offset:4
	global_load_dword v5, v[12:13], off offset:4
	;; [unrolled: 1-line block ×4, first 2 shown]
	s_mov_b32 s9, 16
	s_mov_b32 s17, 14
	v_mov_b32_e32 v11, v159
	v_mov_b32_e32 v13, v158
	s_waitcnt vmcnt(8)
	v_cvt_f32_f16_e32 v8, v8
	s_waitcnt vmcnt(7)
	ds_write_b32 v57, v0
	s_waitcnt vmcnt(6)
	ds_write_b32 v63, v1
	s_waitcnt vmcnt(5)
	ds_write_b32 v67, v2
	s_waitcnt vmcnt(4)
	ds_write_b32 v71, v3
	s_waitcnt vmcnt(3)
	ds_write_b32 v75, v4
	s_waitcnt vmcnt(2)
	ds_write_b32 v79, v5
	s_waitcnt vmcnt(1)
	ds_write_b32 v83, v6
	s_waitcnt vmcnt(0)
	ds_write_b32 v87, v7
	ds_write_b32 v51, v8
	s_waitcnt lgkmcnt(0)
	s_barrier
.LBB128_12:                             ;   Parent Loop BB128_6 Depth=1
                                        ; =>  This Inner Loop Header: Depth=2
	s_add_i32 s11, s17, 2
	s_and_b32 s19, s11, 0x3ffffff8
	s_lshl_b32 s19, s19, 2
	v_add_u32_e32 v8, s19, v89
	ds_read2_b32 v[144:145], v13 offset1:32
	ds_read_b128 v[4:7], v11
	ds_read_b128 v[0:3], v11 offset:16
	ds_read2_b32 v[14:15], v8 offset1:1
	s_and_b32 s18, s9, -16
	v_add_u32_e32 v12, s18, v117
	s_add_i32 s18, s17, -14
	s_lshr_b32 s20, s11, 2
	s_waitcnt lgkmcnt(0)
	v_ashrrev_i32_e32 v10, s18, v14
	v_and_b32_e32 v186, 0x3030303, v10
	v_ashrrev_i32_e32 v10, s18, v15
	ds_read2_b32 v[14:15], v8 offset0:2 offset1:3
	v_and_b32_e32 v183, 0x3030303, v10
	s_and_b32 s20, s20, 0x3ffffffc
	v_mov_b32_e32 v203, 0
	v_mov_b32_e32 v205, 0
	s_waitcnt lgkmcnt(0)
	v_ashrrev_i32_e32 v10, s18, v14
	v_and_b32_e32 v184, 0x3030303, v10
	v_ashrrev_i32_e32 v10, s18, v15
	ds_read2_b32 v[14:15], v8 offset0:4 offset1:5
	v_and_b32_e32 v185, 0x3030303, v10
	v_mov_b32_e32 v213, 0
	v_mov_b32_e32 v217, 0
	;; [unrolled: 1-line block ×3, first 2 shown]
	s_waitcnt lgkmcnt(0)
	v_ashrrev_i32_e32 v10, s18, v14
	v_and_b32_e32 v179, 0x3030303, v10
	v_ashrrev_i32_e32 v10, s18, v15
	ds_read2_b32 v[14:15], v8 offset0:6 offset1:7
	v_and_b32_e32 v180, 0x3030303, v10
	v_add_u32_e32 v10, s20, v91
	v_mov_b32_e32 v204, 0
	v_mov_b32_e32 v211, 0
	s_waitcnt lgkmcnt(0)
	v_ashrrev_i32_e32 v8, s18, v14
	v_and_b32_e32 v181, 0x3030303, v8
	v_ashrrev_i32_e32 v8, s18, v15
	v_and_b32_e32 v182, 0x3030303, v8
	v_add3_u32 v8, v137, s17, v12
	ds_read_b32 v10, v10
	ds_read_u16 v146, v8 offset:25074
	v_mov_b32_e32 v216, 0
	v_dot4c_i32_i8_e32 v147, v186, v4
	v_mov_b32_e32 v208, 0
	s_waitcnt lgkmcnt(1)
	v_cvt_f32_f16_e32 v136, v10
	s_waitcnt lgkmcnt(0)
	v_bfe_u32 v8, v146, 4, 4
	v_mul_lo_u32 v192, v8, s1
	v_lshrrev_b32_sdwa v8, v169, v146 dst_sel:DWORD dst_unused:UNUSED_PAD src0_sel:DWORD src1_sel:BYTE_1
	v_mul_lo_u32 v199, v8, s1
	v_add_u32_e32 v8, s19, v93
	ds_read2_b32 v[14:15], v8 offset1:1
	v_cvt_f32_f16_sdwa v138, v10 dst_sel:DWORD dst_unused:UNUSED_PAD src0_sel:WORD_1
	v_dot4c_i32_i8_e32 v203, v192, v4
	v_dot4c_i32_i8_e32 v203, v192, v5
	;; [unrolled: 1-line block ×3, first 2 shown]
	s_waitcnt lgkmcnt(0)
	v_ashrrev_i32_e32 v10, s18, v14
	v_and_b32_e32 v196, 0x3030303, v10
	v_ashrrev_i32_e32 v10, s18, v15
	ds_read2_b32 v[14:15], v8 offset0:2 offset1:3
	v_and_b32_e32 v193, 0x3030303, v10
	v_dot4c_i32_i8_e32 v204, v196, v4
	v_dot4c_i32_i8_e32 v203, v192, v7
	v_mov_b32_e32 v214, 0
	s_waitcnt lgkmcnt(0)
	v_ashrrev_i32_e32 v10, s18, v14
	v_and_b32_e32 v194, 0x3030303, v10
	v_ashrrev_i32_e32 v10, s18, v15
	ds_read2_b32 v[14:15], v8 offset0:4 offset1:5
	v_and_b32_e32 v195, 0x3030303, v10
	v_mov_b32_e32 v215, 0
	v_mov_b32_e32 v218, 0
	v_dot4c_i32_i8_e32 v208, v179, v0
	s_waitcnt lgkmcnt(0)
	v_ashrrev_i32_e32 v10, s18, v14
	v_and_b32_e32 v188, 0x3030303, v10
	v_ashrrev_i32_e32 v10, s18, v15
	ds_read2_b32 v[14:15], v8 offset0:6 offset1:7
	v_and_b32_e32 v189, 0x3030303, v10
	v_add_u32_e32 v10, s20, v95
	v_dot4c_i32_i8_e32 v203, v199, v0
	v_dot4c_i32_i8_e32 v214, v188, v0
	s_waitcnt lgkmcnt(0)
	v_ashrrev_i32_e32 v8, s18, v14
	v_and_b32_e32 v190, 0x3030303, v8
	v_ashrrev_i32_e32 v8, s18, v15
	v_and_b32_e32 v191, 0x3030303, v8
	v_add3_u32 v8, v131, s17, v12
	ds_read_b32 v10, v10
	ds_read_u16 v202, v8 offset:26098
	v_dot4c_i32_i8_e32 v147, v183, v5
	v_dot4c_i32_i8_e32 v208, v180, v1
	;; [unrolled: 1-line block ×3, first 2 shown]
	s_waitcnt lgkmcnt(1)
	v_cvt_f32_f16_e32 v140, v10
	s_waitcnt lgkmcnt(0)
	v_bfe_u32 v8, v202, 4, 4
	v_mul_lo_u32 v198, v8, s1
	v_lshrrev_b32_sdwa v8, v169, v202 dst_sel:DWORD dst_unused:UNUSED_PAD src0_sel:DWORD src1_sel:BYTE_1
	v_mul_lo_u32 v201, v8, s1
	v_add_u32_e32 v8, s19, v97
	ds_read2_b32 v[14:15], v8 offset1:1
	ds_read2_b32 v[148:149], v8 offset0:4 offset1:5
	v_cvt_f32_f16_sdwa v142, v10 dst_sel:DWORD dst_unused:UNUSED_PAD src0_sel:WORD_1
	ds_read2_b32 v[154:155], v8 offset0:6 offset1:7
	v_dot4c_i32_i8_e32 v205, v198, v4
	s_waitcnt lgkmcnt(2)
	v_ashrrev_i32_e32 v10, s18, v14
	v_and_b32_e32 v200, 0x3030303, v10
	v_ashrrev_i32_e32 v10, s18, v15
	ds_read2_b32 v[14:15], v8 offset0:2 offset1:3
	v_and_b32_e32 v151, 0x3030303, v10
	s_waitcnt lgkmcnt(1)
	v_ashrrev_i32_e32 v8, s18, v154
	v_dot4c_i32_i8_e32 v205, v198, v5
	v_dot4c_i32_i8_e32 v205, v198, v6
	s_waitcnt lgkmcnt(0)
	v_ashrrev_i32_e32 v10, s18, v14
	v_and_b32_e32 v152, 0x3030303, v10
	v_ashrrev_i32_e32 v10, s18, v15
	v_and_b32_e32 v153, 0x3030303, v10
	;; [unrolled: 2-line block ×4, first 2 shown]
	v_and_b32_e32 v149, 0x3030303, v8
	v_ashrrev_i32_e32 v8, s18, v155
	v_add_u32_e32 v10, s20, v99
	v_add_u32_e32 v14, s19, v101
	v_and_b32_e32 v150, 0x3030303, v8
	v_add3_u32 v8, v121, s17, v12
	ds_read_b32 v10, v10
	ds_read_u16 v210, v8 offset:27122
	ds_read2_b32 v[154:155], v14 offset1:1
	ds_read2_b32 v[206:207], v14 offset0:6 offset1:7
	v_add3_u32 v12, v111, s17, v12
	v_dot4c_i32_i8_e32 v211, v200, v4
	s_waitcnt lgkmcnt(2)
	v_bfe_u32 v8, v210, 4, 4
	s_waitcnt lgkmcnt(1)
	v_ashrrev_i32_e32 v154, s18, v154
	v_and_b32_e32 v177, 0x3030303, v154
	v_ashrrev_i32_e32 v154, s18, v155
	v_and_b32_e32 v174, 0x3030303, v154
	ds_read2_b32 v[154:155], v14 offset0:2 offset1:3
	v_mul_lo_u32 v173, v8, s1
	v_dot4c_i32_i8_e32 v213, v173, v4
	v_dot4c_i32_i8_e32 v213, v173, v5
	;; [unrolled: 1-line block ×3, first 2 shown]
	s_waitcnt lgkmcnt(0)
	v_ashrrev_i32_e32 v154, s18, v154
	v_and_b32_e32 v175, 0x3030303, v154
	v_ashrrev_i32_e32 v154, s18, v155
	v_and_b32_e32 v176, 0x3030303, v154
	ds_read2_b32 v[154:155], v14 offset0:4 offset1:5
	v_ashrrev_i32_e32 v14, s18, v206
	v_and_b32_e32 v171, 0x3030303, v14
	v_ashrrev_i32_e32 v14, s18, v207
	v_and_b32_e32 v172, 0x3030303, v14
	v_add_u32_e32 v14, s20, v103
	ds_read_b32 v14, v14
	ds_read_u16 v212, v12 offset:28146
	v_lshrrev_b32_sdwa v8, v169, v210 dst_sel:DWORD dst_unused:UNUSED_PAD src0_sel:DWORD src1_sel:BYTE_1
	s_waitcnt lgkmcnt(2)
	v_ashrrev_i32_e32 v154, s18, v154
	v_dot4c_i32_i8_e32 v216, v177, v4
	v_dot4c_i32_i8_e32 v205, v198, v7
	s_waitcnt lgkmcnt(0)
	v_bfe_u32 v12, v212, 4, 4
	v_mul_lo_u32 v178, v12, s1
	v_dot4c_i32_i8_e32 v217, v178, v4
	v_dot4c_i32_i8_e32 v217, v178, v5
	;; [unrolled: 1-line block ×3, first 2 shown]
	v_lshrrev_b32_sdwa v4, v169, v212 dst_sel:DWORD dst_unused:UNUSED_PAD src0_sel:DWORD src1_sel:BYTE_1
	v_dot4c_i32_i8_e32 v213, v173, v7
	v_mul_lo_u32 v187, v8, s1
	v_and_b32_e32 v154, 0x3030303, v154
	v_ashrrev_i32_e32 v155, s18, v155
	v_dot4c_i32_i8_e32 v217, v178, v7
	v_mul_lo_u32 v197, v4, s1
	v_dot4c_i32_i8_e32 v205, v201, v0
	v_dot4c_i32_i8_e32 v215, v15, v0
	v_dot4c_i32_i8_e32 v213, v187, v0
	v_and_b32_e32 v155, 0x3030303, v155
	v_dot4c_i32_i8_e32 v218, v154, v0
	v_dot4c_i32_i8_e32 v217, v197, v0
	;; [unrolled: 1-line block ×35, first 2 shown]
	ds_read_b128 v[4:7], v11 offset:1024
	ds_read_b128 v[0:3], v11 offset:1040
	v_mov_b32_e32 v219, 0
	v_mov_b32_e32 v209, 0
	;; [unrolled: 1-line block ×3, first 2 shown]
	s_waitcnt lgkmcnt(1)
	v_dot4c_i32_i8_e32 v219, v192, v4
	v_dot4c_i32_i8_e32 v219, v192, v5
	;; [unrolled: 1-line block ×6, first 2 shown]
	s_waitcnt lgkmcnt(0)
	v_dot4c_i32_i8_e32 v220, v179, v0
	v_dot4c_i32_i8_e32 v209, v184, v6
	;; [unrolled: 1-line block ×7, first 2 shown]
	v_and_b32_e32 v207, 15, v146
	v_and_b32_sdwa v206, v146, v170 dst_sel:DWORD dst_unused:UNUSED_PAD src0_sel:BYTE_1 src1_sel:DWORD
	v_dot4c_i32_i8_e32 v219, v199, v2
	v_dot4c_i32_i8_e32 v220, v182, v3
	v_mul_lo_u32 v146, v206, v208
	v_mul_lo_u32 v208, v207, v209
                                        ; kill: def $vgpr209 killed $sgpr0 killed $exec
	v_dot4c_i32_i8_e32 v219, v199, v3
	v_mad_u64_u32 v[208:209], s[18:19], v206, v220, v[208:209]
	v_mad_u64_u32 v[146:147], s[18:19], v207, v147, v[146:147]
	v_cvt_f32_i32_e32 v147, v146
	v_cvt_f32_i32_e32 v146, v208
	v_cvt_f32_i32_e32 v209, v203
	v_cvt_f32_i32_e32 v208, v219
	v_mov_b32_e32 v219, 0
	v_dot4c_i32_i8_e32 v219, v198, v4
	v_dot4c_i32_i8_e32 v219, v198, v5
	v_pk_mul_f32 v[208:209], v[138:139], v[208:209] op_sel_hi:[0,1]
	v_pk_fma_f32 v[208:209], v[136:137], v[146:147], v[208:209] op_sel_hi:[0,1,1] neg_lo:[0,0,1] neg_hi:[0,0,1]
	v_mov_b32_e32 v146, v145
	v_mov_b32_e32 v145, 0
	v_dot4c_i32_i8_e32 v145, v196, v4
	v_dot4c_i32_i8_e32 v219, v198, v6
	v_mov_b32_e32 v203, 0
	v_dot4c_i32_i8_e32 v145, v193, v5
	v_dot4c_i32_i8_e32 v219, v198, v7
	;; [unrolled: 1-line block ×3, first 2 shown]
	v_mov_b32_e32 v147, v144
	v_dot4c_i32_i8_e32 v145, v194, v6
	v_dot4c_i32_i8_e32 v219, v201, v0
	;; [unrolled: 1-line block ×3, first 2 shown]
	v_pk_fma_f32 v[126:127], v[146:147], v[208:209], v[126:127]
	v_dot4c_i32_i8_e32 v145, v195, v7
	v_dot4c_i32_i8_e32 v219, v201, v1
	;; [unrolled: 1-line block ×3, first 2 shown]
	v_and_b32_e32 v209, 15, v202
	v_and_b32_sdwa v208, v202, v170 dst_sel:DWORD dst_unused:UNUSED_PAD src0_sel:BYTE_1 src1_sel:DWORD
	v_dot4c_i32_i8_e32 v219, v201, v2
	v_dot4c_i32_i8_e32 v203, v191, v3
	v_mul_lo_u32 v144, v208, v214
	v_mul_lo_u32 v202, v209, v145
                                        ; kill: def $vgpr145 killed $sgpr0 killed $exec
	v_dot4c_i32_i8_e32 v219, v201, v3
	v_mad_u64_u32 v[202:203], s[18:19], v208, v203, v[202:203]
	v_mad_u64_u32 v[144:145], s[18:19], v209, v204, v[144:145]
	v_cvt_f32_i32_e32 v145, v144
	v_cvt_f32_i32_e32 v144, v202
	;; [unrolled: 1-line block ×4, first 2 shown]
	v_mov_b32_e32 v214, 0
	v_dot4c_i32_i8_e32 v214, v173, v4
	v_dot4c_i32_i8_e32 v214, v173, v5
	v_pk_mul_f32 v[202:203], v[142:143], v[202:203] op_sel_hi:[0,1]
	v_pk_fma_f32 v[144:145], v[140:141], v[144:145], v[202:203] op_sel_hi:[0,1,1] neg_lo:[0,0,1] neg_hi:[0,0,1]
	v_pk_fma_f32 v[128:129], v[146:147], v[144:145], v[128:129]
	v_mov_b32_e32 v145, 0
	v_dot4c_i32_i8_e32 v145, v200, v4
	v_dot4c_i32_i8_e32 v214, v173, v6
	v_mov_b32_e32 v203, 0
	v_dot4c_i32_i8_e32 v145, v151, v5
	v_dot4c_i32_i8_e32 v214, v173, v7
	;; [unrolled: 1-line block ×9, first 2 shown]
	v_and_b32_e32 v205, 15, v210
	v_and_b32_sdwa v204, v210, v170 dst_sel:DWORD dst_unused:UNUSED_PAD src0_sel:BYTE_1 src1_sel:DWORD
	v_dot4c_i32_i8_e32 v214, v187, v2
	v_dot4c_i32_i8_e32 v203, v150, v3
	v_mul_lo_u32 v144, v204, v215
	v_mul_lo_u32 v202, v205, v145
                                        ; kill: def $vgpr145 killed $sgpr0 killed $exec
	v_dot4c_i32_i8_e32 v214, v187, v3
	v_mad_u64_u32 v[202:203], s[18:19], v204, v203, v[202:203]
	v_mad_u64_u32 v[144:145], s[18:19], v205, v211, v[144:145]
	v_cvt_f32_f16_e32 v8, v10
	v_cvt_f32_f16_sdwa v10, v10 dst_sel:DWORD dst_unused:UNUSED_PAD src0_sel:WORD_1
	v_cvt_f32_i32_e32 v145, v144
	v_cvt_f32_i32_e32 v144, v202
	;; [unrolled: 1-line block ×4, first 2 shown]
	v_cvt_f32_f16_e32 v12, v14
	v_cvt_f32_f16_sdwa v14, v14 dst_sel:DWORD dst_unused:UNUSED_PAD src0_sel:WORD_1
	v_mov_b32_e32 v214, 0
	v_pk_mul_f32 v[202:203], v[10:11], v[202:203] op_sel_hi:[0,1]
	v_pk_fma_f32 v[144:145], v[8:9], v[144:145], v[202:203] op_sel_hi:[0,1,1] neg_lo:[0,0,1] neg_hi:[0,0,1]
	v_pk_fma_f32 v[122:123], v[146:147], v[144:145], v[122:123]
	v_mov_b32_e32 v145, 0
	v_dot4c_i32_i8_e32 v145, v178, v4
	v_mov_b32_e32 v144, 0
	v_dot4c_i32_i8_e32 v145, v178, v5
	v_dot4c_i32_i8_e32 v144, v177, v4
	;; [unrolled: 1-line block ×3, first 2 shown]
	v_mov_b32_e32 v4, 0
	v_dot4c_i32_i8_e32 v144, v174, v5
	v_dot4c_i32_i8_e32 v145, v178, v7
	;; [unrolled: 1-line block ×9, first 2 shown]
	v_and_b32_e32 v203, 15, v212
	v_and_b32_sdwa v202, v212, v170 dst_sel:DWORD dst_unused:UNUSED_PAD src0_sel:BYTE_1 src1_sel:DWORD
	v_dot4c_i32_i8_e32 v145, v197, v2
	v_dot4c_i32_i8_e32 v4, v172, v3
	v_mul_lo_u32 v0, v202, v218
	v_mul_lo_u32 v2, v203, v144
                                        ; kill: def $vgpr1 killed $sgpr0 killed $exec
	v_dot4c_i32_i8_e32 v145, v197, v3
	v_mad_u64_u32 v[2:3], s[18:19], v202, v4, v[2:3]
	v_mad_u64_u32 v[0:1], s[18:19], v203, v216, v[0:1]
	v_cvt_f32_i32_e32 v1, v0
	v_cvt_f32_i32_e32 v0, v2
	;; [unrolled: 1-line block ×4, first 2 shown]
	v_mov_b32_e32 v212, 0
	v_mov_b32_e32 v217, 0
	;; [unrolled: 1-line block ×3, first 2 shown]
	v_pk_mul_f32 v[2:3], v[14:15], v[2:3] op_sel_hi:[0,1]
	v_pk_fma_f32 v[0:1], v[12:13], v[0:1], v[2:3] op_sel_hi:[0,1,1] neg_lo:[0,0,1] neg_hi:[0,0,1]
	v_pk_fma_f32 v[118:119], v[146:147], v[0:1], v[118:119]
	ds_read2_b32 v[144:145], v13 offset0:64 offset1:96
	ds_read_b128 v[0:3], v11 offset:2048
	ds_read_b128 v[4:7], v11 offset:2064
	v_mov_b32_e32 v147, 0
	v_mov_b32_e32 v210, 0
	;; [unrolled: 1-line block ×3, first 2 shown]
	s_waitcnt lgkmcnt(1)
	v_dot4c_i32_i8_e32 v212, v192, v0
	v_dot4c_i32_i8_e32 v214, v198, v0
	;; [unrolled: 1-line block ×14, first 2 shown]
	v_mov_b32_e32 v215, 0
	v_mov_b32_e32 v216, 0
	v_dot4c_i32_i8_e32 v217, v173, v3
	v_mov_b32_e32 v218, 0
	v_mov_b32_e32 v219, 0
	v_dot4c_i32_i8_e32 v220, v178, v3
	v_mov_b32_e32 v221, 0
	v_dot4c_i32_i8_e32 v147, v186, v0
	s_waitcnt lgkmcnt(0)
	v_dot4c_i32_i8_e32 v210, v179, v4
	v_dot4c_i32_i8_e32 v212, v199, v4
	;; [unrolled: 1-line block ×47, first 2 shown]
	ds_read_b128 v[4:7], v11 offset:3072
	ds_read_b128 v[0:3], v11 offset:3088
	v_mov_b32_e32 v222, 0
	v_mov_b32_e32 v146, 0
	;; [unrolled: 1-line block ×3, first 2 shown]
	s_waitcnt lgkmcnt(1)
	v_dot4c_i32_i8_e32 v222, v192, v4
	v_dot4c_i32_i8_e32 v222, v192, v5
	;; [unrolled: 1-line block ×6, first 2 shown]
	s_waitcnt lgkmcnt(0)
	v_dot4c_i32_i8_e32 v223, v179, v0
	v_dot4c_i32_i8_e32 v146, v184, v6
	;; [unrolled: 1-line block ×7, first 2 shown]
	v_mul_lo_u32 v210, v210, v206
                                        ; kill: def $vgpr211 killed $sgpr0 killed $exec
	v_dot4c_i32_i8_e32 v222, v199, v2
	v_dot4c_i32_i8_e32 v223, v182, v3
	v_mul_lo_u32 v146, v146, v207
	v_mad_u64_u32 v[210:211], s[18:19], v147, v207, v[210:211]
                                        ; kill: def $vgpr147 killed $sgpr0 killed $exec
	v_dot4c_i32_i8_e32 v222, v199, v3
	v_mad_u64_u32 v[146:147], s[18:19], v223, v206, v[146:147]
	v_cvt_f32_i32_e32 v147, v146
	v_cvt_f32_i32_e32 v146, v210
	;; [unrolled: 1-line block ×4, first 2 shown]
	v_mov_b32_e32 v212, 0
	v_dot4c_i32_i8_e32 v212, v198, v4
	v_dot4c_i32_i8_e32 v212, v198, v5
	v_pk_mul_f32 v[210:211], v[138:139], v[210:211] op_sel_hi:[0,1]
	v_pk_fma_f32 v[146:147], v[136:137], v[146:147], v[210:211] op_sel_hi:[0,1,1] neg_lo:[0,0,1] neg_hi:[0,0,1]
	v_pk_fma_f32 v[58:59], v[144:145], v[146:147], v[58:59]
	v_mov_b32_e32 v146, 0
	v_dot4c_i32_i8_e32 v146, v196, v4
	v_dot4c_i32_i8_e32 v212, v198, v6
	v_mov_b32_e32 v147, 0
	v_dot4c_i32_i8_e32 v146, v193, v5
	v_dot4c_i32_i8_e32 v212, v198, v7
	;; [unrolled: 1-line block ×11, first 2 shown]
	v_mul_lo_u32 v146, v146, v209
	v_mul_lo_u32 v210, v215, v208
                                        ; kill: def $vgpr211 killed $sgpr0 killed $exec
	v_dot4c_i32_i8_e32 v212, v201, v3
	v_mad_u64_u32 v[210:211], s[18:19], v213, v209, v[210:211]
	v_mad_u64_u32 v[146:147], s[18:19], v147, v208, v[146:147]
	v_cvt_f32_i32_e32 v147, v146
	v_cvt_f32_i32_e32 v146, v210
	;; [unrolled: 1-line block ×4, first 2 shown]
	v_mov_b32_e32 v212, 0
	v_dot4c_i32_i8_e32 v212, v173, v4
	v_dot4c_i32_i8_e32 v212, v173, v5
	v_pk_mul_f32 v[210:211], v[142:143], v[210:211] op_sel_hi:[0,1]
	v_pk_fma_f32 v[146:147], v[140:141], v[146:147], v[210:211] op_sel_hi:[0,1,1] neg_lo:[0,0,1] neg_hi:[0,0,1]
	v_pk_fma_f32 v[44:45], v[144:145], v[146:147], v[44:45]
	v_mov_b32_e32 v146, 0
	v_dot4c_i32_i8_e32 v146, v200, v4
	v_dot4c_i32_i8_e32 v212, v173, v6
	v_mov_b32_e32 v147, 0
	v_dot4c_i32_i8_e32 v146, v151, v5
	v_dot4c_i32_i8_e32 v212, v173, v7
	;; [unrolled: 1-line block ×11, first 2 shown]
	v_mul_lo_u32 v146, v146, v205
	v_mul_lo_u32 v210, v218, v204
                                        ; kill: def $vgpr211 killed $sgpr0 killed $exec
	v_dot4c_i32_i8_e32 v212, v187, v3
	v_mad_u64_u32 v[210:211], s[18:19], v216, v205, v[210:211]
	v_mad_u64_u32 v[146:147], s[18:19], v147, v204, v[146:147]
	v_cvt_f32_i32_e32 v147, v146
	v_cvt_f32_i32_e32 v146, v210
	;; [unrolled: 1-line block ×4, first 2 shown]
	v_mov_b32_e32 v212, 0
	v_mov_b32_e32 v214, 0
	;; [unrolled: 1-line block ×3, first 2 shown]
	v_pk_mul_f32 v[210:211], v[10:11], v[210:211] op_sel_hi:[0,1]
	v_pk_fma_f32 v[146:147], v[8:9], v[146:147], v[210:211] op_sel_hi:[0,1,1] neg_lo:[0,0,1] neg_hi:[0,0,1]
	v_pk_fma_f32 v[36:37], v[144:145], v[146:147], v[36:37]
	v_mov_b32_e32 v147, 0
	v_dot4c_i32_i8_e32 v147, v178, v4
	v_mov_b32_e32 v146, 0
	v_dot4c_i32_i8_e32 v147, v178, v5
	v_dot4c_i32_i8_e32 v146, v177, v4
	v_dot4c_i32_i8_e32 v147, v178, v6
	v_mov_b32_e32 v4, 0
	v_dot4c_i32_i8_e32 v146, v174, v5
	v_dot4c_i32_i8_e32 v147, v178, v7
	;; [unrolled: 1-line block ×11, first 2 shown]
	v_mul_lo_u32 v0, v146, v203
	v_mul_lo_u32 v2, v221, v202
                                        ; kill: def $vgpr1 killed $sgpr0 killed $exec
	v_dot4c_i32_i8_e32 v147, v197, v3
	v_mad_u64_u32 v[2:3], s[18:19], v219, v203, v[2:3]
	v_mad_u64_u32 v[0:1], s[18:19], v4, v202, v[0:1]
	v_cvt_f32_i32_e32 v1, v0
	v_cvt_f32_i32_e32 v0, v2
	;; [unrolled: 1-line block ×4, first 2 shown]
	v_mov_b32_e32 v220, 0
	v_mov_b32_e32 v147, 0
	;; [unrolled: 1-line block ×3, first 2 shown]
	v_pk_mul_f32 v[2:3], v[14:15], v[2:3] op_sel_hi:[0,1]
	v_pk_fma_f32 v[0:1], v[12:13], v[0:1], v[2:3] op_sel_hi:[0,1,1] neg_lo:[0,0,1] neg_hi:[0,0,1]
	v_pk_fma_f32 v[32:33], v[144:145], v[0:1], v[32:33]
	ds_read2_b32 v[144:145], v13 offset0:128 offset1:160
	ds_read_b128 v[0:3], v11 offset:4096
	ds_read_b128 v[4:7], v11 offset:4112
	v_mov_b32_e32 v213, 0
	v_mov_b32_e32 v215, 0
	;; [unrolled: 1-line block ×3, first 2 shown]
	s_waitcnt lgkmcnt(1)
	v_dot4c_i32_i8_e32 v212, v192, v0
	v_dot4c_i32_i8_e32 v214, v198, v0
	;; [unrolled: 1-line block ×15, first 2 shown]
	v_mov_b32_e32 v218, 0
	v_mov_b32_e32 v219, 0
	v_dot4c_i32_i8_e32 v220, v178, v3
	v_mov_b32_e32 v221, 0
	v_dot4c_i32_i8_e32 v147, v186, v0
	s_waitcnt lgkmcnt(0)
	v_dot4c_i32_i8_e32 v210, v179, v4
	v_dot4c_i32_i8_e32 v212, v199, v4
	;; [unrolled: 1-line block ×47, first 2 shown]
	ds_read_b128 v[4:7], v11 offset:5120
	ds_read_b128 v[0:3], v11 offset:5136
	v_mov_b32_e32 v222, 0
	v_mov_b32_e32 v146, 0
	;; [unrolled: 1-line block ×3, first 2 shown]
	s_waitcnt lgkmcnt(1)
	v_dot4c_i32_i8_e32 v222, v192, v4
	v_dot4c_i32_i8_e32 v222, v192, v5
	;; [unrolled: 1-line block ×6, first 2 shown]
	s_waitcnt lgkmcnt(0)
	v_dot4c_i32_i8_e32 v223, v179, v0
	v_dot4c_i32_i8_e32 v146, v184, v6
	;; [unrolled: 1-line block ×7, first 2 shown]
	v_mul_lo_u32 v210, v210, v206
                                        ; kill: def $vgpr211 killed $sgpr0 killed $exec
	v_dot4c_i32_i8_e32 v222, v199, v2
	v_dot4c_i32_i8_e32 v223, v182, v3
	v_mul_lo_u32 v146, v146, v207
	v_mad_u64_u32 v[210:211], s[18:19], v147, v207, v[210:211]
                                        ; kill: def $vgpr147 killed $sgpr0 killed $exec
	v_dot4c_i32_i8_e32 v222, v199, v3
	v_mad_u64_u32 v[146:147], s[18:19], v223, v206, v[146:147]
	v_cvt_f32_i32_e32 v147, v146
	v_cvt_f32_i32_e32 v146, v210
	;; [unrolled: 1-line block ×4, first 2 shown]
	v_mov_b32_e32 v212, 0
	v_dot4c_i32_i8_e32 v212, v198, v4
	v_dot4c_i32_i8_e32 v212, v198, v5
	v_pk_mul_f32 v[210:211], v[138:139], v[210:211] op_sel_hi:[0,1]
	v_pk_fma_f32 v[146:147], v[136:137], v[146:147], v[210:211] op_sel_hi:[0,1,1] neg_lo:[0,0,1] neg_hi:[0,0,1]
	v_pk_fma_f32 v[30:31], v[144:145], v[146:147], v[30:31]
	v_mov_b32_e32 v146, 0
	v_dot4c_i32_i8_e32 v146, v196, v4
	v_dot4c_i32_i8_e32 v212, v198, v6
	v_mov_b32_e32 v147, 0
	v_dot4c_i32_i8_e32 v146, v193, v5
	v_dot4c_i32_i8_e32 v212, v198, v7
	;; [unrolled: 1-line block ×11, first 2 shown]
	v_mul_lo_u32 v146, v146, v209
	v_mul_lo_u32 v210, v215, v208
                                        ; kill: def $vgpr211 killed $sgpr0 killed $exec
	v_dot4c_i32_i8_e32 v212, v201, v3
	v_mad_u64_u32 v[210:211], s[18:19], v213, v209, v[210:211]
	v_mad_u64_u32 v[146:147], s[18:19], v147, v208, v[146:147]
	v_cvt_f32_i32_e32 v147, v146
	v_cvt_f32_i32_e32 v146, v210
	;; [unrolled: 1-line block ×4, first 2 shown]
	v_mov_b32_e32 v212, 0
	v_dot4c_i32_i8_e32 v212, v173, v4
	v_dot4c_i32_i8_e32 v212, v173, v5
	v_pk_mul_f32 v[210:211], v[142:143], v[210:211] op_sel_hi:[0,1]
	v_pk_fma_f32 v[146:147], v[140:141], v[146:147], v[210:211] op_sel_hi:[0,1,1] neg_lo:[0,0,1] neg_hi:[0,0,1]
	v_pk_fma_f32 v[28:29], v[144:145], v[146:147], v[28:29]
	v_mov_b32_e32 v146, 0
	v_dot4c_i32_i8_e32 v146, v200, v4
	v_dot4c_i32_i8_e32 v212, v173, v6
	v_mov_b32_e32 v147, 0
	v_dot4c_i32_i8_e32 v146, v151, v5
	v_dot4c_i32_i8_e32 v212, v173, v7
	;; [unrolled: 1-line block ×11, first 2 shown]
	v_mul_lo_u32 v146, v146, v205
	v_mul_lo_u32 v210, v218, v204
                                        ; kill: def $vgpr211 killed $sgpr0 killed $exec
	v_dot4c_i32_i8_e32 v212, v187, v3
	v_mad_u64_u32 v[210:211], s[18:19], v216, v205, v[210:211]
	v_mad_u64_u32 v[146:147], s[18:19], v147, v204, v[146:147]
	v_cvt_f32_i32_e32 v147, v146
	v_cvt_f32_i32_e32 v146, v210
	;; [unrolled: 1-line block ×4, first 2 shown]
	v_mov_b32_e32 v214, 0
	v_mov_b32_e32 v217, 0
	;; [unrolled: 1-line block ×3, first 2 shown]
	v_pk_mul_f32 v[210:211], v[10:11], v[210:211] op_sel_hi:[0,1]
	v_pk_fma_f32 v[146:147], v[8:9], v[146:147], v[210:211] op_sel_hi:[0,1,1] neg_lo:[0,0,1] neg_hi:[0,0,1]
	v_pk_fma_f32 v[26:27], v[144:145], v[146:147], v[26:27]
	v_mov_b32_e32 v147, 0
	v_dot4c_i32_i8_e32 v147, v178, v4
	v_mov_b32_e32 v146, 0
	v_dot4c_i32_i8_e32 v147, v178, v5
	v_dot4c_i32_i8_e32 v146, v177, v4
	;; [unrolled: 1-line block ×3, first 2 shown]
	v_mov_b32_e32 v4, 0
	v_dot4c_i32_i8_e32 v146, v174, v5
	v_dot4c_i32_i8_e32 v147, v178, v7
	;; [unrolled: 1-line block ×11, first 2 shown]
	v_mul_lo_u32 v0, v146, v203
	v_mul_lo_u32 v2, v221, v202
                                        ; kill: def $vgpr1 killed $sgpr0 killed $exec
	v_dot4c_i32_i8_e32 v147, v197, v3
	v_mad_u64_u32 v[2:3], s[18:19], v219, v203, v[2:3]
	v_mad_u64_u32 v[0:1], s[18:19], v4, v202, v[0:1]
	v_cvt_f32_i32_e32 v1, v0
	v_cvt_f32_i32_e32 v0, v2
	;; [unrolled: 1-line block ×4, first 2 shown]
	v_mov_b32_e32 v210, 0
	v_mov_b32_e32 v146, 0
	;; [unrolled: 1-line block ×3, first 2 shown]
	v_pk_mul_f32 v[2:3], v[14:15], v[2:3] op_sel_hi:[0,1]
	v_pk_fma_f32 v[0:1], v[12:13], v[0:1], v[2:3] op_sel_hi:[0,1,1] neg_lo:[0,0,1] neg_hi:[0,0,1]
	v_pk_fma_f32 v[24:25], v[144:145], v[0:1], v[24:25]
	ds_read2_b32 v[144:145], v13 offset0:192 offset1:224
	ds_read_b128 v[0:3], v11 offset:6144
	ds_read_b128 v[4:7], v11 offset:6160
	v_mov_b32_e32 v216, 0
	v_mov_b32_e32 v218, 0
	;; [unrolled: 1-line block ×3, first 2 shown]
	s_waitcnt lgkmcnt(1)
	v_dot4c_i32_i8_e32 v214, v192, v0
	v_dot4c_i32_i8_e32 v217, v198, v0
	v_dot4c_i32_i8_e32 v210, v173, v0
	v_dot4c_i32_i8_e32 v146, v178, v0
	v_dot4c_i32_i8_e32 v214, v192, v1
	v_dot4c_i32_i8_e32 v217, v198, v1
	v_dot4c_i32_i8_e32 v210, v173, v1
	v_dot4c_i32_i8_e32 v146, v178, v1
	v_dot4c_i32_i8_e32 v214, v192, v2
	v_dot4c_i32_i8_e32 v217, v198, v2
	v_dot4c_i32_i8_e32 v210, v173, v2
	v_dot4c_i32_i8_e32 v146, v178, v2
	v_dot4c_i32_i8_e32 v214, v192, v3
	v_dot4c_i32_i8_e32 v217, v198, v3
	v_dot4c_i32_i8_e32 v210, v173, v3
	v_mov_b32_e32 v219, 0
	v_mov_b32_e32 v147, 0
	v_dot4c_i32_i8_e32 v146, v178, v3
	v_mov_b32_e32 v211, 0
	v_dot4c_i32_i8_e32 v213, v186, v0
	s_waitcnt lgkmcnt(0)
	v_dot4c_i32_i8_e32 v215, v179, v4
	v_dot4c_i32_i8_e32 v214, v199, v4
	;; [unrolled: 1-line block ×47, first 2 shown]
	ds_read_b128 v[4:7], v11 offset:7168
	ds_read_b128 v[0:3], v11 offset:7184
	v_mov_b32_e32 v220, 0
	s_add_i32 s9, s9, 2
	s_cmp_lt_u32 s11, 22
	s_waitcnt lgkmcnt(1)
	v_dot4c_i32_i8_e32 v220, v186, v4
	v_mov_b32_e32 v186, 0
	v_dot4c_i32_i8_e32 v186, v192, v4
	v_dot4c_i32_i8_e32 v220, v183, v5
	;; [unrolled: 1-line block ×5, first 2 shown]
	v_mov_b32_e32 v184, 0
	v_dot4c_i32_i8_e32 v186, v192, v7
	s_waitcnt lgkmcnt(0)
	v_dot4c_i32_i8_e32 v184, v179, v0
	v_dot4c_i32_i8_e32 v186, v199, v0
	v_dot4c_i32_i8_e32 v184, v180, v1
	v_dot4c_i32_i8_e32 v220, v185, v7
	v_dot4c_i32_i8_e32 v186, v199, v1
	v_dot4c_i32_i8_e32 v184, v181, v2
	v_dot4c_i32_i8_e32 v186, v199, v2
	v_dot4c_i32_i8_e32 v184, v182, v3
	v_mul_lo_u32 v180, v220, v207
	v_mul_lo_u32 v182, v215, v206
	v_dot4c_i32_i8_e32 v186, v199, v3
	v_mad_u64_u32 v[182:183], s[18:19], v213, v207, v[182:183]
	v_mad_u64_u32 v[180:181], s[18:19], v184, v206, v[180:181]
	v_cvt_f32_i32_e32 v181, v180
	v_cvt_f32_i32_e32 v180, v182
	;; [unrolled: 1-line block ×4, first 2 shown]
	v_mov_b32_e32 v179, 0
	v_dot4c_i32_i8_e32 v179, v198, v4
	v_dot4c_i32_i8_e32 v179, v198, v5
	v_pk_mul_f32 v[182:183], v[138:139], v[182:183] op_sel_hi:[0,1]
	v_pk_fma_f32 v[180:181], v[136:137], v[180:181], v[182:183] op_sel_hi:[0,1,1] neg_lo:[0,0,1] neg_hi:[0,0,1]
	v_mov_b32_e32 v136, 0
	v_dot4c_i32_i8_e32 v136, v196, v4
	v_dot4c_i32_i8_e32 v179, v198, v6
	v_mov_b32_e32 v182, 0
	v_dot4c_i32_i8_e32 v136, v193, v5
	v_dot4c_i32_i8_e32 v179, v198, v7
	;; [unrolled: 1-line block ×11, first 2 shown]
	v_mul_lo_u32 v136, v136, v209
	v_mul_lo_u32 v138, v218, v208
	v_pk_fma_f32 v[22:23], v[144:145], v[180:181], v[22:23]
	v_dot4c_i32_i8_e32 v179, v201, v3
	v_mad_u64_u32 v[180:181], s[18:19], v216, v209, v[138:139]
	v_mad_u64_u32 v[182:183], s[18:19], v182, v208, v[136:137]
	v_cvt_f32_i32_e32 v181, v182
	v_cvt_f32_i32_e32 v183, v179
	;; [unrolled: 1-line block ×4, first 2 shown]
	v_mov_b32_e32 v136, 0
	v_dot4c_i32_i8_e32 v136, v200, v4
	v_pk_mul_f32 v[182:183], v[142:143], v[182:183] op_sel_hi:[0,1]
	v_pk_fma_f32 v[180:181], v[140:141], v[180:181], v[182:183] op_sel_hi:[0,1,1] neg_lo:[0,0,1] neg_hi:[0,0,1]
	v_mov_b32_e32 v140, 0
	v_dot4c_i32_i8_e32 v140, v173, v4
	v_dot4c_i32_i8_e32 v140, v173, v5
	;; [unrolled: 1-line block ×3, first 2 shown]
	v_mov_b32_e32 v142, 0
	v_dot4c_i32_i8_e32 v136, v151, v5
	v_dot4c_i32_i8_e32 v140, v173, v7
	;; [unrolled: 1-line block ×11, first 2 shown]
	v_mul_lo_u32 v136, v136, v205
	v_mul_lo_u32 v138, v219, v204
	v_dot4c_i32_i8_e32 v140, v187, v3
	v_mad_u64_u32 v[148:149], s[18:19], v212, v205, v[138:139]
	v_mad_u64_u32 v[150:151], s[18:19], v142, v204, v[136:137]
	v_cvt_f32_i32_e32 v149, v150
	v_cvt_f32_i32_e32 v151, v140
	;; [unrolled: 1-line block ×4, first 2 shown]
                                        ; kill: def $vgpr15 killed $sgpr0 killed $exec
	v_pk_fma_f32 v[20:21], v[144:145], v[180:181], v[20:21]
	s_mov_b32 s17, s11
	v_pk_mul_f32 v[150:151], v[10:11], v[150:151] op_sel_hi:[0,1]
	v_mov_b32_e32 v10, 0
	v_dot4c_i32_i8_e32 v10, v178, v4
	v_pk_fma_f32 v[148:149], v[8:9], v[148:149], v[150:151] op_sel_hi:[0,1,1] neg_lo:[0,0,1] neg_hi:[0,0,1]
	v_mov_b32_e32 v8, 0
	v_dot4c_i32_i8_e32 v10, v178, v5
	v_dot4c_i32_i8_e32 v8, v177, v4
	;; [unrolled: 1-line block ×3, first 2 shown]
	v_mov_b32_e32 v4, 0
	v_dot4c_i32_i8_e32 v8, v174, v5
	v_dot4c_i32_i8_e32 v10, v178, v7
	;; [unrolled: 1-line block ×11, first 2 shown]
	v_mul_lo_u32 v0, v8, v203
	v_mul_lo_u32 v2, v211, v202
                                        ; kill: def $vgpr1 killed $sgpr0 killed $exec
	v_dot4c_i32_i8_e32 v10, v197, v3
	v_mad_u64_u32 v[2:3], s[18:19], v147, v203, v[2:3]
	v_mad_u64_u32 v[0:1], s[18:19], v4, v202, v[0:1]
	v_cvt_f32_i32_e32 v1, v0
	v_cvt_f32_i32_e32 v0, v2
	;; [unrolled: 1-line block ×4, first 2 shown]
	v_pk_fma_f32 v[18:19], v[144:145], v[148:149], v[18:19]
	v_add_u32_e32 v11, 32, v11
	v_pk_mul_f32 v[2:3], v[14:15], v[2:3] op_sel_hi:[0,1]
	v_pk_fma_f32 v[0:1], v[12:13], v[0:1], v[2:3] op_sel_hi:[0,1,1] neg_lo:[0,0,1] neg_hi:[0,0,1]
	v_pk_fma_f32 v[16:17], v[144:145], v[0:1], v[16:17]
	v_add_u32_e32 v13, 4, v13
	s_cbranch_scc1 .LBB128_12
; %bb.13:                               ;   in Loop: Header=BB128_6 Depth=1
	v_add_u32_e32 v8, s8, v109
	v_add_u32_e32 v0, v8, v53
	;; [unrolled: 1-line block ×9, first 2 shown]
	v_mad_i64_i32 v[144:145], s[8:9], v8, 36, v[132:133]
	v_add_u32_e32 v8, 12, v9
	v_mad_i64_i32 v[0:1], s[8:9], v0, 36, v[132:133]
	v_mad_i64_i32 v[2:3], s[8:9], v2, 36, v[132:133]
	;; [unrolled: 1-line block ×4, first 2 shown]
	v_mad_u64_u32 v[8:9], s[8:9], v8, 36, s[2:3]
	s_barrier
	v_mad_i64_i32 v[10:11], s[8:9], v10, 36, v[132:133]
	v_mad_i64_i32 v[12:13], s[8:9], v12, 36, v[132:133]
	;; [unrolled: 1-line block ×3, first 2 shown]
	global_load_dword v8, v[8:9], off
	s_nop 0
	global_load_dword v0, v[0:1], off offset:4
	s_nop 0
	global_load_dword v1, v[2:3], off offset:4
	;; [unrolled: 2-line block ×3, first 2 shown]
	global_load_dword v3, v[6:7], off offset:4
	s_nop 0
	global_load_dword v4, v[10:11], off offset:4
	global_load_dword v5, v[12:13], off offset:4
	;; [unrolled: 1-line block ×4, first 2 shown]
	s_mov_b32 s8, 24
	s_mov_b32 s11, 22
	v_mov_b32_e32 v145, v159
	v_mov_b32_e32 v147, v158
	s_waitcnt vmcnt(8)
	v_cvt_f32_f16_e32 v8, v8
	s_waitcnt vmcnt(7)
	ds_write_b32 v57, v0
	s_waitcnt vmcnt(6)
	ds_write_b32 v63, v1
	;; [unrolled: 2-line block ×8, first 2 shown]
	ds_write_b32 v51, v8
	s_waitcnt lgkmcnt(0)
	s_barrier
.LBB128_14:                             ;   Parent Loop BB128_6 Depth=1
                                        ; =>  This Inner Loop Header: Depth=2
	s_add_i32 s9, s11, 2
	s_and_b32 s18, s9, 0x3ffffff8
	s_lshl_b32 s18, s18, 2
	v_add_u32_e32 v10, s18, v89
	ds_read2_b32 v[152:153], v147 offset1:32
	ds_read_b128 v[4:7], v145
	ds_read_b128 v[0:3], v145 offset:16
	ds_read2_b32 v[8:9], v10 offset1:1
	s_sub_i32 s17, s11, 22
	s_and_b32 s19, s8, -16
	s_add_i32 s11, s11, s19
	s_lshr_b32 s19, s9, 2
	s_waitcnt lgkmcnt(0)
	v_ashrrev_i32_e32 v8, s17, v8
	v_and_b32_e32 v196, 0x3030303, v8
	v_ashrrev_i32_e32 v8, s17, v9
	v_and_b32_e32 v190, 0x3030303, v8
	ds_read2_b32 v[8:9], v10 offset0:2 offset1:3
	s_and_b32 s19, s19, 0x3ffffffc
	v_add_u32_e32 v154, s11, v163
	v_add_u32_e32 v204, s11, v162
	v_mov_b32_e32 v210, 0
	s_waitcnt lgkmcnt(0)
	v_ashrrev_i32_e32 v8, s17, v8
	v_and_b32_e32 v193, 0x3030303, v8
	v_ashrrev_i32_e32 v8, s17, v9
	v_and_b32_e32 v194, 0x3030303, v8
	ds_read2_b32 v[8:9], v10 offset0:4 offset1:5
	v_mov_b32_e32 v211, 0
	v_mov_b32_e32 v213, 0
	;; [unrolled: 1-line block ×4, first 2 shown]
	s_waitcnt lgkmcnt(0)
	v_ashrrev_i32_e32 v8, s17, v8
	v_and_b32_e32 v183, 0x3030303, v8
	v_ashrrev_i32_e32 v8, s17, v9
	v_and_b32_e32 v184, 0x3030303, v8
	ds_read2_b32 v[8:9], v10 offset0:6 offset1:7
	v_add_u32_e32 v10, s18, v93
	v_dot4c_i32_i8_e32 v210, v183, v0
	v_dot4c_i32_i8_e32 v155, v196, v4
	;; [unrolled: 1-line block ×3, first 2 shown]
	s_waitcnt lgkmcnt(0)
	v_ashrrev_i32_e32 v8, s17, v8
	v_and_b32_e32 v187, 0x3030303, v8
	v_ashrrev_i32_e32 v8, s17, v9
	v_and_b32_e32 v188, 0x3030303, v8
	v_add_u32_e32 v8, s19, v91
	ds_read_b32 v8, v8
	v_mov_b32_e32 v212, 0
	v_dot4c_i32_i8_e32 v155, v190, v5
	v_dot4c_i32_i8_e32 v210, v187, v2
	;; [unrolled: 1-line block ×3, first 2 shown]
	s_waitcnt lgkmcnt(0)
	v_cvt_f32_f16_e32 v144, v8
	v_cvt_f32_f16_sdwa v146, v8 dst_sel:DWORD dst_unused:UNUSED_PAD src0_sel:WORD_1
	ds_read2_b32 v[8:9], v10 offset1:1
	v_dot4c_i32_i8_e32 v210, v188, v3
	v_dot4c_i32_i8_e32 v155, v194, v7
	v_mov_b32_e32 v220, 0
	v_mov_b32_e32 v221, 0
	s_waitcnt lgkmcnt(0)
	v_ashrrev_i32_e32 v8, s17, v8
	v_and_b32_e32 v195, 0x3030303, v8
	v_ashrrev_i32_e32 v8, s17, v9
	v_and_b32_e32 v189, 0x3030303, v8
	ds_read2_b32 v[8:9], v10 offset0:2 offset1:3
	v_mov_b32_e32 v214, 0
	v_mov_b32_e32 v203, 0
	v_dot4c_i32_i8_e32 v203, v195, v4
	v_dot4c_i32_i8_e32 v203, v189, v5
	s_waitcnt lgkmcnt(0)
	v_ashrrev_i32_e32 v8, s17, v8
	v_and_b32_e32 v191, 0x3030303, v8
	v_ashrrev_i32_e32 v8, s17, v9
	v_and_b32_e32 v192, 0x3030303, v8
	ds_read2_b32 v[8:9], v10 offset0:4 offset1:5
	v_dot4c_i32_i8_e32 v203, v191, v6
	v_dot4c_i32_i8_e32 v203, v192, v7
	v_add_u32_e32 v202, s11, v161
	v_mov_b32_e32 v217, 0
	s_waitcnt lgkmcnt(0)
	v_ashrrev_i32_e32 v8, s17, v8
	v_and_b32_e32 v181, 0x3030303, v8
	v_ashrrev_i32_e32 v8, s17, v9
	v_and_b32_e32 v182, 0x3030303, v8
	ds_read2_b32 v[8:9], v10 offset0:6 offset1:7
	v_add_u32_e32 v10, s18, v97
	v_dot4c_i32_i8_e32 v214, v181, v0
	v_dot4c_i32_i8_e32 v214, v182, v1
	v_mov_b32_e32 v209, 0
	s_waitcnt lgkmcnt(0)
	v_ashrrev_i32_e32 v8, s17, v8
	v_and_b32_e32 v185, 0x3030303, v8
	v_ashrrev_i32_e32 v8, s17, v9
	v_and_b32_e32 v186, 0x3030303, v8
	v_add_u32_e32 v8, s19, v95
	ds_read_b32 v8, v8
	v_dot4c_i32_i8_e32 v214, v185, v2
	v_dot4c_i32_i8_e32 v214, v186, v3
	v_add_u32_e32 v201, s11, v160
	v_mov_b32_e32 v215, 0
	s_waitcnt lgkmcnt(0)
	v_cvt_f32_f16_e32 v148, v8
	v_cvt_f32_f16_sdwa v150, v8 dst_sel:DWORD dst_unused:UNUSED_PAD src0_sel:WORD_1
	ds_read2_b32 v[8:9], v10 offset1:1
	v_mov_b32_e32 v216, 0
	v_mov_b32_e32 v222, 0
	s_add_i32 s8, s8, 2
	s_cmp_lt_u32 s9, 30
	s_waitcnt lgkmcnt(0)
	v_ashrrev_i32_e32 v8, s17, v8
	v_and_b32_e32 v200, 0x3030303, v8
	v_ashrrev_i32_e32 v8, s17, v9
	v_and_b32_e32 v197, 0x3030303, v8
	ds_read2_b32 v[8:9], v10 offset0:2 offset1:3
	v_dot4c_i32_i8_e32 v209, v200, v4
	v_dot4c_i32_i8_e32 v209, v197, v5
	s_mov_b32 s11, s9
	s_waitcnt lgkmcnt(0)
	v_ashrrev_i32_e32 v8, s17, v8
	v_and_b32_e32 v198, 0x3030303, v8
	v_ashrrev_i32_e32 v8, s17, v9
	v_and_b32_e32 v199, 0x3030303, v8
	ds_read2_b32 v[8:9], v10 offset0:4 offset1:5
	v_dot4c_i32_i8_e32 v209, v198, v6
	v_dot4c_i32_i8_e32 v209, v199, v7
	s_waitcnt lgkmcnt(0)
	v_ashrrev_i32_e32 v8, s17, v8
	v_and_b32_e32 v173, 0x3030303, v8
	v_ashrrev_i32_e32 v8, s17, v9
	v_and_b32_e32 v174, 0x3030303, v8
	ds_read2_b32 v[8:9], v10 offset0:6 offset1:7
	v_add_u32_e32 v10, s18, v101
	v_dot4c_i32_i8_e32 v217, v173, v0
	v_dot4c_i32_i8_e32 v217, v174, v1
	s_waitcnt lgkmcnt(0)
	v_ashrrev_i32_e32 v8, s17, v8
	v_and_b32_e32 v175, 0x3030303, v8
	v_ashrrev_i32_e32 v8, s17, v9
	v_and_b32_e32 v176, 0x3030303, v8
	v_add_u32_e32 v8, s19, v99
	ds_read_b32 v8, v8
	v_dot4c_i32_i8_e32 v217, v175, v2
	v_dot4c_i32_i8_e32 v217, v176, v3
	s_waitcnt lgkmcnt(0)
	v_cvt_f32_f16_e32 v140, v8
	v_cvt_f32_f16_sdwa v142, v8 dst_sel:DWORD dst_unused:UNUSED_PAD src0_sel:WORD_1
	ds_read2_b32 v[8:9], v10 offset1:1
	s_waitcnt lgkmcnt(0)
	v_ashrrev_i32_e32 v8, s17, v8
	v_and_b32_e32 v180, 0x3030303, v8
	v_ashrrev_i32_e32 v8, s17, v9
	v_and_b32_e32 v177, 0x3030303, v8
	ds_read2_b32 v[8:9], v10 offset0:2 offset1:3
	v_dot4c_i32_i8_e32 v215, v180, v4
	v_dot4c_i32_i8_e32 v215, v177, v5
	s_waitcnt lgkmcnt(0)
	v_ashrrev_i32_e32 v8, s17, v8
	v_and_b32_e32 v178, 0x3030303, v8
	v_ashrrev_i32_e32 v8, s17, v9
	v_and_b32_e32 v179, 0x3030303, v8
	ds_read2_b32 v[8:9], v10 offset0:4 offset1:5
	v_dot4c_i32_i8_e32 v215, v178, v6
	v_dot4c_i32_i8_e32 v215, v179, v7
	;; [unrolled: 8-line block ×3, first 2 shown]
	s_waitcnt lgkmcnt(0)
	v_ashrrev_i32_e32 v8, s17, v8
	v_and_b32_e32 v171, 0x3030303, v8
	v_ashrrev_i32_e32 v8, s17, v9
	v_and_b32_e32 v172, 0x3030303, v8
	v_add_u32_e32 v8, s19, v103
	ds_read_b32 v8, v8
	v_dot4c_i32_i8_e32 v216, v171, v2
	v_dot4c_i32_i8_e32 v216, v172, v3
	s_waitcnt lgkmcnt(0)
	v_cvt_f32_f16_e32 v136, v8
	v_cvt_f32_f16_sdwa v138, v8 dst_sel:DWORD dst_unused:UNUSED_PAD src0_sel:WORD_1
	ds_read_b128 v[12:15], v145 offset:1024
	ds_read_b128 v[8:11], v145 offset:1040
	ds_read_u16 v154, v154 offset:25074
	ds_read_u16 v204, v204 offset:26098
	s_waitcnt lgkmcnt(3)
	v_dot4c_i32_i8_e32 v211, v196, v12
	v_dot4c_i32_i8_e32 v211, v190, v13
	s_waitcnt lgkmcnt(1)
	v_bfe_u32 v205, v154, 4, 4
	v_mul_lo_u32 v208, v205, s1
	v_dot4c_i32_i8_e32 v213, v208, v4
	v_dot4c_i32_i8_e32 v218, v208, v12
	v_dot4c_i32_i8_e32 v213, v208, v5
	v_dot4c_i32_i8_e32 v218, v208, v13
	v_dot4c_i32_i8_e32 v211, v193, v14
	v_dot4c_i32_i8_e32 v212, v183, v8
	v_dot4c_i32_i8_e32 v213, v208, v6
	v_lshrrev_b32_sdwa v205, v169, v154 dst_sel:DWORD dst_unused:UNUSED_PAD src0_sel:DWORD src1_sel:BYTE_1
	v_dot4c_i32_i8_e32 v218, v208, v14
	v_dot4c_i32_i8_e32 v211, v194, v15
	;; [unrolled: 1-line block ×4, first 2 shown]
	v_mul_lo_u32 v207, v205, s1
	v_and_b32_sdwa v205, v154, v170 dst_sel:DWORD dst_unused:UNUSED_PAD src0_sel:BYTE_1 src1_sel:DWORD
	v_and_b32_e32 v206, 15, v154
	v_dot4c_i32_i8_e32 v218, v208, v15
	v_dot4c_i32_i8_e32 v212, v187, v10
	;; [unrolled: 1-line block ×3, first 2 shown]
	v_mul_lo_u32 v154, v206, v211
	v_mul_lo_u32 v210, v205, v210
	v_dot4c_i32_i8_e32 v218, v207, v8
                                        ; kill: def $vgpr211 killed $sgpr0 killed $exec
	v_dot4c_i32_i8_e32 v212, v188, v11
	v_dot4c_i32_i8_e32 v213, v207, v1
	;; [unrolled: 1-line block ×3, first 2 shown]
	v_mad_u64_u32 v[210:211], s[18:19], v206, v155, v[210:211]
                                        ; kill: def $vgpr155 killed $sgpr0 killed $exec
	v_dot4c_i32_i8_e32 v213, v207, v2
	v_dot4c_i32_i8_e32 v218, v207, v10
	v_mad_u64_u32 v[154:155], s[18:19], v205, v212, v[154:155]
	v_dot4c_i32_i8_e32 v213, v207, v3
	v_dot4c_i32_i8_e32 v218, v207, v11
	v_cvt_f32_i32_e32 v155, v154
	v_cvt_f32_i32_e32 v154, v210
	;; [unrolled: 1-line block ×4, first 2 shown]
	v_pk_mul_f32 v[154:155], v[144:145], v[154:155] op_sel_hi:[0,1]
	v_pk_fma_f32 v[210:211], v[146:147], v[210:211], v[154:155] op_sel:[0,0,1] op_sel_hi:[0,1,0] neg_lo:[1,0,0] neg_hi:[1,0,0]
	v_mov_b32_e32 v154, v153
	v_mov_b32_e32 v155, v152
	v_pk_fma_f32 v[126:127], v[154:155], v[210:211], v[126:127]
	s_waitcnt lgkmcnt(0)
	v_bfe_u32 v210, v204, 4, 4
	v_mul_lo_u32 v213, v210, s1
	v_mov_b32_e32 v152, 0
	v_dot4c_i32_i8_e32 v220, v213, v4
	v_dot4c_i32_i8_e32 v221, v213, v12
	;; [unrolled: 1-line block ×3, first 2 shown]
	v_mov_b32_e32 v153, 0
	v_dot4c_i32_i8_e32 v220, v213, v5
	v_dot4c_i32_i8_e32 v221, v213, v13
	;; [unrolled: 1-line block ×5, first 2 shown]
	v_lshrrev_b32_sdwa v210, v169, v204 dst_sel:DWORD dst_unused:UNUSED_PAD src0_sel:DWORD src1_sel:BYTE_1
	v_dot4c_i32_i8_e32 v221, v213, v14
	v_dot4c_i32_i8_e32 v152, v191, v14
	;; [unrolled: 1-line block ×4, first 2 shown]
	v_mul_lo_u32 v212, v210, s1
	v_dot4c_i32_i8_e32 v221, v213, v15
	v_dot4c_i32_i8_e32 v152, v192, v15
	;; [unrolled: 1-line block ×4, first 2 shown]
	v_and_b32_sdwa v210, v204, v170 dst_sel:DWORD dst_unused:UNUSED_PAD src0_sel:BYTE_1 src1_sel:DWORD
	v_and_b32_e32 v211, 15, v204
	v_dot4c_i32_i8_e32 v221, v212, v8
	v_dot4c_i32_i8_e32 v153, v186, v11
	;; [unrolled: 1-line block ×3, first 2 shown]
	v_mul_lo_u32 v152, v211, v152
	v_mul_lo_u32 v204, v210, v214
	v_dot4c_i32_i8_e32 v221, v212, v9
	v_dot4c_i32_i8_e32 v220, v212, v2
	;; [unrolled: 1-line block ×3, first 2 shown]
	v_mad_u64_u32 v[218:219], s[18:19], v211, v203, v[204:205]
	v_mad_u64_u32 v[152:153], s[18:19], v210, v153, v[152:153]
	ds_read_u16 v203, v202 offset:27122
	v_dot4c_i32_i8_e32 v220, v212, v3
	v_dot4c_i32_i8_e32 v221, v212, v11
	v_cvt_f32_i32_e32 v153, v152
	v_cvt_f32_i32_e32 v152, v218
	;; [unrolled: 1-line block ×4, first 2 shown]
	s_waitcnt lgkmcnt(0)
	v_bfe_u32 v202, v203, 4, 4
	v_pk_mul_f32 v[152:153], v[148:149], v[152:153] op_sel_hi:[0,1]
	v_mul_lo_u32 v214, v202, s1
	v_pk_fma_f32 v[152:153], v[150:151], v[218:219], v[152:153] op_sel:[0,0,1] op_sel_hi:[0,1,0] neg_lo:[1,0,0] neg_hi:[1,0,0]
	v_mov_b32_e32 v220, 0
	v_mov_b32_e32 v221, 0
	v_pk_fma_f32 v[128:129], v[154:155], v[152:153], v[128:129]
	v_mov_b32_e32 v152, 0
	v_dot4c_i32_i8_e32 v220, v214, v4
	v_dot4c_i32_i8_e32 v221, v214, v12
	;; [unrolled: 1-line block ×3, first 2 shown]
	v_mov_b32_e32 v153, 0
	v_dot4c_i32_i8_e32 v220, v214, v5
	v_dot4c_i32_i8_e32 v221, v214, v13
	;; [unrolled: 1-line block ×5, first 2 shown]
	v_lshrrev_b32_sdwa v202, v169, v203 dst_sel:DWORD dst_unused:UNUSED_PAD src0_sel:DWORD src1_sel:BYTE_1
	v_dot4c_i32_i8_e32 v221, v214, v14
	v_dot4c_i32_i8_e32 v152, v198, v14
	;; [unrolled: 1-line block ×4, first 2 shown]
	v_mul_lo_u32 v204, v202, s1
	v_dot4c_i32_i8_e32 v221, v214, v15
	v_dot4c_i32_i8_e32 v152, v199, v15
	;; [unrolled: 1-line block ×4, first 2 shown]
	v_and_b32_sdwa v202, v203, v170 dst_sel:DWORD dst_unused:UNUSED_PAD src0_sel:BYTE_1 src1_sel:DWORD
	v_and_b32_e32 v203, 15, v203
	v_dot4c_i32_i8_e32 v221, v204, v8
	v_dot4c_i32_i8_e32 v153, v176, v11
	;; [unrolled: 1-line block ×3, first 2 shown]
	v_mul_lo_u32 v152, v203, v152
	v_mul_lo_u32 v218, v202, v217
	v_dot4c_i32_i8_e32 v221, v204, v9
	v_dot4c_i32_i8_e32 v220, v204, v2
	;; [unrolled: 1-line block ×3, first 2 shown]
	v_mad_u64_u32 v[218:219], s[18:19], v203, v209, v[218:219]
	v_mad_u64_u32 v[152:153], s[18:19], v202, v153, v[152:153]
	v_dot4c_i32_i8_e32 v220, v204, v3
	v_dot4c_i32_i8_e32 v221, v204, v11
	v_cvt_f32_i32_e32 v153, v152
	v_cvt_f32_i32_e32 v152, v218
	;; [unrolled: 1-line block ×4, first 2 shown]
	v_mov_b32_e32 v217, 0
	v_pk_mul_f32 v[152:153], v[140:141], v[152:153] op_sel_hi:[0,1]
	v_dot4c_i32_i8_e32 v217, v180, v12
	v_pk_fma_f32 v[152:153], v[142:143], v[218:219], v[152:153] op_sel:[0,0,1] op_sel_hi:[0,1,0] neg_lo:[1,0,0] neg_hi:[1,0,0]
	v_pk_fma_f32 v[122:123], v[154:155], v[152:153], v[122:123]
	ds_read_u16 v153, v201 offset:28146
	v_mov_b32_e32 v219, 0
	v_mov_b32_e32 v218, 0
	v_dot4c_i32_i8_e32 v217, v177, v13
	v_dot4c_i32_i8_e32 v218, v149, v8
	s_waitcnt lgkmcnt(0)
	v_bfe_u32 v152, v153, 4, 4
	v_mul_lo_u32 v209, v152, s1
	v_dot4c_i32_i8_e32 v219, v209, v4
	v_lshrrev_b32_sdwa v4, v169, v153 dst_sel:DWORD dst_unused:UNUSED_PAD src0_sel:DWORD src1_sel:BYTE_1
	v_mul_lo_u32 v201, v4, s1
	v_mov_b32_e32 v4, 0
	v_dot4c_i32_i8_e32 v219, v209, v5
	v_dot4c_i32_i8_e32 v4, v209, v12
	;; [unrolled: 1-line block ×13, first 2 shown]
	v_and_b32_sdwa v152, v153, v170 dst_sel:DWORD dst_unused:UNUSED_PAD src0_sel:BYTE_1 src1_sel:DWORD
	v_and_b32_e32 v153, 15, v153
	v_dot4c_i32_i8_e32 v4, v201, v8
	v_dot4c_i32_i8_e32 v218, v172, v11
	;; [unrolled: 1-line block ×3, first 2 shown]
	v_mul_lo_u32 v0, v153, v217
	v_mul_lo_u32 v2, v152, v216
	v_dot4c_i32_i8_e32 v4, v201, v9
                                        ; kill: def $vgpr1 killed $sgpr0 killed $exec
	v_dot4c_i32_i8_e32 v219, v201, v3
	v_dot4c_i32_i8_e32 v4, v201, v10
	v_mad_u64_u32 v[2:3], s[18:19], v153, v215, v[2:3]
	v_mad_u64_u32 v[0:1], s[18:19], v152, v218, v[0:1]
	v_dot4c_i32_i8_e32 v4, v201, v11
	v_cvt_f32_i32_e32 v1, v0
	v_cvt_f32_i32_e32 v0, v2
	;; [unrolled: 1-line block ×4, first 2 shown]
	v_mov_b32_e32 v14, 0
	v_pk_mul_f32 v[0:1], v[136:137], v[0:1] op_sel_hi:[0,1]
	v_mov_b32_e32 v216, 0
	v_pk_fma_f32 v[0:1], v[138:139], v[2:3], v[0:1] op_sel:[0,0,1] op_sel_hi:[0,1,0] neg_lo:[1,0,0] neg_hi:[1,0,0]
	v_pk_fma_f32 v[118:119], v[154:155], v[0:1], v[118:119]
	ds_read2_b32 v[8:9], v147 offset0:64 offset1:96
	ds_read_b128 v[0:3], v145 offset:2048
	ds_read_b128 v[4:7], v145 offset:2064
	v_mov_b32_e32 v154, 0
	v_mov_b32_e32 v219, 0
	;; [unrolled: 1-line block ×3, first 2 shown]
	s_waitcnt lgkmcnt(1)
	v_dot4c_i32_i8_e32 v14, v208, v0
	v_dot4c_i32_i8_e32 v154, v213, v0
	;; [unrolled: 1-line block ×13, first 2 shown]
	v_mov_b32_e32 v12, 0
	v_mov_b32_e32 v15, 0
	v_dot4c_i32_i8_e32 v154, v213, v3
	v_mov_b32_e32 v155, 0
	v_mov_b32_e32 v215, 0
	v_dot4c_i32_i8_e32 v216, v214, v3
	;; [unrolled: 3-line block ×3, first 2 shown]
	v_mov_b32_e32 v220, 0
	v_dot4c_i32_i8_e32 v11, v196, v0
	s_waitcnt lgkmcnt(0)
	v_dot4c_i32_i8_e32 v12, v183, v4
	v_dot4c_i32_i8_e32 v14, v207, v4
	;; [unrolled: 1-line block ×47, first 2 shown]
	ds_read_b128 v[4:7], v145 offset:3072
	ds_read_b128 v[0:3], v145 offset:3088
	v_mov_b32_e32 v221, 0
	v_mov_b32_e32 v10, 0
	v_mul_lo_u32 v12, v12, v205
	s_waitcnt lgkmcnt(1)
	v_dot4c_i32_i8_e32 v221, v208, v4
	v_dot4c_i32_i8_e32 v221, v208, v5
	v_dot4c_i32_i8_e32 v10, v196, v4
	v_dot4c_i32_i8_e32 v221, v208, v6
	v_dot4c_i32_i8_e32 v10, v190, v5
	v_dot4c_i32_i8_e32 v221, v208, v7
	s_waitcnt lgkmcnt(0)
	v_dot4c_i32_i8_e32 v222, v183, v0
	v_dot4c_i32_i8_e32 v10, v193, v6
	;; [unrolled: 1-line block ×7, first 2 shown]
                                        ; kill: def $vgpr13 killed $sgpr0 killed $exec
	v_dot4c_i32_i8_e32 v221, v207, v2
	v_dot4c_i32_i8_e32 v222, v188, v3
	v_mul_lo_u32 v10, v10, v206
	v_mad_u64_u32 v[12:13], s[18:19], v11, v206, v[12:13]
                                        ; kill: def $vgpr11 killed $sgpr0 killed $exec
	v_dot4c_i32_i8_e32 v221, v207, v3
	v_mad_u64_u32 v[10:11], s[18:19], v222, v205, v[10:11]
	v_cvt_f32_i32_e32 v11, v10
	v_cvt_f32_i32_e32 v10, v12
	;; [unrolled: 1-line block ×4, first 2 shown]
	v_mov_b32_e32 v14, 0
	v_dot4c_i32_i8_e32 v14, v213, v4
	v_dot4c_i32_i8_e32 v14, v213, v5
	v_pk_mul_f32 v[12:13], v[146:147], v[12:13] op_sel_hi:[0,1]
	v_pk_fma_f32 v[10:11], v[144:145], v[10:11], v[12:13] op_sel_hi:[0,1,1] neg_lo:[0,0,1] neg_hi:[0,0,1]
	v_pk_fma_f32 v[58:59], v[8:9], v[10:11], v[58:59]
	v_mov_b32_e32 v10, 0
	v_dot4c_i32_i8_e32 v10, v195, v4
	v_dot4c_i32_i8_e32 v14, v213, v6
	v_mov_b32_e32 v11, 0
	v_dot4c_i32_i8_e32 v10, v189, v5
	v_dot4c_i32_i8_e32 v14, v213, v7
	;; [unrolled: 1-line block ×11, first 2 shown]
	v_mul_lo_u32 v10, v10, v211
	v_mul_lo_u32 v12, v155, v210
                                        ; kill: def $vgpr13 killed $sgpr0 killed $exec
	v_dot4c_i32_i8_e32 v14, v212, v3
	v_mad_u64_u32 v[12:13], s[18:19], v15, v211, v[12:13]
	v_mad_u64_u32 v[10:11], s[18:19], v11, v210, v[10:11]
	v_cvt_f32_i32_e32 v11, v10
	v_cvt_f32_i32_e32 v10, v12
	;; [unrolled: 1-line block ×4, first 2 shown]
	v_mov_b32_e32 v14, 0
	v_dot4c_i32_i8_e32 v14, v214, v4
	v_dot4c_i32_i8_e32 v14, v214, v5
	v_pk_mul_f32 v[12:13], v[150:151], v[12:13] op_sel_hi:[0,1]
	v_pk_fma_f32 v[10:11], v[148:149], v[10:11], v[12:13] op_sel_hi:[0,1,1] neg_lo:[0,0,1] neg_hi:[0,0,1]
	v_pk_fma_f32 v[44:45], v[8:9], v[10:11], v[44:45]
	v_mov_b32_e32 v10, 0
	v_dot4c_i32_i8_e32 v10, v200, v4
	v_dot4c_i32_i8_e32 v14, v214, v6
	v_mov_b32_e32 v11, 0
	v_dot4c_i32_i8_e32 v10, v197, v5
	v_dot4c_i32_i8_e32 v14, v214, v7
	;; [unrolled: 1-line block ×11, first 2 shown]
	v_mul_lo_u32 v10, v10, v203
	v_mul_lo_u32 v12, v217, v202
                                        ; kill: def $vgpr13 killed $sgpr0 killed $exec
	v_dot4c_i32_i8_e32 v14, v204, v3
	v_mad_u64_u32 v[12:13], s[18:19], v215, v203, v[12:13]
	v_mad_u64_u32 v[10:11], s[18:19], v11, v202, v[10:11]
	v_cvt_f32_i32_e32 v11, v10
	v_cvt_f32_i32_e32 v10, v12
	;; [unrolled: 1-line block ×4, first 2 shown]
	v_mov_b32_e32 v14, 0
	v_mov_b32_e32 v154, 0
	;; [unrolled: 1-line block ×3, first 2 shown]
	v_pk_mul_f32 v[12:13], v[142:143], v[12:13] op_sel_hi:[0,1]
	v_pk_fma_f32 v[10:11], v[140:141], v[10:11], v[12:13] op_sel_hi:[0,1,1] neg_lo:[0,0,1] neg_hi:[0,0,1]
	v_pk_fma_f32 v[36:37], v[8:9], v[10:11], v[36:37]
	v_mov_b32_e32 v11, 0
	v_dot4c_i32_i8_e32 v11, v209, v4
	v_mov_b32_e32 v10, 0
	v_dot4c_i32_i8_e32 v11, v209, v5
	v_dot4c_i32_i8_e32 v10, v180, v4
	;; [unrolled: 1-line block ×3, first 2 shown]
	v_mov_b32_e32 v4, 0
	v_dot4c_i32_i8_e32 v10, v177, v5
	v_dot4c_i32_i8_e32 v11, v209, v7
	;; [unrolled: 1-line block ×11, first 2 shown]
	v_mul_lo_u32 v0, v10, v153
	v_mul_lo_u32 v2, v220, v152
                                        ; kill: def $vgpr1 killed $sgpr0 killed $exec
	v_dot4c_i32_i8_e32 v11, v201, v3
	v_mad_u64_u32 v[2:3], s[18:19], v218, v153, v[2:3]
	v_mad_u64_u32 v[0:1], s[18:19], v4, v152, v[0:1]
	v_cvt_f32_i32_e32 v1, v0
	v_cvt_f32_i32_e32 v0, v2
	v_cvt_f32_i32_e32 v3, v11
	v_cvt_f32_i32_e32 v2, v219
	v_mov_b32_e32 v219, 0
	v_mov_b32_e32 v11, 0
	v_mov_b32_e32 v12, 0
	v_pk_mul_f32 v[2:3], v[138:139], v[2:3] op_sel_hi:[0,1]
	v_pk_fma_f32 v[0:1], v[136:137], v[0:1], v[2:3] op_sel_hi:[0,1,1] neg_lo:[0,0,1] neg_hi:[0,0,1]
	v_pk_fma_f32 v[32:33], v[8:9], v[0:1], v[32:33]
	ds_read2_b32 v[8:9], v147 offset0:128 offset1:160
	ds_read_b128 v[0:3], v145 offset:4096
	ds_read_b128 v[4:7], v145 offset:4112
	v_mov_b32_e32 v15, 0
	v_mov_b32_e32 v155, 0
	;; [unrolled: 1-line block ×3, first 2 shown]
	s_waitcnt lgkmcnt(1)
	v_dot4c_i32_i8_e32 v14, v208, v0
	v_dot4c_i32_i8_e32 v154, v213, v0
	;; [unrolled: 1-line block ×15, first 2 shown]
	v_mov_b32_e32 v217, 0
	v_mov_b32_e32 v218, 0
	v_dot4c_i32_i8_e32 v219, v209, v3
	v_mov_b32_e32 v220, 0
	v_dot4c_i32_i8_e32 v11, v196, v0
	s_waitcnt lgkmcnt(0)
	v_dot4c_i32_i8_e32 v12, v183, v4
	v_dot4c_i32_i8_e32 v14, v207, v4
	;; [unrolled: 1-line block ×47, first 2 shown]
	ds_read_b128 v[4:7], v145 offset:5120
	ds_read_b128 v[0:3], v145 offset:5136
	v_mov_b32_e32 v221, 0
	v_mov_b32_e32 v10, 0
	;; [unrolled: 1-line block ×3, first 2 shown]
	s_waitcnt lgkmcnt(1)
	v_dot4c_i32_i8_e32 v221, v208, v4
	v_dot4c_i32_i8_e32 v221, v208, v5
	;; [unrolled: 1-line block ×6, first 2 shown]
	s_waitcnt lgkmcnt(0)
	v_dot4c_i32_i8_e32 v222, v183, v0
	v_dot4c_i32_i8_e32 v10, v193, v6
	;; [unrolled: 1-line block ×7, first 2 shown]
	v_mul_lo_u32 v12, v12, v205
                                        ; kill: def $vgpr13 killed $sgpr0 killed $exec
	v_dot4c_i32_i8_e32 v221, v207, v2
	v_dot4c_i32_i8_e32 v222, v188, v3
	v_mul_lo_u32 v10, v10, v206
	v_mad_u64_u32 v[12:13], s[18:19], v11, v206, v[12:13]
                                        ; kill: def $vgpr11 killed $sgpr0 killed $exec
	v_dot4c_i32_i8_e32 v221, v207, v3
	v_mad_u64_u32 v[10:11], s[18:19], v222, v205, v[10:11]
	v_cvt_f32_i32_e32 v11, v10
	v_cvt_f32_i32_e32 v10, v12
	;; [unrolled: 1-line block ×4, first 2 shown]
	v_mov_b32_e32 v14, 0
	v_dot4c_i32_i8_e32 v14, v213, v4
	v_dot4c_i32_i8_e32 v14, v213, v5
	v_pk_mul_f32 v[12:13], v[146:147], v[12:13] op_sel_hi:[0,1]
	v_pk_fma_f32 v[10:11], v[144:145], v[10:11], v[12:13] op_sel_hi:[0,1,1] neg_lo:[0,0,1] neg_hi:[0,0,1]
	v_pk_fma_f32 v[30:31], v[8:9], v[10:11], v[30:31]
	v_mov_b32_e32 v10, 0
	v_dot4c_i32_i8_e32 v10, v195, v4
	v_dot4c_i32_i8_e32 v14, v213, v6
	v_mov_b32_e32 v11, 0
	v_dot4c_i32_i8_e32 v10, v189, v5
	v_dot4c_i32_i8_e32 v14, v213, v7
	;; [unrolled: 1-line block ×11, first 2 shown]
	v_mul_lo_u32 v10, v10, v211
	v_mul_lo_u32 v12, v155, v210
                                        ; kill: def $vgpr13 killed $sgpr0 killed $exec
	v_dot4c_i32_i8_e32 v14, v212, v3
	v_mad_u64_u32 v[12:13], s[18:19], v15, v211, v[12:13]
	v_mad_u64_u32 v[10:11], s[18:19], v11, v210, v[10:11]
	v_cvt_f32_i32_e32 v11, v10
	v_cvt_f32_i32_e32 v10, v12
	;; [unrolled: 1-line block ×4, first 2 shown]
	v_mov_b32_e32 v14, 0
	v_dot4c_i32_i8_e32 v14, v214, v4
	v_dot4c_i32_i8_e32 v14, v214, v5
	v_pk_mul_f32 v[12:13], v[150:151], v[12:13] op_sel_hi:[0,1]
	v_pk_fma_f32 v[10:11], v[148:149], v[10:11], v[12:13] op_sel_hi:[0,1,1] neg_lo:[0,0,1] neg_hi:[0,0,1]
	v_pk_fma_f32 v[28:29], v[8:9], v[10:11], v[28:29]
	v_mov_b32_e32 v10, 0
	v_dot4c_i32_i8_e32 v10, v200, v4
	v_dot4c_i32_i8_e32 v14, v214, v6
	v_mov_b32_e32 v11, 0
	v_dot4c_i32_i8_e32 v10, v197, v5
	v_dot4c_i32_i8_e32 v14, v214, v7
	;; [unrolled: 1-line block ×11, first 2 shown]
	v_mul_lo_u32 v10, v10, v203
	v_mul_lo_u32 v12, v217, v202
                                        ; kill: def $vgpr13 killed $sgpr0 killed $exec
	v_dot4c_i32_i8_e32 v14, v204, v3
	v_mad_u64_u32 v[12:13], s[18:19], v215, v203, v[12:13]
	v_mad_u64_u32 v[10:11], s[18:19], v11, v202, v[10:11]
	v_cvt_f32_i32_e32 v11, v10
	v_cvt_f32_i32_e32 v10, v12
	;; [unrolled: 1-line block ×4, first 2 shown]
	v_mov_b32_e32 v215, 0
	v_mov_b32_e32 v217, 0
	;; [unrolled: 1-line block ×3, first 2 shown]
	v_pk_mul_f32 v[12:13], v[142:143], v[12:13] op_sel_hi:[0,1]
	v_pk_fma_f32 v[10:11], v[140:141], v[10:11], v[12:13] op_sel_hi:[0,1,1] neg_lo:[0,0,1] neg_hi:[0,0,1]
	v_pk_fma_f32 v[26:27], v[8:9], v[10:11], v[26:27]
	v_mov_b32_e32 v11, 0
	v_dot4c_i32_i8_e32 v11, v209, v4
	v_mov_b32_e32 v10, 0
	v_dot4c_i32_i8_e32 v11, v209, v5
	v_dot4c_i32_i8_e32 v10, v180, v4
	;; [unrolled: 1-line block ×3, first 2 shown]
	v_mov_b32_e32 v4, 0
	v_dot4c_i32_i8_e32 v10, v177, v5
	v_dot4c_i32_i8_e32 v11, v209, v7
	;; [unrolled: 1-line block ×11, first 2 shown]
	v_mul_lo_u32 v0, v10, v153
	v_mul_lo_u32 v2, v220, v152
                                        ; kill: def $vgpr1 killed $sgpr0 killed $exec
	v_dot4c_i32_i8_e32 v11, v201, v3
	v_mad_u64_u32 v[2:3], s[18:19], v218, v153, v[2:3]
	v_mad_u64_u32 v[0:1], s[18:19], v4, v152, v[0:1]
	v_cvt_f32_i32_e32 v1, v0
	v_cvt_f32_i32_e32 v0, v2
	;; [unrolled: 1-line block ×4, first 2 shown]
	v_mov_b32_e32 v13, 0
	v_mov_b32_e32 v10, 0
	;; [unrolled: 1-line block ×3, first 2 shown]
	v_pk_mul_f32 v[2:3], v[138:139], v[2:3] op_sel_hi:[0,1]
	v_pk_fma_f32 v[0:1], v[136:137], v[0:1], v[2:3] op_sel_hi:[0,1,1] neg_lo:[0,0,1] neg_hi:[0,0,1]
	v_pk_fma_f32 v[24:25], v[8:9], v[0:1], v[24:25]
	ds_read2_b32 v[8:9], v147 offset0:192 offset1:224
	ds_read_b128 v[0:3], v145 offset:6144
	ds_read_b128 v[4:7], v145 offset:6160
	v_mov_b32_e32 v216, 0
	v_mov_b32_e32 v218, 0
	;; [unrolled: 1-line block ×3, first 2 shown]
	s_waitcnt lgkmcnt(1)
	v_dot4c_i32_i8_e32 v215, v208, v0
	v_dot4c_i32_i8_e32 v217, v213, v0
	;; [unrolled: 1-line block ×15, first 2 shown]
	v_mov_b32_e32 v219, 0
	v_mov_b32_e32 v11, 0
	v_dot4c_i32_i8_e32 v10, v209, v3
	v_mov_b32_e32 v12, 0
	v_dot4c_i32_i8_e32 v15, v196, v0
	s_waitcnt lgkmcnt(0)
	v_dot4c_i32_i8_e32 v155, v183, v4
	v_dot4c_i32_i8_e32 v215, v207, v4
	;; [unrolled: 1-line block ×47, first 2 shown]
	ds_read_b128 v[4:7], v145 offset:7168
	ds_read_b128 v[0:3], v145 offset:7184
	v_mov_b32_e32 v154, 0
	s_waitcnt lgkmcnt(1)
	v_dot4c_i32_i8_e32 v154, v196, v4
	v_mov_b32_e32 v196, 0
	v_dot4c_i32_i8_e32 v196, v208, v4
	v_dot4c_i32_i8_e32 v196, v208, v5
	;; [unrolled: 1-line block ×5, first 2 shown]
	v_mov_b32_e32 v190, 0
	s_waitcnt lgkmcnt(0)
	v_dot4c_i32_i8_e32 v190, v183, v0
	v_dot4c_i32_i8_e32 v196, v207, v0
	;; [unrolled: 1-line block ×8, first 2 shown]
	v_mul_lo_u32 v184, v155, v205
	v_dot4c_i32_i8_e32 v190, v188, v3
	v_dot4c_i32_i8_e32 v196, v207, v3
	v_mul_lo_u32 v154, v154, v206
                                        ; kill: def $vgpr155 killed $sgpr0 killed $exec
	v_mad_u64_u32 v[206:207], s[18:19], v15, v206, v[184:185]
	v_mov_b32_e32 v184, 0
	v_mad_u64_u32 v[154:155], s[18:19], v190, v205, v[154:155]
	v_dot4c_i32_i8_e32 v184, v213, v4
	v_cvt_f32_i32_e32 v155, v154
	v_cvt_f32_i32_e32 v154, v206
	;; [unrolled: 1-line block ×4, first 2 shown]
	v_mov_b32_e32 v15, 0
	v_dot4c_i32_i8_e32 v184, v213, v5
	v_dot4c_i32_i8_e32 v15, v195, v4
	;; [unrolled: 1-line block ×3, first 2 shown]
	v_mov_b32_e32 v183, 0
	v_dot4c_i32_i8_e32 v15, v189, v5
	v_dot4c_i32_i8_e32 v184, v213, v7
	;; [unrolled: 1-line block ×6, first 2 shown]
	v_pk_mul_f32 v[206:207], v[146:147], v[206:207] op_sel_hi:[0,1]
	v_dot4c_i32_i8_e32 v15, v192, v7
	v_dot4c_i32_i8_e32 v184, v212, v1
	;; [unrolled: 1-line block ×3, first 2 shown]
	v_pk_fma_f32 v[154:155], v[144:145], v[154:155], v[206:207] op_sel_hi:[0,1,1] neg_lo:[0,0,1] neg_hi:[0,0,1]
	v_dot4c_i32_i8_e32 v184, v212, v2
	v_dot4c_i32_i8_e32 v183, v186, v3
	v_mul_lo_u32 v144, v15, v211
	v_mul_lo_u32 v146, v218, v210
	v_pk_fma_f32 v[22:23], v[8:9], v[154:155], v[22:23]
	v_dot4c_i32_i8_e32 v184, v212, v3
	v_mad_u64_u32 v[154:155], s[18:19], v216, v211, v[146:147]
	v_mad_u64_u32 v[182:183], s[18:19], v183, v210, v[144:145]
	v_cvt_f32_i32_e32 v155, v182
	v_cvt_f32_i32_e32 v183, v184
	;; [unrolled: 1-line block ×4, first 2 shown]
	v_mov_b32_e32 v15, 0
	v_dot4c_i32_i8_e32 v15, v200, v4
	v_pk_mul_f32 v[182:183], v[150:151], v[182:183] op_sel_hi:[0,1]
	v_pk_fma_f32 v[154:155], v[148:149], v[154:155], v[182:183] op_sel_hi:[0,1,1] neg_lo:[0,0,1] neg_hi:[0,0,1]
	v_mov_b32_e32 v148, 0
	v_dot4c_i32_i8_e32 v148, v214, v4
	v_dot4c_i32_i8_e32 v148, v214, v5
	;; [unrolled: 1-line block ×3, first 2 shown]
	v_mov_b32_e32 v150, 0
	v_dot4c_i32_i8_e32 v15, v197, v5
	v_dot4c_i32_i8_e32 v148, v214, v7
	;; [unrolled: 1-line block ×11, first 2 shown]
	v_mul_lo_u32 v144, v15, v203
	v_mul_lo_u32 v146, v219, v202
	v_pk_fma_f32 v[20:21], v[8:9], v[154:155], v[20:21]
	v_dot4c_i32_i8_e32 v148, v204, v3
	v_mad_u64_u32 v[14:15], s[18:19], v14, v203, v[146:147]
	v_mad_u64_u32 v[154:155], s[18:19], v150, v202, v[144:145]
	v_cvt_f32_i32_e32 v15, v154
	v_cvt_f32_i32_e32 v155, v148
	;; [unrolled: 1-line block ×4, first 2 shown]
	v_mov_b32_e32 v13, 0
	v_dot4c_i32_i8_e32 v13, v180, v4
	v_pk_mul_f32 v[154:155], v[142:143], v[154:155] op_sel_hi:[0,1]
	v_pk_fma_f32 v[14:15], v[140:141], v[14:15], v[154:155] op_sel_hi:[0,1,1] neg_lo:[0,0,1] neg_hi:[0,0,1]
	v_pk_fma_f32 v[18:19], v[8:9], v[14:15], v[18:19]
	v_mov_b32_e32 v14, 0
	v_dot4c_i32_i8_e32 v14, v209, v4
	v_dot4c_i32_i8_e32 v14, v209, v5
	;; [unrolled: 1-line block ×3, first 2 shown]
	v_mov_b32_e32 v4, 0
	v_dot4c_i32_i8_e32 v13, v177, v5
	v_dot4c_i32_i8_e32 v14, v209, v7
	;; [unrolled: 1-line block ×11, first 2 shown]
	v_mul_lo_u32 v0, v13, v153
	v_mul_lo_u32 v2, v12, v152
                                        ; kill: def $vgpr1 killed $sgpr0 killed $exec
	v_dot4c_i32_i8_e32 v14, v201, v3
	v_mad_u64_u32 v[2:3], s[18:19], v11, v153, v[2:3]
	v_mad_u64_u32 v[0:1], s[18:19], v4, v152, v[0:1]
	v_cvt_f32_i32_e32 v1, v0
	v_cvt_f32_i32_e32 v0, v2
	;; [unrolled: 1-line block ×4, first 2 shown]
	v_add_u32_e32 v147, 4, v147
	v_add_u32_e32 v145, 32, v145
	v_pk_mul_f32 v[2:3], v[138:139], v[2:3] op_sel_hi:[0,1]
	v_pk_fma_f32 v[0:1], v[136:137], v[0:1], v[2:3] op_sel_hi:[0,1,1] neg_lo:[0,0,1] neg_hi:[0,0,1]
	v_pk_fma_f32 v[16:17], v[8:9], v[0:1], v[16:17]
	s_cbranch_scc1 .LBB128_14
; %bb.15:                               ;   in Loop: Header=BB128_6 Depth=1
	s_barrier
	s_branch .LBB128_5
.LBB128_16:
	v_mov_b32_e32 v1, v41
.LBB128_17:
	v_cmp_gt_u32_e32 vcc, s10, v43
	s_and_saveexec_b64 s[0:1], vcc
	s_cbranch_execz .LBB128_68
; %bb.18:
	v_add_u32_e32 v0, s16, v35
	v_mul_lo_u32 v5, v43, s14
	v_cmp_gt_u32_e32 vcc, s14, v0
	s_and_saveexec_b64 s[0:1], vcc
	s_cbranch_execz .LBB128_20
; %bb.19:
	v_add_u32_e32 v2, v0, v5
	v_mov_b32_e32 v3, 0
	s_waitcnt lgkmcnt(0)
	v_lshl_add_u64 v[2:3], v[2:3], 2, s[12:13]
	global_store_dword v[2:3], v127, off
.LBB128_20:
	s_or_b64 exec, exec, s[0:1]
	v_add_u32_e32 v2, 32, v0
	v_cmp_gt_u32_e64 s[0:1], s14, v2
	s_and_saveexec_b64 s[2:3], s[0:1]
	s_cbranch_execz .LBB128_22
; %bb.21:
	v_add_u32_e32 v6, v2, v5
	v_mov_b32_e32 v7, 0
	s_waitcnt lgkmcnt(0)
	v_lshl_add_u64 v[6:7], v[6:7], 2, s[12:13]
	global_store_dword v[6:7], v129, off
.LBB128_22:
	s_or_b64 exec, exec, s[2:3]
	v_add_u32_e32 v3, 64, v0
	v_cmp_gt_u32_e64 s[2:3], s14, v3
	s_and_saveexec_b64 s[4:5], s[2:3]
	;; [unrolled: 12-line block ×3, first 2 shown]
	s_cbranch_execz .LBB128_26
; %bb.25:
	v_add_u32_e32 v6, v4, v5
	v_mov_b32_e32 v7, 0
	s_waitcnt lgkmcnt(0)
	v_lshl_add_u64 v[6:7], v[6:7], 2, s[12:13]
	global_store_dword v[6:7], v119, off
.LBB128_26:
	s_or_b64 exec, exec, s[6:7]
	v_add3_u32 v5, v1, s15, 8
	v_cmp_gt_u32_e64 s[6:7], s10, v5
	s_and_b64 exec, exec, s[6:7]
	s_cbranch_execz .LBB128_68
; %bb.27:
	v_mul_lo_u32 v5, v5, s14
	s_and_saveexec_b64 s[6:7], vcc
	s_cbranch_execnz .LBB128_69
; %bb.28:
	s_or_b64 exec, exec, s[6:7]
	s_and_saveexec_b64 s[6:7], s[0:1]
	s_cbranch_execnz .LBB128_70
.LBB128_29:
	s_or_b64 exec, exec, s[6:7]
	s_and_saveexec_b64 s[6:7], s[2:3]
	s_cbranch_execnz .LBB128_71
.LBB128_30:
	s_or_b64 exec, exec, s[6:7]
	s_and_saveexec_b64 s[6:7], s[4:5]
	s_cbranch_execz .LBB128_32
.LBB128_31:
	v_add_u32_e32 v6, v5, v4
	v_mov_b32_e32 v7, 0
	s_waitcnt lgkmcnt(0)
	v_lshl_add_u64 v[6:7], v[6:7], 2, s[12:13]
	global_store_dword v[6:7], v118, off
.LBB128_32:
	s_or_b64 exec, exec, s[6:7]
	v_add3_u32 v5, v1, s15, 16
	v_cmp_gt_u32_e64 s[6:7], s10, v5
	s_and_b64 exec, exec, s[6:7]
	s_cbranch_execz .LBB128_68
; %bb.33:
	v_mul_lo_u32 v5, v5, s14
	s_and_saveexec_b64 s[6:7], vcc
	s_cbranch_execnz .LBB128_72
; %bb.34:
	s_or_b64 exec, exec, s[6:7]
	s_and_saveexec_b64 s[6:7], s[0:1]
	s_cbranch_execnz .LBB128_73
.LBB128_35:
	s_or_b64 exec, exec, s[6:7]
	s_and_saveexec_b64 s[6:7], s[2:3]
	s_cbranch_execnz .LBB128_74
.LBB128_36:
	s_or_b64 exec, exec, s[6:7]
	s_and_saveexec_b64 s[6:7], s[4:5]
	s_cbranch_execz .LBB128_38
.LBB128_37:
	v_add_u32_e32 v6, v5, v4
	v_mov_b32_e32 v7, 0
	s_waitcnt lgkmcnt(0)
	v_lshl_add_u64 v[6:7], v[6:7], 2, s[12:13]
	global_store_dword v[6:7], v32, off
.LBB128_38:
	s_or_b64 exec, exec, s[6:7]
	v_add3_u32 v5, v1, s15, 24
	v_cmp_gt_u32_e64 s[6:7], s10, v5
	s_and_b64 exec, exec, s[6:7]
	s_cbranch_execz .LBB128_68
; %bb.39:
	v_mul_lo_u32 v5, v5, s14
	s_and_saveexec_b64 s[6:7], vcc
	s_cbranch_execnz .LBB128_75
; %bb.40:
	s_or_b64 exec, exec, s[6:7]
	s_and_saveexec_b64 s[6:7], s[0:1]
	s_cbranch_execnz .LBB128_76
.LBB128_41:
	s_or_b64 exec, exec, s[6:7]
	s_and_saveexec_b64 s[6:7], s[2:3]
	s_cbranch_execnz .LBB128_77
.LBB128_42:
	s_or_b64 exec, exec, s[6:7]
	s_and_saveexec_b64 s[6:7], s[4:5]
	s_cbranch_execz .LBB128_44
.LBB128_43:
	v_add_u32_e32 v6, v5, v4
	v_mov_b32_e32 v7, 0
	s_waitcnt lgkmcnt(0)
	v_lshl_add_u64 v[6:7], v[6:7], 2, s[12:13]
	global_store_dword v[6:7], v33, off
.LBB128_44:
	s_or_b64 exec, exec, s[6:7]
	v_add3_u32 v5, v1, s15, 32
	v_cmp_gt_u32_e64 s[6:7], s10, v5
	s_and_b64 exec, exec, s[6:7]
	s_cbranch_execz .LBB128_68
; %bb.45:
	v_mul_lo_u32 v5, v5, s14
	s_and_saveexec_b64 s[6:7], vcc
	s_cbranch_execnz .LBB128_78
; %bb.46:
	s_or_b64 exec, exec, s[6:7]
	s_and_saveexec_b64 s[6:7], s[0:1]
	s_cbranch_execnz .LBB128_79
.LBB128_47:
	s_or_b64 exec, exec, s[6:7]
	s_and_saveexec_b64 s[6:7], s[2:3]
	s_cbranch_execnz .LBB128_80
.LBB128_48:
	s_or_b64 exec, exec, s[6:7]
	s_and_saveexec_b64 s[6:7], s[4:5]
	s_cbranch_execz .LBB128_50
.LBB128_49:
	v_add_u32_e32 v6, v5, v4
	v_mov_b32_e32 v7, 0
	s_waitcnt lgkmcnt(0)
	v_lshl_add_u64 v[6:7], v[6:7], 2, s[12:13]
	global_store_dword v[6:7], v24, off
.LBB128_50:
	s_or_b64 exec, exec, s[6:7]
	v_add3_u32 v5, v1, s15, 40
	v_cmp_gt_u32_e64 s[6:7], s10, v5
	s_and_b64 exec, exec, s[6:7]
	s_cbranch_execz .LBB128_68
; %bb.51:
	v_mul_lo_u32 v5, v5, s14
	s_and_saveexec_b64 s[6:7], vcc
	s_cbranch_execnz .LBB128_81
; %bb.52:
	s_or_b64 exec, exec, s[6:7]
	s_and_saveexec_b64 s[6:7], s[0:1]
	s_cbranch_execnz .LBB128_82
.LBB128_53:
	s_or_b64 exec, exec, s[6:7]
	s_and_saveexec_b64 s[6:7], s[2:3]
	s_cbranch_execnz .LBB128_83
.LBB128_54:
	s_or_b64 exec, exec, s[6:7]
	s_and_saveexec_b64 s[6:7], s[4:5]
	s_cbranch_execz .LBB128_56
.LBB128_55:
	v_add_u32_e32 v6, v5, v4
	v_mov_b32_e32 v7, 0
	s_waitcnt lgkmcnt(0)
	v_lshl_add_u64 v[6:7], v[6:7], 2, s[12:13]
	global_store_dword v[6:7], v25, off
.LBB128_56:
	s_or_b64 exec, exec, s[6:7]
	v_add3_u32 v5, v1, s15, 48
	v_cmp_gt_u32_e64 s[6:7], s10, v5
	s_and_b64 exec, exec, s[6:7]
	s_cbranch_execz .LBB128_68
; %bb.57:
	v_mul_lo_u32 v5, v5, s14
	s_and_saveexec_b64 s[6:7], vcc
	s_cbranch_execnz .LBB128_84
; %bb.58:
	s_or_b64 exec, exec, s[6:7]
	s_and_saveexec_b64 s[6:7], s[0:1]
	s_cbranch_execnz .LBB128_85
.LBB128_59:
	s_or_b64 exec, exec, s[6:7]
	s_and_saveexec_b64 s[6:7], s[2:3]
	s_cbranch_execnz .LBB128_86
.LBB128_60:
	s_or_b64 exec, exec, s[6:7]
	s_and_saveexec_b64 s[6:7], s[4:5]
	s_cbranch_execz .LBB128_62
.LBB128_61:
	v_add_u32_e32 v6, v5, v4
	v_mov_b32_e32 v7, 0
	s_waitcnt lgkmcnt(0)
	v_lshl_add_u64 v[6:7], v[6:7], 2, s[12:13]
	global_store_dword v[6:7], v16, off
.LBB128_62:
	s_or_b64 exec, exec, s[6:7]
	v_add3_u32 v1, v1, s15, 56
	v_cmp_gt_u32_e64 s[6:7], s10, v1
	s_and_b64 exec, exec, s[6:7]
	s_cbranch_execz .LBB128_68
; %bb.63:
	v_mul_lo_u32 v1, v1, s14
	s_and_saveexec_b64 s[6:7], vcc
	s_cbranch_execnz .LBB128_87
; %bb.64:
	s_or_b64 exec, exec, s[6:7]
	s_and_saveexec_b64 s[6:7], s[0:1]
	s_cbranch_execnz .LBB128_88
.LBB128_65:
	s_or_b64 exec, exec, s[6:7]
	s_and_saveexec_b64 s[0:1], s[2:3]
	s_cbranch_execnz .LBB128_89
.LBB128_66:
	s_or_b64 exec, exec, s[0:1]
	s_and_b64 exec, exec, s[4:5]
	s_cbranch_execz .LBB128_68
.LBB128_67:
	v_add_u32_e32 v0, v1, v4
	v_mov_b32_e32 v1, 0
	s_waitcnt lgkmcnt(0)
	v_lshl_add_u64 v[0:1], v[0:1], 2, s[12:13]
	global_store_dword v[0:1], v17, off
.LBB128_68:
	s_endpgm
.LBB128_69:
	v_add_u32_e32 v6, v5, v0
	v_mov_b32_e32 v7, 0
	s_waitcnt lgkmcnt(0)
	v_lshl_add_u64 v[6:7], v[6:7], 2, s[12:13]
	global_store_dword v[6:7], v126, off
	s_or_b64 exec, exec, s[6:7]
	s_and_saveexec_b64 s[6:7], s[0:1]
	s_cbranch_execz .LBB128_29
.LBB128_70:
	v_add_u32_e32 v6, v5, v2
	v_mov_b32_e32 v7, 0
	s_waitcnt lgkmcnt(0)
	v_lshl_add_u64 v[6:7], v[6:7], 2, s[12:13]
	global_store_dword v[6:7], v128, off
	s_or_b64 exec, exec, s[6:7]
	s_and_saveexec_b64 s[6:7], s[2:3]
	s_cbranch_execz .LBB128_30
.LBB128_71:
	v_add_u32_e32 v6, v5, v3
	v_mov_b32_e32 v7, 0
	s_waitcnt lgkmcnt(0)
	v_lshl_add_u64 v[6:7], v[6:7], 2, s[12:13]
	global_store_dword v[6:7], v122, off
	s_or_b64 exec, exec, s[6:7]
	s_and_saveexec_b64 s[6:7], s[4:5]
	s_cbranch_execnz .LBB128_31
	s_branch .LBB128_32
.LBB128_72:
	v_add_u32_e32 v6, v5, v0
	v_mov_b32_e32 v7, 0
	s_waitcnt lgkmcnt(0)
	v_lshl_add_u64 v[6:7], v[6:7], 2, s[12:13]
	global_store_dword v[6:7], v58, off
	s_or_b64 exec, exec, s[6:7]
	s_and_saveexec_b64 s[6:7], s[0:1]
	s_cbranch_execz .LBB128_35
.LBB128_73:
	v_add_u32_e32 v6, v5, v2
	v_mov_b32_e32 v7, 0
	s_waitcnt lgkmcnt(0)
	v_lshl_add_u64 v[6:7], v[6:7], 2, s[12:13]
	global_store_dword v[6:7], v44, off
	s_or_b64 exec, exec, s[6:7]
	s_and_saveexec_b64 s[6:7], s[2:3]
	s_cbranch_execz .LBB128_36
.LBB128_74:
	v_add_u32_e32 v6, v5, v3
	v_mov_b32_e32 v7, 0
	s_waitcnt lgkmcnt(0)
	v_lshl_add_u64 v[6:7], v[6:7], 2, s[12:13]
	global_store_dword v[6:7], v36, off
	s_or_b64 exec, exec, s[6:7]
	s_and_saveexec_b64 s[6:7], s[4:5]
	s_cbranch_execnz .LBB128_37
	s_branch .LBB128_38
.LBB128_75:
	v_add_u32_e32 v6, v5, v0
	v_mov_b32_e32 v7, 0
	s_waitcnt lgkmcnt(0)
	v_lshl_add_u64 v[6:7], v[6:7], 2, s[12:13]
	global_store_dword v[6:7], v59, off
	s_or_b64 exec, exec, s[6:7]
	s_and_saveexec_b64 s[6:7], s[0:1]
	s_cbranch_execz .LBB128_41
.LBB128_76:
	v_add_u32_e32 v6, v5, v2
	v_mov_b32_e32 v7, 0
	s_waitcnt lgkmcnt(0)
	v_lshl_add_u64 v[6:7], v[6:7], 2, s[12:13]
	global_store_dword v[6:7], v45, off
	s_or_b64 exec, exec, s[6:7]
	s_and_saveexec_b64 s[6:7], s[2:3]
	s_cbranch_execz .LBB128_42
.LBB128_77:
	v_add_u32_e32 v6, v5, v3
	v_mov_b32_e32 v7, 0
	s_waitcnt lgkmcnt(0)
	v_lshl_add_u64 v[6:7], v[6:7], 2, s[12:13]
	global_store_dword v[6:7], v37, off
	s_or_b64 exec, exec, s[6:7]
	s_and_saveexec_b64 s[6:7], s[4:5]
	s_cbranch_execnz .LBB128_43
	s_branch .LBB128_44
.LBB128_78:
	v_add_u32_e32 v6, v5, v0
	v_mov_b32_e32 v7, 0
	s_waitcnt lgkmcnt(0)
	v_lshl_add_u64 v[6:7], v[6:7], 2, s[12:13]
	global_store_dword v[6:7], v30, off
	s_or_b64 exec, exec, s[6:7]
	s_and_saveexec_b64 s[6:7], s[0:1]
	s_cbranch_execz .LBB128_47
.LBB128_79:
	v_add_u32_e32 v6, v5, v2
	v_mov_b32_e32 v7, 0
	s_waitcnt lgkmcnt(0)
	v_lshl_add_u64 v[6:7], v[6:7], 2, s[12:13]
	global_store_dword v[6:7], v28, off
	s_or_b64 exec, exec, s[6:7]
	s_and_saveexec_b64 s[6:7], s[2:3]
	s_cbranch_execz .LBB128_48
.LBB128_80:
	v_add_u32_e32 v6, v5, v3
	v_mov_b32_e32 v7, 0
	s_waitcnt lgkmcnt(0)
	v_lshl_add_u64 v[6:7], v[6:7], 2, s[12:13]
	global_store_dword v[6:7], v26, off
	s_or_b64 exec, exec, s[6:7]
	s_and_saveexec_b64 s[6:7], s[4:5]
	s_cbranch_execnz .LBB128_49
	s_branch .LBB128_50
.LBB128_81:
	v_add_u32_e32 v6, v5, v0
	v_mov_b32_e32 v7, 0
	s_waitcnt lgkmcnt(0)
	v_lshl_add_u64 v[6:7], v[6:7], 2, s[12:13]
	global_store_dword v[6:7], v31, off
	s_or_b64 exec, exec, s[6:7]
	s_and_saveexec_b64 s[6:7], s[0:1]
	s_cbranch_execz .LBB128_53
.LBB128_82:
	v_add_u32_e32 v6, v5, v2
	v_mov_b32_e32 v7, 0
	s_waitcnt lgkmcnt(0)
	v_lshl_add_u64 v[6:7], v[6:7], 2, s[12:13]
	global_store_dword v[6:7], v29, off
	s_or_b64 exec, exec, s[6:7]
	s_and_saveexec_b64 s[6:7], s[2:3]
	s_cbranch_execz .LBB128_54
.LBB128_83:
	v_add_u32_e32 v6, v5, v3
	v_mov_b32_e32 v7, 0
	s_waitcnt lgkmcnt(0)
	v_lshl_add_u64 v[6:7], v[6:7], 2, s[12:13]
	global_store_dword v[6:7], v27, off
	s_or_b64 exec, exec, s[6:7]
	s_and_saveexec_b64 s[6:7], s[4:5]
	s_cbranch_execnz .LBB128_55
	s_branch .LBB128_56
.LBB128_84:
	v_add_u32_e32 v6, v5, v0
	v_mov_b32_e32 v7, 0
	s_waitcnt lgkmcnt(0)
	v_lshl_add_u64 v[6:7], v[6:7], 2, s[12:13]
	global_store_dword v[6:7], v22, off
	s_or_b64 exec, exec, s[6:7]
	s_and_saveexec_b64 s[6:7], s[0:1]
	s_cbranch_execz .LBB128_59
.LBB128_85:
	v_add_u32_e32 v6, v5, v2
	v_mov_b32_e32 v7, 0
	s_waitcnt lgkmcnt(0)
	v_lshl_add_u64 v[6:7], v[6:7], 2, s[12:13]
	global_store_dword v[6:7], v20, off
	s_or_b64 exec, exec, s[6:7]
	s_and_saveexec_b64 s[6:7], s[2:3]
	s_cbranch_execz .LBB128_60
.LBB128_86:
	v_add_u32_e32 v6, v5, v3
	v_mov_b32_e32 v7, 0
	s_waitcnt lgkmcnt(0)
	v_lshl_add_u64 v[6:7], v[6:7], 2, s[12:13]
	global_store_dword v[6:7], v18, off
	s_or_b64 exec, exec, s[6:7]
	s_and_saveexec_b64 s[6:7], s[4:5]
	s_cbranch_execnz .LBB128_61
	s_branch .LBB128_62
.LBB128_87:
	v_add_u32_e32 v6, v1, v0
	v_mov_b32_e32 v7, 0
	s_waitcnt lgkmcnt(0)
	v_lshl_add_u64 v[6:7], v[6:7], 2, s[12:13]
	global_store_dword v[6:7], v23, off
	s_or_b64 exec, exec, s[6:7]
	s_and_saveexec_b64 s[6:7], s[0:1]
	s_cbranch_execz .LBB128_65
.LBB128_88:
	v_add_u32_e32 v6, v1, v2
	v_mov_b32_e32 v7, 0
	s_waitcnt lgkmcnt(0)
	v_lshl_add_u64 v[6:7], v[6:7], 2, s[12:13]
	global_store_dword v[6:7], v21, off
	s_or_b64 exec, exec, s[6:7]
	s_and_saveexec_b64 s[0:1], s[2:3]
	s_cbranch_execz .LBB128_66
.LBB128_89:
	v_add_u32_e32 v2, v1, v3
	v_mov_b32_e32 v3, 0
	s_waitcnt lgkmcnt(0)
	v_lshl_add_u64 v[2:3], v[2:3], 2, s[12:13]
	global_store_dword v[2:3], v19, off
	s_or_b64 exec, exec, s[0:1]
	s_and_b64 exec, exec, s[4:5]
	s_cbranch_execnz .LBB128_67
	s_branch .LBB128_68
	.section	.rodata,"a",@progbits
	.p2align	6, 0x0
	.amdhsa_kernel _ZL12mul_mat_q2_KIfLb1EEvPKvS1_PT_iiiii
		.amdhsa_group_segment_fixed_size 31392
		.amdhsa_private_segment_fixed_size 0
		.amdhsa_kernarg_size 44
		.amdhsa_user_sgpr_count 2
		.amdhsa_user_sgpr_dispatch_ptr 0
		.amdhsa_user_sgpr_queue_ptr 0
		.amdhsa_user_sgpr_kernarg_segment_ptr 1
		.amdhsa_user_sgpr_dispatch_id 0
		.amdhsa_user_sgpr_kernarg_preload_length 0
		.amdhsa_user_sgpr_kernarg_preload_offset 0
		.amdhsa_user_sgpr_private_segment_size 0
		.amdhsa_uses_dynamic_stack 0
		.amdhsa_enable_private_segment 0
		.amdhsa_system_sgpr_workgroup_id_x 1
		.amdhsa_system_sgpr_workgroup_id_y 1
		.amdhsa_system_sgpr_workgroup_id_z 0
		.amdhsa_system_sgpr_workgroup_info 0
		.amdhsa_system_vgpr_workitem_id 1
		.amdhsa_next_free_vgpr 225
		.amdhsa_next_free_sgpr 22
		.amdhsa_accum_offset 228
		.amdhsa_reserve_vcc 1
		.amdhsa_float_round_mode_32 0
		.amdhsa_float_round_mode_16_64 0
		.amdhsa_float_denorm_mode_32 3
		.amdhsa_float_denorm_mode_16_64 3
		.amdhsa_dx10_clamp 1
		.amdhsa_ieee_mode 1
		.amdhsa_fp16_overflow 0
		.amdhsa_tg_split 0
		.amdhsa_exception_fp_ieee_invalid_op 0
		.amdhsa_exception_fp_denorm_src 0
		.amdhsa_exception_fp_ieee_div_zero 0
		.amdhsa_exception_fp_ieee_overflow 0
		.amdhsa_exception_fp_ieee_underflow 0
		.amdhsa_exception_fp_ieee_inexact 0
		.amdhsa_exception_int_div_zero 0
	.end_amdhsa_kernel
	.section	.text._ZL12mul_mat_q2_KIfLb1EEvPKvS1_PT_iiiii,"axG",@progbits,_ZL12mul_mat_q2_KIfLb1EEvPKvS1_PT_iiiii,comdat
.Lfunc_end128:
	.size	_ZL12mul_mat_q2_KIfLb1EEvPKvS1_PT_iiiii, .Lfunc_end128-_ZL12mul_mat_q2_KIfLb1EEvPKvS1_PT_iiiii
                                        ; -- End function
	.section	.AMDGPU.csdata,"",@progbits
; Kernel info:
; codeLenInByte = 25084
; NumSgprs: 28
; NumVgprs: 225
; NumAgprs: 0
; TotalNumVgprs: 225
; ScratchSize: 0
; MemoryBound: 0
; FloatMode: 240
; IeeeMode: 1
; LDSByteSize: 31392 bytes/workgroup (compile time only)
; SGPRBlocks: 3
; VGPRBlocks: 28
; NumSGPRsForWavesPerEU: 28
; NumVGPRsForWavesPerEU: 225
; AccumOffset: 228
; Occupancy: 2
; WaveLimiterHint : 0
; COMPUTE_PGM_RSRC2:SCRATCH_EN: 0
; COMPUTE_PGM_RSRC2:USER_SGPR: 2
; COMPUTE_PGM_RSRC2:TRAP_HANDLER: 0
; COMPUTE_PGM_RSRC2:TGID_X_EN: 1
; COMPUTE_PGM_RSRC2:TGID_Y_EN: 1
; COMPUTE_PGM_RSRC2:TGID_Z_EN: 0
; COMPUTE_PGM_RSRC2:TIDIG_COMP_CNT: 1
; COMPUTE_PGM_RSRC3_GFX90A:ACCUM_OFFSET: 56
; COMPUTE_PGM_RSRC3_GFX90A:TG_SPLIT: 0
	.section	.text._ZL12mul_mat_q3_KIfLb0EEvPKvS1_PT_iiiii,"axG",@progbits,_ZL12mul_mat_q3_KIfLb0EEvPKvS1_PT_iiiii,comdat
	.globl	_ZL12mul_mat_q3_KIfLb0EEvPKvS1_PT_iiiii ; -- Begin function _ZL12mul_mat_q3_KIfLb0EEvPKvS1_PT_iiiii
	.p2align	8
	.type	_ZL12mul_mat_q3_KIfLb0EEvPKvS1_PT_iiiii,@function
_ZL12mul_mat_q3_KIfLb0EEvPKvS1_PT_iiiii: ; @_ZL12mul_mat_q3_KIfLb0EEvPKvS1_PT_iiiii
; %bb.0:
	s_load_dword s7, s[0:1], 0x18
	s_load_dwordx4 s[8:11], s[0:1], 0x20
	s_waitcnt lgkmcnt(0)
	s_lshl_b32 s11, s3, 6
	v_bfe_u32 v31, v0, 10, 10
	s_cmpk_gt_i32 s7, 0xff
	s_cbranch_scc1 .LBB129_2
; %bb.1:
	v_bfe_u32 v1, v0, 10, 10
	v_and_b32_e32 v27, 0x3ff, v0
	v_add_u32_e32 v79, s11, v1
	s_mov_b64 s[4:5], 0
	s_mov_b32 s3, 0
	s_branch .LBB129_3
.LBB129_2:
	s_mov_b64 s[4:5], -1
                                        ; implicit-def: $sgpr3
                                        ; implicit-def: $vgpr1
                                        ; implicit-def: $vgpr27
                                        ; implicit-def: $vgpr79
.LBB129_3:
	s_load_dwordx2 s[12:13], s[0:1], 0x10
	s_lshl_b32 s6, s2, 7
	s_andn2_b64 vcc, exec, s[4:5]
	v_mov_b32_e32 v9, s3
	v_mov_b32_e32 v19, s3
	;; [unrolled: 1-line block ×32, first 2 shown]
	s_cbranch_vccnz .LBB129_17
; %bb.4:
	s_ashr_i32 s4, s7, 31
	s_load_dwordx4 s[0:3], s[0:1], 0x0
	s_lshr_b32 s4, s4, 24
	s_add_i32 s7, s7, s4
	s_ashr_i32 s5, s9, 31
	s_ashr_i32 s4, s7, 8
	s_lshr_b32 s5, s5, 27
	s_add_i32 s5, s9, s5
	s_mul_i32 s7, s4, s6
	s_ashr_i32 s15, s5, 5
	s_mul_hi_i32 s9, s7, 0x6e
	s_mulk_i32 s7, 0x6e
	s_waitcnt lgkmcnt(0)
	s_add_u32 s7, s0, s7
	s_addc_u32 s9, s1, s9
	s_lshl_b32 s1, s4, 3
	v_mov_b32_e32 v2, s1
	v_mad_i32_i24 v14, s4, v31, v2
	v_add_u32_e32 v16, s1, v14
	v_add_u32_e32 v18, s1, v16
	;; [unrolled: 1-line block ×9, first 2 shown]
	v_and_b32_e32 v27, 0x3ff, v0
	v_add_u32_e32 v34, s1, v32
	v_add_u32_e32 v36, s1, v34
	v_lshlrev_b32_e32 v94, 4, v31
	v_lshrrev_b32_e32 v6, 1, v27
	v_add_u32_e32 v38, s1, v36
	v_and_b32_e32 v44, 1, v27
	v_add_u32_e32 v2, v6, v94
	v_add_u32_e32 v40, s1, v38
	v_and_b32_e32 v3, 0x7f, v2
	v_lshlrev_b32_e32 v4, 2, v44
	v_lshrrev_b32_e32 v2, 2, v2
	v_add_u32_e32 v42, s1, v40
	v_mul_i32_i24_e32 v46, s4, v3
	v_lshl_or_b32 v3, v3, 3, v4
	v_and_b32_e32 v2, 28, v2
	s_mov_b32 s1, 0x9380
	v_lshrrev_b32_e32 v8, 4, v27
	v_add3_u32 v95, v3, v2, s1
	v_lshlrev_b32_e32 v2, 1, v31
	v_add_u32_e32 v3, v8, v2
	v_add_u16_e32 v2, v8, v2
	v_and_b32_e32 v0, 15, v27
	v_lshrrev_b16_e32 v2, 1, v2
	v_lshlrev_b32_e32 v10, 2, v0
	v_lshlrev_b32_e32 v2, 2, v2
	s_movk_i32 s16, 0x4200
	s_lshl_b32 s17, s4, 4
	v_add3_u32 v7, v2, v10, s16
	v_add_u32_e32 v2, 16, v3
	v_mov_b32_e32 v4, s17
	v_mad_i32_i24 v54, s4, v3, v4
	v_lshlrev_b32_e32 v4, 1, v2
	v_and_b32_e32 v4, 0xffc, v4
	v_lshlrev_b32_e32 v15, 6, v2
	v_add_u32_e32 v2, 32, v3
	v_add3_u32 v13, v4, v10, s16
	v_lshlrev_b32_e32 v4, 1, v2
	v_and_b32_e32 v4, 0xffc, v4
	v_lshlrev_b32_e32 v19, 6, v2
	v_add_u32_e32 v2, 48, v3
	v_add3_u32 v17, v4, v10, s16
	;; [unrolled: 5-line block ×5, first 2 shown]
	v_lshlrev_b32_e32 v4, 1, v2
	v_lshlrev_b32_e32 v39, 6, v2
	v_add_u32_e32 v2, 0x70, v3
	v_cmp_lt_u32_e32 vcc, 7, v0
	v_and_b32_e32 v0, 7, v27
	v_mul_i32_i24_e32 v52, s4, v3
	v_lshlrev_b32_e32 v9, 6, v3
	v_lshlrev_b32_e32 v3, 1, v2
	v_cndmask_b32_e64 v48, 0, 1, vcc
	v_lshlrev_b32_e32 v50, 2, v0
	v_add_u32_e32 v56, s17, v54
	v_and_b32_e32 v3, 0xffc, v3
	v_cmp_lt_u32_e32 vcc, 3, v0
	v_and_b32_e32 v0, 3, v27
	v_add_u32_e32 v58, s17, v56
	v_add3_u32 v41, v3, v10, s16
	v_cndmask_b32_e64 v68, 0, 1, vcc
	v_add_u16_e32 v3, -2, v0
	v_cmp_gt_u32_e32 vcc, 2, v0
	v_add_u32_e32 v60, s17, v58
	v_and_b32_e32 v4, 0xffc, v4
	v_cndmask_b32_e32 v3, v3, v0, vcc
	v_cmp_lt_u32_e32 vcc, 1, v0
	v_add_u32_e32 v62, s17, v60
	v_add3_u32 v37, v4, v10, s16
	v_lshrrev_b32_e32 v100, 3, v27
	v_cndmask_b32_e64 v4, 0, 1, vcc
	v_add_u32_e32 v64, s17, v62
	v_lshlrev_b32_e32 v43, 6, v2
	v_lshl_add_u32 v2, v31, 2, v100
	v_lshlrev_b32_e32 v102, 2, v4
	v_mov_b32_e32 v4, 2
	v_add_u32_e32 v66, s17, v64
	v_lshlrev_b32_sdwa v70, v4, v3 dst_sel:DWORD dst_unused:UNUSED_PAD src0_sel:DWORD src1_sel:BYTE_0
	v_and_b32_e32 v3, 0x7fc, v2
	s_mov_b32 s16, 0x8300
	s_lshl_b32 s17, s4, 5
	v_add3_u32 v45, v3, v50, s16
	v_add_u32_e32 v3, 32, v2
	v_mov_b32_e32 v4, s17
	v_mad_i32_i24 v74, s4, v2, v4
	v_and_b32_e32 v4, 0xffc, v3
	v_lshlrev_b32_e32 v63, 5, v3
	v_add_u32_e32 v3, 64, v2
	v_lshlrev_b32_e32 v1, 2, v27
	s_movk_i32 s0, 0x84
	v_add3_u32 v53, v4, v50, s16
	v_and_b32_e32 v4, 0xffc, v3
	v_mad_u32_u24 v49, v31, s0, v1
	v_add3_u32 v77, v4, v50, s16
	v_and_b32_e32 v4, 28, v1
	v_lshrrev_b32_e32 v1, 2, v27
	v_mov_b32_e32 v11, 0
	v_mul_i32_i24_e32 v72, s4, v2
	v_lshlrev_b32_e32 v47, 5, v2
	v_add_u32_e32 v2, 0x60, v2
	v_lshl_add_u32 v1, v31, 3, v1
	v_lshlrev_b32_e32 v84, 5, v3
	v_and_b32_e32 v3, 0xffc, v2
	v_mov_b32_e32 v5, v11
	v_and_b32_e32 v1, 63, v1
	v_add3_u32 v85, v3, v50, s16
	s_add_i32 s16, s8, -1
	v_lshl_add_u64 v[80:81], s[2:3], 0, v[4:5]
	v_or_b32_e32 v4, s11, v1
	v_add_u32_e32 v76, s17, v74
	v_min_i32_e32 v4, s16, v4
	v_lshlrev_b32_e32 v103, 1, v0
	v_add_u32_e32 v78, s17, v76
	v_lshlrev_b32_e32 v86, 5, v2
	v_cvt_f64_i32_e32 v[2:3], s16
	v_mad_u64_u32 v[82:83], s[16:17], v4, s15, v[0:1]
	v_lshlrev_b32_e32 v0, 2, v0
	v_add_u32_e32 v79, s11, v31
	v_lshl_or_b32 v0, v1, 4, v0
	v_add_u32_e32 v107, 0x97a0, v0
	v_cvt_f64_u32_e32 v[0:1], v79
	v_min_f64 v[0:1], v[0:1], v[2:3]
	v_cvt_i32_f64_e32 v0, v[0:1]
	v_mul_lo_u32 v108, s15, v0
	v_add_u32_e32 v0, 8, v79
	v_cvt_f64_u32_e32 v[0:1], v0
	v_min_f64 v[0:1], v[0:1], v[2:3]
	v_cvt_i32_f64_e32 v0, v[0:1]
	v_mul_lo_u32 v112, s15, v0
	;; [unrolled: 5-line block ×8, first 2 shown]
	v_add_u32_e32 v0, 32, v27
	v_lshrrev_b32_e32 v1, 1, v0
	v_lshl_add_u32 v132, v0, 4, v1
	v_mov_b32_e32 v1, 0x1080
	v_lshl_add_u32 v129, v27, 4, v6
	v_lshlrev_b32_e32 v6, 2, v8
	v_lshlrev_b32_e32 v83, 3, v27
	v_mad_u32_u24 v133, v27, s0, v1
	v_lshrrev_b32_e32 v1, 2, v0
	v_add3_u32 v131, v6, v83, s1
	v_and_b32_e32 v1, 0x7c, v1
	v_lshlrev_b32_e32 v6, 3, v0
	v_add_u32_e32 v2, 64, v27
	v_add3_u32 v134, v6, v1, s1
	v_mov_b32_e32 v1, 0x2100
	v_and_b32_e32 v87, 31, v27
	v_lshlrev_b32_e32 v109, 7, v31
	v_lshrrev_b32_e32 v3, 1, v2
	v_mad_u32_u24 v136, v27, s0, v1
	v_lshrrev_b32_e32 v1, 2, v2
	v_lshl_or_b32 v4, v87, 2, v109
	v_lshl_add_u32 v135, v2, 4, v3
	v_and_b32_e32 v1, 0x7c, v1
	v_lshlrev_b32_e32 v3, 3, v2
	v_add_u32_e32 v110, 0x6300, v4
	v_add_u32_e32 v113, 0x6700, v4
	;; [unrolled: 1-line block ×9, first 2 shown]
	v_add3_u32 v137, v3, v1, s1
	v_mov_b32_e32 v1, 0x3180
	v_mad_u32_u24 v139, v27, s0, v1
	v_lshrrev_b32_e32 v1, 2, v4
	v_lshrrev_b32_e32 v5, 1, v4
	v_and_b32_e32 v1, 0x7c, v1
	v_lshlrev_b32_e32 v3, 3, v4
	v_and_b32_e32 v144, 0xfc, v27
	v_and_b32_e32 v146, 0x1fc, v0
	;; [unrolled: 1-line block ×4, first 2 shown]
	s_movk_i32 s5, 0x6e
	s_mov_b32 s14, 0
	v_mul_i32_i24_e32 v12, s4, v31
	v_add_u32_e32 v55, 0x420, v49
	v_add_u32_e32 v57, 0x840, v49
	;; [unrolled: 1-line block ×15, first 2 shown]
	v_mov_b32_e32 v51, v11
	v_mov_b32_e32 v71, v11
	v_lshlrev_b32_e32 v128, 5, v27
	v_mul_u32_u24_e32 v130, 0x84, v27
	v_lshl_add_u32 v138, v4, 4, v5
	v_add3_u32 v140, v3, v1, s1
	v_lshrrev_b32_e32 v141, 3, v0
	v_lshrrev_b32_e32 v142, 3, v2
	;; [unrolled: 1-line block ×3, first 2 shown]
	v_or_b32_e32 v145, 0x6300, v144
	v_add_u32_e32 v147, 0x6300, v146
	v_add_u32_e32 v149, 0x6300, v148
	;; [unrolled: 1-line block ×13, first 2 shown]
	s_mov_b64 s[0:1], 0x60
	s_mov_b32 s15, 0x30303030
	s_movk_i32 s16, 0x3f00
	s_movk_i32 s17, 0xe000
	v_add_u32_e32 v162, v45, v47
	v_add_u32_e32 v163, v53, v63
	;; [unrolled: 1-line block ×4, first 2 shown]
	v_mov_b32_e32 v166, 8
	v_mov_b32_e32 v125, v11
	;; [unrolled: 1-line block ×33, first 2 shown]
	s_branch .LBB129_6
.LBB129_5:                              ;   in Loop: Header=BB129_6 Depth=1
	s_add_i32 s14, s14, 2
	s_cmp_ge_i32 s14, s4
	s_cbranch_scc1 .LBB129_16
.LBB129_6:                              ; =>This Loop Header: Depth=1
                                        ;     Child Loop BB129_7 Depth 2
                                        ;     Child Loop BB129_9 Depth 2
	;; [unrolled: 1-line block ×4, first 2 shown]
	s_mul_i32 s18, s14, 0x6e
	s_mul_hi_u32 s19, s14, 0x6e
	s_add_u32 s18, s7, s18
	s_addc_u32 s19, s9, s19
	v_mov_b64_e32 v[0:1], s[18:19]
	v_mad_u64_u32 v[2:3], s[18:19], v8, s5, v[0:1]
	v_lshl_add_u64 v[2:3], v[2:3], 0, v[10:11]
	v_lshl_add_u64 v[2:3], v[2:3], 0, 32
	v_mad_u64_u32 v[4:5], s[18:19], v12, s5, v[2:3]
	v_mad_u64_u32 v[6:7], s[18:19], v14, s5, v[2:3]
	;; [unrolled: 1-line block ×8, first 2 shown]
	global_load_dword v167, v[4:5], off
	global_load_dword v176, v[6:7], off
	global_load_dword v177, v[84:85], off
	global_load_dword v178, v[86:87], off
	global_load_dword v179, v[168:169], off
	global_load_dword v180, v[170:171], off
	global_load_dword v181, v[172:173], off
	s_nop 0
	global_load_dword v174, v[174:175], off
	v_mad_u64_u32 v[4:5], s[18:19], v28, s5, v[2:3]
	v_mad_u64_u32 v[6:7], s[18:19], v30, s5, v[2:3]
	;; [unrolled: 1-line block ×8, first 2 shown]
	global_load_dword v175, v[4:5], off
	global_load_dword v182, v[6:7], off
	;; [unrolled: 1-line block ×4, first 2 shown]
	s_nop 0
	global_load_dword v168, v[168:169], off
	s_nop 0
	global_load_dword v169, v[170:171], off
	;; [unrolled: 2-line block ×3, first 2 shown]
	global_load_dword v171, v[2:3], off
	v_mad_u64_u32 v[2:3], s[18:19], v46, s5, v[0:1]
	v_mad_u64_u32 v[2:3], s[18:19], v44, s5, v[2:3]
	global_load_ushort v172, v[2:3], off offset:108
	v_mad_u64_u32 v[4:5], s[18:19], v48, s5, v[0:1]
	v_lshl_add_u64 v[4:5], v[4:5], 0, v[50:51]
	v_mad_u64_u32 v[6:7], s[18:19], v52, s5, v[4:5]
	v_mad_u64_u32 v[84:85], s[18:19], v54, s5, v[4:5]
	global_load_dword v173, v[6:7], off
	global_load_dword v185, v[84:85], off
	v_mad_u64_u32 v[2:3], s[18:19], v56, s5, v[4:5]
	v_mad_u64_u32 v[86:87], s[18:19], v58, s5, v[4:5]
	global_load_dword v186, v[2:3], off
	s_nop 0
	global_load_dword v86, v[86:87], off
	v_mad_u64_u32 v[6:7], s[18:19], v60, s5, v[4:5]
	v_mad_u64_u32 v[2:3], s[18:19], v62, s5, v[4:5]
	global_load_dword v87, v[6:7], off
	global_load_dword v187, v[2:3], off
	v_mad_u64_u32 v[2:3], s[18:19], v64, s5, v[4:5]
	v_mad_u64_u32 v[0:1], s[18:19], v68, s5, v[0:1]
	global_load_dword v188, v[2:3], off
	v_mad_u64_u32 v[2:3], s[18:19], v66, s5, v[4:5]
	v_lshl_add_u64 v[0:1], v[0:1], 0, s[0:1]
	global_load_dword v189, v[2:3], off
	v_mad_u64_u32 v[2:3], s[18:19], v72, s5, v[0:1]
	v_mad_u64_u32 v[6:7], s[18:19], v74, s5, v[0:1]
	;; [unrolled: 1-line block ×4, first 2 shown]
	v_lshl_add_u64 v[4:5], v[2:3], 0, v[70:71]
	global_load_dword v190, v[0:1], off offset:8
	global_load_dword v191, v[84:85], off offset:8
	;; [unrolled: 1-line block ×3, first 2 shown]
	global_load_dword v193, v[4:5], off
	global_load_dword v194, v[2:3], off offset:8
	v_lshl_add_u64 v[2:3], v[6:7], 0, v[70:71]
	global_load_dword v195, v[2:3], off
	v_lshl_add_u64 v[2:3], v[84:85], 0, v[70:71]
	global_load_dword v196, v[2:3], off
	s_waitcnt vmcnt(31)
	ds_write_b32 v49, v167
	s_waitcnt vmcnt(30)
	ds_write_b32 v55, v176
	;; [unrolled: 2-line block ×13, first 2 shown]
	v_lshl_add_u64 v[0:1], v[0:1], 0, v[70:71]
	s_lshl_b32 s18, s14, 3
	v_add_u32_e32 v167, s18, v82
	s_mov_b32 s19, 0
	s_mov_b32 s22, -2
	s_waitcnt vmcnt(15)
	v_cvt_f32_f16_e32 v2, v172
	ds_write_b32 v91, v169
	ds_write_b32 v92, v170
	;; [unrolled: 1-line block ×4, first 2 shown]
	global_load_dword v175, v[0:1], off
	v_add_u32_e32 v170, s18, v100
	v_add_u32_e32 v0, v170, v108
	;; [unrolled: 1-line block ×4, first 2 shown]
	s_waitcnt vmcnt(15)
	v_not_b32_e32 v2, v173
	ds_write_b32 v154, v2
	s_waitcnt vmcnt(14)
	v_not_b32_e32 v2, v185
	ds_write_b32 v155, v2
	v_add_u32_e32 v84, v170, v119
	s_waitcnt vmcnt(13)
	v_not_b32_e32 v2, v186
	ds_write_b32 v156, v2
	s_waitcnt vmcnt(12)
	v_not_b32_e32 v2, v86
	ds_write_b32 v157, v2
	v_mad_i64_i32 v[0:1], s[20:21], v0, 36, v[80:81]
	s_waitcnt vmcnt(11)
	v_not_b32_e32 v2, v87
	ds_write_b32 v158, v2
	s_waitcnt vmcnt(10)
	v_not_b32_e32 v2, v187
	ds_write_b32 v159, v2
	v_add_u32_e32 v2, v170, v112
	v_mad_i64_i32 v[2:3], s[20:21], v2, 36, v[80:81]
	v_mad_i64_i32 v[4:5], s[20:21], v4, 36, v[80:81]
	;; [unrolled: 1-line block ×4, first 2 shown]
	v_add_u32_e32 v86, v170, v121
	v_add_u32_e32 v168, v170, v123
	;; [unrolled: 1-line block ×3, first 2 shown]
	v_mad_i64_i32 v[86:87], s[20:21], v86, 36, v[80:81]
	v_mad_i64_i32 v[168:169], s[20:21], v168, 36, v[80:81]
	;; [unrolled: 1-line block ×3, first 2 shown]
	v_mad_u64_u32 v[172:173], s[20:21], v167, 36, s[2:3]
	global_load_dword v0, v[0:1], off offset:4
	s_nop 0
	global_load_dword v1, v[2:3], off offset:4
	s_nop 0
	global_load_dword v2, v[4:5], off offset:4
	global_load_dword v3, v[6:7], off offset:4
	s_nop 0
	global_load_dword v4, v[84:85], off offset:4
	global_load_dword v5, v[172:173], off
	global_load_dword v6, v[86:87], off offset:4
	global_load_dword v7, v[168:169], off offset:4
	s_nop 0
	global_load_dword v84, v[170:171], off offset:4
	s_waitcnt vmcnt(18)
	v_not_b32_e32 v174, v188
	s_waitcnt vmcnt(17)
	v_not_b32_e32 v85, v189
	ds_write_b32 v160, v174
	ds_write_b32 v161, v85
	s_waitcnt vmcnt(13)
	v_ashrrev_i32_e32 v85, v102, v193
	s_waitcnt vmcnt(12)
	v_ashrrev_i32_e32 v86, v103, v194
	v_and_b32_e32 v85, 0xf0f0f0f, v85
	v_lshlrev_b32_e32 v86, 4, v86
	v_and_or_b32 v85, v86, s15, v85
	v_lshlrev_b16_e32 v87, 8, v85
	v_and_b32_e32 v86, 0x3f00, v85
	v_add_u16_e32 v87, 0xe000, v87
	v_or_b32_sdwa v86, v86, v87 dst_sel:DWORD dst_unused:UNUSED_PAD src0_sel:DWORD src1_sel:BYTE_1
	v_and_b32_sdwa v87, v85, s16 dst_sel:DWORD dst_unused:UNUSED_PAD src0_sel:WORD_1 src1_sel:DWORD
	v_lshlrev_b16_sdwa v85, v166, v85 dst_sel:DWORD dst_unused:UNUSED_PAD src0_sel:DWORD src1_sel:WORD_1
	v_add_u16_e32 v85, 0xe000, v85
	v_or_b32_sdwa v85, v87, v85 dst_sel:DWORD dst_unused:UNUSED_PAD src0_sel:DWORD src1_sel:BYTE_1
	v_add_u16_e32 v86, 0xe000, v86
	v_add_u16_sdwa v85, v85, s17 dst_sel:WORD_1 dst_unused:UNUSED_PAD src0_sel:DWORD src1_sel:DWORD
	v_mov_b32_e32 v168, v109
	v_or_b32_e32 v85, v86, v85
	ds_write_b32 v162, v85
	s_waitcnt vmcnt(11)
	v_ashrrev_i32_e32 v85, v102, v195
	v_ashrrev_i32_e32 v86, v103, v192
	v_and_b32_e32 v85, 0xf0f0f0f, v85
	v_lshlrev_b32_e32 v86, 4, v86
	v_and_or_b32 v85, v86, s15, v85
	v_lshlrev_b16_e32 v87, 8, v85
	v_and_b32_e32 v86, 0x3f00, v85
	v_add_u16_e32 v87, 0xe000, v87
	v_or_b32_sdwa v86, v86, v87 dst_sel:DWORD dst_unused:UNUSED_PAD src0_sel:DWORD src1_sel:BYTE_1
	v_and_b32_sdwa v87, v85, s16 dst_sel:DWORD dst_unused:UNUSED_PAD src0_sel:WORD_1 src1_sel:DWORD
	v_lshlrev_b16_sdwa v85, v166, v85 dst_sel:DWORD dst_unused:UNUSED_PAD src0_sel:DWORD src1_sel:WORD_1
	v_add_u16_e32 v85, 0xe000, v85
	v_or_b32_sdwa v85, v87, v85 dst_sel:DWORD dst_unused:UNUSED_PAD src0_sel:DWORD src1_sel:BYTE_1
	v_add_u16_e32 v86, 0xe000, v86
	v_add_u16_sdwa v85, v85, s17 dst_sel:WORD_1 dst_unused:UNUSED_PAD src0_sel:DWORD src1_sel:DWORD
	v_mov_b32_e32 v169, v94
	v_or_b32_e32 v85, v86, v85
	ds_write_b32 v163, v85
	s_waitcnt vmcnt(10)
	v_ashrrev_i32_e32 v85, v102, v196
	v_ashrrev_i32_e32 v86, v103, v191
	v_and_b32_e32 v85, 0xf0f0f0f, v85
	v_lshlrev_b32_e32 v86, 4, v86
	v_and_or_b32 v85, v86, s15, v85
	v_lshlrev_b16_e32 v87, 8, v85
	v_and_b32_e32 v86, 0x3f00, v85
	v_add_u16_e32 v87, 0xe000, v87
	v_or_b32_sdwa v86, v86, v87 dst_sel:DWORD dst_unused:UNUSED_PAD src0_sel:DWORD src1_sel:BYTE_1
	v_and_b32_sdwa v87, v85, s16 dst_sel:DWORD dst_unused:UNUSED_PAD src0_sel:WORD_1 src1_sel:DWORD
	v_lshlrev_b16_sdwa v85, v166, v85 dst_sel:DWORD dst_unused:UNUSED_PAD src0_sel:DWORD src1_sel:WORD_1
	v_add_u16_e32 v85, 0xe000, v85
	v_or_b32_sdwa v85, v87, v85 dst_sel:DWORD dst_unused:UNUSED_PAD src0_sel:DWORD src1_sel:BYTE_1
	v_add_u16_e32 v86, 0xe000, v86
	v_add_u16_sdwa v85, v85, s17 dst_sel:WORD_1 dst_unused:UNUSED_PAD src0_sel:DWORD src1_sel:DWORD
	s_mov_b32 s20, 0
	v_or_b32_e32 v85, v86, v85
	ds_write_b32 v164, v85
	s_waitcnt vmcnt(9)
	v_ashrrev_i32_e32 v85, v102, v175
	v_ashrrev_i32_e32 v86, v103, v190
	v_and_b32_e32 v85, 0xf0f0f0f, v85
	v_lshlrev_b32_e32 v86, 4, v86
	v_and_or_b32 v85, v86, s15, v85
	v_lshlrev_b16_e32 v87, 8, v85
	v_and_b32_e32 v86, 0x3f00, v85
	v_add_u16_e32 v87, 0xe000, v87
	v_or_b32_sdwa v86, v86, v87 dst_sel:DWORD dst_unused:UNUSED_PAD src0_sel:DWORD src1_sel:BYTE_1
	v_and_b32_sdwa v87, v85, s16 dst_sel:DWORD dst_unused:UNUSED_PAD src0_sel:WORD_1 src1_sel:DWORD
	v_lshlrev_b16_sdwa v85, v166, v85 dst_sel:DWORD dst_unused:UNUSED_PAD src0_sel:DWORD src1_sel:WORD_1
	v_add_u16_e32 v85, 0xe000, v85
	v_or_b32_sdwa v85, v87, v85 dst_sel:DWORD dst_unused:UNUSED_PAD src0_sel:DWORD src1_sel:BYTE_1
	v_add_u16_e32 v86, 0xe000, v86
	v_add_u16_sdwa v85, v85, s17 dst_sel:WORD_1 dst_unused:UNUSED_PAD src0_sel:DWORD src1_sel:DWORD
	s_nop 0
	v_or_b32_e32 v85, v86, v85
	ds_write_b32 v165, v85
	s_waitcnt vmcnt(8)
	ds_write_b32 v110, v0
	s_waitcnt vmcnt(7)
	;; [unrolled: 2-line block ×6, first 2 shown]
	v_cvt_f32_f16_e32 v0, v5
	s_waitcnt vmcnt(2)
	ds_write_b32 v122, v6
	s_waitcnt vmcnt(1)
	ds_write_b32 v124, v7
	;; [unrolled: 2-line block ×3, first 2 shown]
	ds_write_b32 v107, v0
	s_waitcnt lgkmcnt(0)
	s_barrier
.LBB129_7:                              ;   Parent Loop BB129_6 Depth=1
                                        ; =>  This Inner Loop Header: Depth=2
	s_add_i32 s21, s22, 2
	s_and_b32 s23, s20, -16
	s_lshr_b32 s25, s21, 4
	v_add_u32_e32 v86, s23, v128
	s_and_b32 s24, s21, 0x3ffffff8
	s_lshl_b32 s23, s25, 3
	s_lshl_b32 s24, s24, 2
	v_add_lshl_u32 v180, v129, s23, 2
	v_add_u32_e32 v0, 0x9600, v169
	v_add_u32_e32 v87, s24, v130
	;; [unrolled: 1-line block ×3, first 2 shown]
	ds_read2_b32 v[84:85], v0 offset0:104 offset1:136
	ds_read_b128 v[4:7], v168 offset:25344
	ds_read_b128 v[0:3], v168 offset:25360
	ds_read2_b32 v[170:171], v87 offset1:1
	ds_read2_b32 v[172:173], v172 offset1:1
	s_lshl_b32 s25, s25, 2
	v_add_lshl_u32 v190, v132, s23, 2
	v_add_u32_e32 v183, 0x4200, v190
	s_waitcnt lgkmcnt(1)
	v_ashrrev_i32_e32 v170, s21, v170
	s_waitcnt lgkmcnt(0)
	v_ashrrev_i32_e32 v172, s19, v172
	v_lshlrev_b32_e32 v172, 2, v172
	v_and_b32_e32 v174, 0x3030303, v170
	v_bfe_u32 v170, v170, 24, 2
	v_and_b32_e32 v172, 0x4040404, v172
	v_ashrrev_i32_e32 v173, s19, v173
	v_sub_u16_e32 v175, v174, v172
	v_sub_u16_sdwa v176, v174, v172 dst_sel:BYTE_1 dst_unused:UNUSED_PAD src0_sel:BYTE_1 src1_sel:BYTE_1
	v_sub_u16_sdwa v170, v170, v172 dst_sel:BYTE_1 dst_unused:UNUSED_PAD src0_sel:DWORD src1_sel:BYTE_3
	v_sub_u16_sdwa v172, v174, v172 dst_sel:DWORD dst_unused:UNUSED_PAD src0_sel:WORD_1 src1_sel:WORD_1
	v_ashrrev_i32_e32 v171, s21, v171
	v_lshlrev_b32_e32 v173, 2, v173
	v_or_b32_sdwa v175, v175, v176 dst_sel:DWORD dst_unused:UNUSED_PAD src0_sel:BYTE_0 src1_sel:DWORD
	v_or_b32_sdwa v170, v172, v170 dst_sel:WORD_1 dst_unused:UNUSED_PAD src0_sel:BYTE_0 src1_sel:DWORD
	v_and_b32_e32 v172, 0x3030303, v171
	v_bfe_u32 v171, v171, 24, 2
	v_and_b32_e32 v173, 0x4040404, v173
	v_or_b32_sdwa v170, v175, v170 dst_sel:DWORD dst_unused:UNUSED_PAD src0_sel:WORD_0 src1_sel:DWORD
	v_sub_u16_e32 v174, v172, v173
	v_sub_u16_sdwa v175, v172, v173 dst_sel:BYTE_1 dst_unused:UNUSED_PAD src0_sel:BYTE_1 src1_sel:BYTE_1
	v_sub_u16_sdwa v171, v171, v173 dst_sel:BYTE_1 dst_unused:UNUSED_PAD src0_sel:DWORD src1_sel:BYTE_3
	v_sub_u16_sdwa v172, v172, v173 dst_sel:DWORD dst_unused:UNUSED_PAD src0_sel:WORD_1 src1_sel:WORD_1
	v_or_b32_sdwa v174, v174, v175 dst_sel:DWORD dst_unused:UNUSED_PAD src0_sel:BYTE_0 src1_sel:DWORD
	v_or_b32_sdwa v171, v172, v171 dst_sel:WORD_1 dst_unused:UNUSED_PAD src0_sel:BYTE_0 src1_sel:DWORD
	ds_read2_b32 v[172:173], v87 offset0:2 offset1:3
	v_or_b32_sdwa v171, v174, v171 dst_sel:DWORD dst_unused:UNUSED_PAD src0_sel:WORD_0 src1_sel:DWORD
	v_add_u32_e32 v174, 0x4208, v180
	ds_read2_b32 v[174:175], v174 offset1:1
	v_add_lshl_u32 v212, v138, s23, 2
	s_waitcnt lgkmcnt(1)
	v_ashrrev_i32_e32 v172, s21, v172
	v_and_b32_e32 v176, 0x3030303, v172
	v_bfe_u32 v172, v172, 24, 2
	s_waitcnt lgkmcnt(0)
	v_ashrrev_i32_e32 v174, s19, v174
	v_lshlrev_b32_e32 v174, 2, v174
	v_and_b32_e32 v174, 0x4040404, v174
	v_ashrrev_i32_e32 v175, s19, v175
	v_sub_u16_e32 v177, v176, v174
	v_sub_u16_sdwa v178, v176, v174 dst_sel:BYTE_1 dst_unused:UNUSED_PAD src0_sel:BYTE_1 src1_sel:BYTE_1
	v_sub_u16_sdwa v172, v172, v174 dst_sel:BYTE_1 dst_unused:UNUSED_PAD src0_sel:DWORD src1_sel:BYTE_3
	v_sub_u16_sdwa v174, v176, v174 dst_sel:DWORD dst_unused:UNUSED_PAD src0_sel:WORD_1 src1_sel:WORD_1
	v_ashrrev_i32_e32 v173, s21, v173
	v_lshlrev_b32_e32 v175, 2, v175
	v_or_b32_sdwa v177, v177, v178 dst_sel:DWORD dst_unused:UNUSED_PAD src0_sel:BYTE_0 src1_sel:DWORD
	v_or_b32_sdwa v172, v174, v172 dst_sel:WORD_1 dst_unused:UNUSED_PAD src0_sel:BYTE_0 src1_sel:DWORD
	v_and_b32_e32 v174, 0x3030303, v173
	v_bfe_u32 v173, v173, 24, 2
	v_and_b32_e32 v175, 0x4040404, v175
	v_or_b32_sdwa v172, v177, v172 dst_sel:DWORD dst_unused:UNUSED_PAD src0_sel:WORD_0 src1_sel:DWORD
	v_sub_u16_e32 v176, v174, v175
	v_sub_u16_sdwa v177, v174, v175 dst_sel:BYTE_1 dst_unused:UNUSED_PAD src0_sel:BYTE_1 src1_sel:BYTE_1
	v_sub_u16_sdwa v173, v173, v175 dst_sel:BYTE_1 dst_unused:UNUSED_PAD src0_sel:DWORD src1_sel:BYTE_3
	v_sub_u16_sdwa v174, v174, v175 dst_sel:DWORD dst_unused:UNUSED_PAD src0_sel:WORD_1 src1_sel:WORD_1
	v_or_b32_sdwa v176, v176, v177 dst_sel:DWORD dst_unused:UNUSED_PAD src0_sel:BYTE_0 src1_sel:DWORD
	v_or_b32_sdwa v173, v174, v173 dst_sel:WORD_1 dst_unused:UNUSED_PAD src0_sel:BYTE_0 src1_sel:DWORD
	ds_read2_b32 v[174:175], v87 offset0:4 offset1:5
	v_or_b32_sdwa v173, v176, v173 dst_sel:DWORD dst_unused:UNUSED_PAD src0_sel:WORD_0 src1_sel:DWORD
	v_add_u32_e32 v176, 0x4210, v180
	ds_read2_b32 v[176:177], v176 offset1:1
	ds_read2_b32 v[186:187], v183 offset1:1
	s_waitcnt lgkmcnt(2)
	v_ashrrev_i32_e32 v174, s21, v174
	v_and_b32_e32 v178, 0x3030303, v174
	v_bfe_u32 v174, v174, 24, 2
	s_waitcnt lgkmcnt(1)
	v_ashrrev_i32_e32 v176, s19, v176
	v_lshlrev_b32_e32 v176, 2, v176
	v_and_b32_e32 v176, 0x4040404, v176
	v_ashrrev_i32_e32 v177, s19, v177
	v_sub_u16_e32 v179, v178, v176
	v_sub_u16_sdwa v181, v178, v176 dst_sel:BYTE_1 dst_unused:UNUSED_PAD src0_sel:BYTE_1 src1_sel:BYTE_1
	v_sub_u16_sdwa v174, v174, v176 dst_sel:BYTE_1 dst_unused:UNUSED_PAD src0_sel:DWORD src1_sel:BYTE_3
	v_sub_u16_sdwa v176, v178, v176 dst_sel:DWORD dst_unused:UNUSED_PAD src0_sel:WORD_1 src1_sel:WORD_1
	v_ashrrev_i32_e32 v175, s21, v175
	v_lshlrev_b32_e32 v177, 2, v177
	v_or_b32_sdwa v179, v179, v181 dst_sel:DWORD dst_unused:UNUSED_PAD src0_sel:BYTE_0 src1_sel:DWORD
	v_or_b32_sdwa v174, v176, v174 dst_sel:WORD_1 dst_unused:UNUSED_PAD src0_sel:BYTE_0 src1_sel:DWORD
	v_and_b32_e32 v176, 0x3030303, v175
	v_bfe_u32 v175, v175, 24, 2
	v_and_b32_e32 v177, 0x4040404, v177
	v_or_b32_sdwa v174, v179, v174 dst_sel:DWORD dst_unused:UNUSED_PAD src0_sel:WORD_0 src1_sel:DWORD
	v_sub_u16_e32 v178, v176, v177
	v_sub_u16_sdwa v179, v176, v177 dst_sel:BYTE_1 dst_unused:UNUSED_PAD src0_sel:BYTE_1 src1_sel:BYTE_1
	v_sub_u16_sdwa v175, v175, v177 dst_sel:BYTE_1 dst_unused:UNUSED_PAD src0_sel:DWORD src1_sel:BYTE_3
	v_sub_u16_sdwa v176, v176, v177 dst_sel:DWORD dst_unused:UNUSED_PAD src0_sel:WORD_1 src1_sel:WORD_1
	v_or_b32_sdwa v178, v178, v179 dst_sel:DWORD dst_unused:UNUSED_PAD src0_sel:BYTE_0 src1_sel:DWORD
	v_or_b32_sdwa v175, v176, v175 dst_sel:WORD_1 dst_unused:UNUSED_PAD src0_sel:BYTE_0 src1_sel:DWORD
	v_add_u32_e32 v177, 0x4218, v180
	v_or_b32_sdwa v176, v178, v175 dst_sel:DWORD dst_unused:UNUSED_PAD src0_sel:WORD_0 src1_sel:DWORD
	ds_read2_b32 v[178:179], v87 offset0:6 offset1:7
	ds_read2_b32 v[180:181], v177 offset1:1
	s_waitcnt lgkmcnt(2)
	v_ashrrev_i32_e32 v183, s19, v186
	v_lshlrev_b32_e32 v183, 2, v183
	v_and_b32_e32 v183, 0x4040404, v183
	s_waitcnt lgkmcnt(1)
	v_ashrrev_i32_e32 v87, s21, v178
	s_waitcnt lgkmcnt(0)
	v_ashrrev_i32_e32 v177, s19, v180
	v_lshlrev_b32_e32 v177, 2, v177
	v_and_b32_e32 v175, 0x3030303, v87
	v_bfe_u32 v87, v87, 24, 2
	v_and_b32_e32 v177, 0x4040404, v177
	v_sub_u16_e32 v178, v175, v177
	v_sub_u16_sdwa v180, v175, v177 dst_sel:BYTE_1 dst_unused:UNUSED_PAD src0_sel:BYTE_1 src1_sel:BYTE_1
	v_sub_u16_sdwa v87, v87, v177 dst_sel:BYTE_1 dst_unused:UNUSED_PAD src0_sel:DWORD src1_sel:BYTE_3
	v_sub_u16_sdwa v175, v175, v177 dst_sel:DWORD dst_unused:UNUSED_PAD src0_sel:WORD_1 src1_sel:WORD_1
	v_or_b32_sdwa v178, v178, v180 dst_sel:DWORD dst_unused:UNUSED_PAD src0_sel:BYTE_0 src1_sel:DWORD
	v_or_b32_sdwa v87, v175, v87 dst_sel:WORD_1 dst_unused:UNUSED_PAD src0_sel:BYTE_0 src1_sel:DWORD
	v_add_lshl_u32 v202, v135, s23, 2
	v_or_b32_sdwa v177, v178, v87 dst_sel:DWORD dst_unused:UNUSED_PAD src0_sel:WORD_0 src1_sel:DWORD
	v_ashrrev_i32_e32 v178, s19, v181
	v_ashrrev_i32_e32 v87, s21, v179
	v_lshlrev_b32_e32 v178, 2, v178
	v_and_b32_e32 v175, 0x3030303, v87
	v_bfe_u32 v87, v87, 24, 2
	v_and_b32_e32 v178, 0x4040404, v178
	v_sub_u16_e32 v179, v175, v178
	v_sub_u16_sdwa v180, v175, v178 dst_sel:BYTE_1 dst_unused:UNUSED_PAD src0_sel:BYTE_1 src1_sel:BYTE_1
	v_sub_u16_sdwa v87, v87, v178 dst_sel:BYTE_1 dst_unused:UNUSED_PAD src0_sel:DWORD src1_sel:BYTE_3
	v_sub_u16_sdwa v175, v175, v178 dst_sel:DWORD dst_unused:UNUSED_PAD src0_sel:WORD_1 src1_sel:WORD_1
	v_or_b32_sdwa v179, v179, v180 dst_sel:DWORD dst_unused:UNUSED_PAD src0_sel:BYTE_0 src1_sel:DWORD
	v_or_b32_sdwa v87, v175, v87 dst_sel:WORD_1 dst_unused:UNUSED_PAD src0_sel:BYTE_0 src1_sel:DWORD
	v_add_u32_e32 v175, s25, v131
	v_or_b32_sdwa v178, v179, v87 dst_sel:DWORD dst_unused:UNUSED_PAD src0_sel:WORD_0 src1_sel:DWORD
	v_add3_u32 v87, v145, s22, v86
	ds_read_b32 v175, v175
	ds_read_u16 v87, v87 offset:8194
	v_mov_b32_e32 v179, 0
	v_dot4c_i32_i8_e32 v179, v170, v4
	v_dot4c_i32_i8_e32 v179, v171, v5
	;; [unrolled: 1-line block ×3, first 2 shown]
	s_waitcnt lgkmcnt(0)
	v_lshrrev_b16_e32 v181, 8, v87
	v_bfe_i32 v180, v87, 0, 8
	v_mov_b32_e32 v87, 0
	v_dot4c_i32_i8_e32 v87, v174, v0
	v_dot4c_i32_i8_e32 v87, v176, v1
	v_dot4c_i32_i8_e32 v179, v173, v7
	v_dot4c_i32_i8_e32 v87, v177, v2
	v_dot4c_i32_i8_e32 v87, v178, v3
	v_bfe_i32 v182, v181, 0, 8
	v_mul_lo_u32 v184, v179, v180
	v_add_u32_e32 v206, 0x4200, v212
	v_mad_u64_u32 v[184:185], s[26:27], v87, v182, v[184:185]
	v_cvt_f32_i32_e32 v179, v184
	v_mul_f32_e32 v87, v84, v175
	ds_read2_b32 v[206:207], v206 offset1:1
	s_add_i32 s20, s20, 2
	v_fmac_f32_e32 v125, v87, v179
	v_add_u32_e32 v87, s24, v133
	ds_read2_b32 v[184:185], v87 offset1:1
	s_waitcnt lgkmcnt(1)
	v_ashrrev_i32_e32 v206, s19, v206
	v_lshlrev_b32_e32 v206, 2, v206
	v_and_b32_e32 v206, 0x4040404, v206
	s_waitcnt lgkmcnt(0)
	v_ashrrev_i32_e32 v179, s21, v184
	v_and_b32_e32 v181, 0x3030303, v179
	v_bfe_u32 v179, v179, 24, 2
	v_sub_u16_e32 v184, v181, v183
	v_sub_u16_sdwa v186, v181, v183 dst_sel:BYTE_1 dst_unused:UNUSED_PAD src0_sel:BYTE_1 src1_sel:BYTE_1
	v_sub_u16_sdwa v179, v179, v183 dst_sel:BYTE_1 dst_unused:UNUSED_PAD src0_sel:DWORD src1_sel:BYTE_3
	v_sub_u16_sdwa v181, v181, v183 dst_sel:DWORD dst_unused:UNUSED_PAD src0_sel:WORD_1 src1_sel:WORD_1
	v_or_b32_sdwa v184, v184, v186 dst_sel:DWORD dst_unused:UNUSED_PAD src0_sel:BYTE_0 src1_sel:DWORD
	v_or_b32_sdwa v179, v181, v179 dst_sel:WORD_1 dst_unused:UNUSED_PAD src0_sel:BYTE_0 src1_sel:DWORD
	v_ashrrev_i32_e32 v181, s21, v185
	v_or_b32_sdwa v179, v184, v179 dst_sel:DWORD dst_unused:UNUSED_PAD src0_sel:WORD_0 src1_sel:DWORD
	v_ashrrev_i32_e32 v184, s19, v187
	v_lshlrev_b32_e32 v184, 2, v184
	v_and_b32_e32 v183, 0x3030303, v181
	v_bfe_u32 v181, v181, 24, 2
	v_and_b32_e32 v184, 0x4040404, v184
	v_sub_u16_e32 v185, v183, v184
	v_sub_u16_sdwa v186, v183, v184 dst_sel:BYTE_1 dst_unused:UNUSED_PAD src0_sel:BYTE_1 src1_sel:BYTE_1
	v_sub_u16_sdwa v181, v181, v184 dst_sel:BYTE_1 dst_unused:UNUSED_PAD src0_sel:DWORD src1_sel:BYTE_3
	v_sub_u16_sdwa v183, v183, v184 dst_sel:DWORD dst_unused:UNUSED_PAD src0_sel:WORD_1 src1_sel:WORD_1
	v_or_b32_sdwa v185, v185, v186 dst_sel:DWORD dst_unused:UNUSED_PAD src0_sel:BYTE_0 src1_sel:DWORD
	v_or_b32_sdwa v181, v183, v181 dst_sel:WORD_1 dst_unused:UNUSED_PAD src0_sel:BYTE_0 src1_sel:DWORD
	v_add_u32_e32 v186, 0x4208, v190
	v_or_b32_sdwa v181, v185, v181 dst_sel:DWORD dst_unused:UNUSED_PAD src0_sel:WORD_0 src1_sel:DWORD
	ds_read2_b32 v[184:185], v87 offset0:2 offset1:3
	ds_read2_b32 v[186:187], v186 offset1:1
	s_waitcnt lgkmcnt(1)
	v_ashrrev_i32_e32 v183, s21, v184
	s_waitcnt lgkmcnt(0)
	v_ashrrev_i32_e32 v186, s19, v186
	v_lshlrev_b32_e32 v186, 2, v186
	v_and_b32_e32 v184, 0x3030303, v183
	v_bfe_u32 v183, v183, 24, 2
	v_and_b32_e32 v186, 0x4040404, v186
	v_sub_u16_e32 v188, v184, v186
	v_sub_u16_sdwa v189, v184, v186 dst_sel:BYTE_1 dst_unused:UNUSED_PAD src0_sel:BYTE_1 src1_sel:BYTE_1
	v_sub_u16_sdwa v183, v183, v186 dst_sel:BYTE_1 dst_unused:UNUSED_PAD src0_sel:DWORD src1_sel:BYTE_3
	v_sub_u16_sdwa v184, v184, v186 dst_sel:DWORD dst_unused:UNUSED_PAD src0_sel:WORD_1 src1_sel:WORD_1
	v_ashrrev_i32_e32 v186, s19, v187
	v_or_b32_sdwa v183, v184, v183 dst_sel:WORD_1 dst_unused:UNUSED_PAD src0_sel:BYTE_0 src1_sel:DWORD
	v_ashrrev_i32_e32 v184, s21, v185
	v_lshlrev_b32_e32 v186, 2, v186
	v_or_b32_sdwa v188, v188, v189 dst_sel:DWORD dst_unused:UNUSED_PAD src0_sel:BYTE_0 src1_sel:DWORD
	v_and_b32_e32 v185, 0x3030303, v184
	v_bfe_u32 v184, v184, 24, 2
	v_and_b32_e32 v186, 0x4040404, v186
	v_or_b32_sdwa v183, v188, v183 dst_sel:DWORD dst_unused:UNUSED_PAD src0_sel:WORD_0 src1_sel:DWORD
	v_sub_u16_e32 v187, v185, v186
	v_sub_u16_sdwa v188, v185, v186 dst_sel:BYTE_1 dst_unused:UNUSED_PAD src0_sel:BYTE_1 src1_sel:BYTE_1
	v_sub_u16_sdwa v184, v184, v186 dst_sel:BYTE_1 dst_unused:UNUSED_PAD src0_sel:DWORD src1_sel:BYTE_3
	v_sub_u16_sdwa v185, v185, v186 dst_sel:DWORD dst_unused:UNUSED_PAD src0_sel:WORD_1 src1_sel:WORD_1
	v_or_b32_sdwa v187, v187, v188 dst_sel:DWORD dst_unused:UNUSED_PAD src0_sel:BYTE_0 src1_sel:DWORD
	v_or_b32_sdwa v184, v185, v184 dst_sel:WORD_1 dst_unused:UNUSED_PAD src0_sel:BYTE_0 src1_sel:DWORD
	v_add_u32_e32 v188, 0x4210, v190
	v_or_b32_sdwa v184, v187, v184 dst_sel:DWORD dst_unused:UNUSED_PAD src0_sel:WORD_0 src1_sel:DWORD
	ds_read2_b32 v[186:187], v87 offset0:4 offset1:5
	ds_read2_b32 v[188:189], v188 offset1:1
	s_waitcnt lgkmcnt(1)
	v_ashrrev_i32_e32 v185, s21, v186
	s_waitcnt lgkmcnt(0)
	v_ashrrev_i32_e32 v188, s19, v188
	v_lshlrev_b32_e32 v188, 2, v188
	v_and_b32_e32 v186, 0x3030303, v185
	v_bfe_u32 v185, v185, 24, 2
	v_and_b32_e32 v188, 0x4040404, v188
	v_sub_u16_e32 v191, v186, v188
	v_sub_u16_sdwa v192, v186, v188 dst_sel:BYTE_1 dst_unused:UNUSED_PAD src0_sel:BYTE_1 src1_sel:BYTE_1
	v_sub_u16_sdwa v185, v185, v188 dst_sel:BYTE_1 dst_unused:UNUSED_PAD src0_sel:DWORD src1_sel:BYTE_3
	v_sub_u16_sdwa v186, v186, v188 dst_sel:DWORD dst_unused:UNUSED_PAD src0_sel:WORD_1 src1_sel:WORD_1
	v_ashrrev_i32_e32 v188, s19, v189
	v_or_b32_sdwa v185, v186, v185 dst_sel:WORD_1 dst_unused:UNUSED_PAD src0_sel:BYTE_0 src1_sel:DWORD
	v_ashrrev_i32_e32 v186, s21, v187
	v_lshlrev_b32_e32 v188, 2, v188
	v_or_b32_sdwa v191, v191, v192 dst_sel:DWORD dst_unused:UNUSED_PAD src0_sel:BYTE_0 src1_sel:DWORD
	v_and_b32_e32 v187, 0x3030303, v186
	v_bfe_u32 v186, v186, 24, 2
	v_and_b32_e32 v188, 0x4040404, v188
	v_or_b32_sdwa v185, v191, v185 dst_sel:DWORD dst_unused:UNUSED_PAD src0_sel:WORD_0 src1_sel:DWORD
	v_sub_u16_e32 v189, v187, v188
	v_sub_u16_sdwa v191, v187, v188 dst_sel:BYTE_1 dst_unused:UNUSED_PAD src0_sel:BYTE_1 src1_sel:BYTE_1
	v_sub_u16_sdwa v186, v186, v188 dst_sel:BYTE_1 dst_unused:UNUSED_PAD src0_sel:DWORD src1_sel:BYTE_3
	v_sub_u16_sdwa v187, v187, v188 dst_sel:DWORD dst_unused:UNUSED_PAD src0_sel:WORD_1 src1_sel:WORD_1
	v_or_b32_sdwa v189, v189, v191 dst_sel:DWORD dst_unused:UNUSED_PAD src0_sel:BYTE_0 src1_sel:DWORD
	v_or_b32_sdwa v186, v187, v186 dst_sel:WORD_1 dst_unused:UNUSED_PAD src0_sel:BYTE_0 src1_sel:DWORD
	s_nop 0
	v_or_b32_sdwa v187, v189, v186 dst_sel:DWORD dst_unused:UNUSED_PAD src0_sel:WORD_0 src1_sel:DWORD
	ds_read2_b32 v[188:189], v87 offset0:6 offset1:7
	s_waitcnt lgkmcnt(0)
	v_ashrrev_i32_e32 v87, s21, v188
	v_add_u32_e32 v188, 0x4218, v190
	ds_read2_b32 v[190:191], v188 offset1:1
	v_and_b32_e32 v186, 0x3030303, v87
	v_bfe_u32 v87, v87, 24, 2
	s_waitcnt lgkmcnt(0)
	v_ashrrev_i32_e32 v188, s19, v190
	v_lshlrev_b32_e32 v188, 2, v188
	v_and_b32_e32 v188, 0x4040404, v188
	v_sub_u16_e32 v190, v186, v188
	v_sub_u16_sdwa v192, v186, v188 dst_sel:BYTE_1 dst_unused:UNUSED_PAD src0_sel:BYTE_1 src1_sel:BYTE_1
	v_sub_u16_sdwa v87, v87, v188 dst_sel:BYTE_1 dst_unused:UNUSED_PAD src0_sel:DWORD src1_sel:BYTE_3
	v_sub_u16_sdwa v186, v186, v188 dst_sel:DWORD dst_unused:UNUSED_PAD src0_sel:WORD_1 src1_sel:WORD_1
	v_or_b32_sdwa v190, v190, v192 dst_sel:DWORD dst_unused:UNUSED_PAD src0_sel:BYTE_0 src1_sel:DWORD
	v_or_b32_sdwa v87, v186, v87 dst_sel:WORD_1 dst_unused:UNUSED_PAD src0_sel:BYTE_0 src1_sel:DWORD
	s_nop 0
	v_or_b32_sdwa v188, v190, v87 dst_sel:DWORD dst_unused:UNUSED_PAD src0_sel:WORD_0 src1_sel:DWORD
	v_ashrrev_i32_e32 v87, s21, v189
	v_ashrrev_i32_e32 v189, s19, v191
	v_lshlrev_b32_e32 v189, 2, v189
	v_and_b32_e32 v186, 0x3030303, v87
	v_bfe_u32 v87, v87, 24, 2
	v_and_b32_e32 v189, 0x4040404, v189
	v_sub_u16_e32 v190, v186, v189
	v_sub_u16_sdwa v191, v186, v189 dst_sel:BYTE_1 dst_unused:UNUSED_PAD src0_sel:BYTE_1 src1_sel:BYTE_1
	v_sub_u16_sdwa v87, v87, v189 dst_sel:BYTE_1 dst_unused:UNUSED_PAD src0_sel:DWORD src1_sel:BYTE_3
	v_sub_u16_sdwa v186, v186, v189 dst_sel:DWORD dst_unused:UNUSED_PAD src0_sel:WORD_1 src1_sel:WORD_1
	v_or_b32_sdwa v190, v190, v191 dst_sel:DWORD dst_unused:UNUSED_PAD src0_sel:BYTE_0 src1_sel:DWORD
	v_or_b32_sdwa v87, v186, v87 dst_sel:WORD_1 dst_unused:UNUSED_PAD src0_sel:BYTE_0 src1_sel:DWORD
	v_add_u32_e32 v186, s25, v134
	v_or_b32_sdwa v189, v190, v87 dst_sel:DWORD dst_unused:UNUSED_PAD src0_sel:WORD_0 src1_sel:DWORD
	v_add3_u32 v87, v147, s22, v86
	ds_read_b32 v186, v186
	ds_read_u16 v87, v87 offset:9218
	v_mov_b32_e32 v191, 0
	v_dot4c_i32_i8_e32 v191, v179, v4
	v_dot4c_i32_i8_e32 v191, v181, v5
	;; [unrolled: 1-line block ×3, first 2 shown]
	s_waitcnt lgkmcnt(0)
	v_lshrrev_b16_e32 v193, 8, v87
	v_bfe_i32 v190, v87, 0, 8
	v_mov_b32_e32 v87, 0
	v_dot4c_i32_i8_e32 v87, v185, v0
	v_dot4c_i32_i8_e32 v87, v187, v1
	;; [unrolled: 1-line block ×5, first 2 shown]
	v_bfe_i32 v193, v193, 0, 8
	v_mul_lo_u32 v192, v191, v190
	s_nop 0
	v_mad_u64_u32 v[194:195], s[26:27], v87, v193, v[192:193]
	v_cvt_f32_i32_e32 v191, v194
	v_mul_f32_e32 v87, v84, v186
	v_fmac_f32_e32 v118, v87, v191
	v_add_u32_e32 v87, s24, v136
	ds_read2_b32 v[194:195], v87 offset1:1
	s_waitcnt lgkmcnt(0)
	v_ashrrev_i32_e32 v191, s21, v194
	v_add_u32_e32 v194, 0x4200, v202
	ds_read2_b32 v[196:197], v194 offset1:1
	v_and_b32_e32 v192, 0x3030303, v191
	v_bfe_u32 v191, v191, 24, 2
	s_waitcnt lgkmcnt(0)
	v_ashrrev_i32_e32 v194, s19, v196
	v_lshlrev_b32_e32 v194, 2, v194
	v_and_b32_e32 v194, 0x4040404, v194
	v_sub_u16_e32 v196, v192, v194
	v_sub_u16_sdwa v198, v192, v194 dst_sel:BYTE_1 dst_unused:UNUSED_PAD src0_sel:BYTE_1 src1_sel:BYTE_1
	v_sub_u16_sdwa v191, v191, v194 dst_sel:BYTE_1 dst_unused:UNUSED_PAD src0_sel:DWORD src1_sel:BYTE_3
	v_sub_u16_sdwa v192, v192, v194 dst_sel:DWORD dst_unused:UNUSED_PAD src0_sel:WORD_1 src1_sel:WORD_1
	v_or_b32_sdwa v191, v192, v191 dst_sel:WORD_1 dst_unused:UNUSED_PAD src0_sel:BYTE_0 src1_sel:DWORD
	v_ashrrev_i32_e32 v192, s21, v195
	v_ashrrev_i32_e32 v195, s19, v197
	v_lshlrev_b32_e32 v195, 2, v195
	v_or_b32_sdwa v196, v196, v198 dst_sel:DWORD dst_unused:UNUSED_PAD src0_sel:BYTE_0 src1_sel:DWORD
	v_and_b32_e32 v194, 0x3030303, v192
	v_bfe_u32 v192, v192, 24, 2
	v_and_b32_e32 v195, 0x4040404, v195
	v_or_b32_sdwa v191, v196, v191 dst_sel:DWORD dst_unused:UNUSED_PAD src0_sel:WORD_0 src1_sel:DWORD
	v_sub_u16_e32 v196, v194, v195
	v_sub_u16_sdwa v197, v194, v195 dst_sel:BYTE_1 dst_unused:UNUSED_PAD src0_sel:BYTE_1 src1_sel:BYTE_1
	v_sub_u16_sdwa v192, v192, v195 dst_sel:BYTE_1 dst_unused:UNUSED_PAD src0_sel:DWORD src1_sel:BYTE_3
	v_sub_u16_sdwa v194, v194, v195 dst_sel:DWORD dst_unused:UNUSED_PAD src0_sel:WORD_1 src1_sel:WORD_1
	v_or_b32_sdwa v196, v196, v197 dst_sel:DWORD dst_unused:UNUSED_PAD src0_sel:BYTE_0 src1_sel:DWORD
	v_or_b32_sdwa v192, v194, v192 dst_sel:WORD_1 dst_unused:UNUSED_PAD src0_sel:BYTE_0 src1_sel:DWORD
	ds_read2_b32 v[194:195], v87 offset0:2 offset1:3
	v_or_b32_sdwa v192, v196, v192 dst_sel:DWORD dst_unused:UNUSED_PAD src0_sel:WORD_0 src1_sel:DWORD
	v_add_u32_e32 v196, 0x4208, v202
	ds_read2_b32 v[196:197], v196 offset1:1
	s_waitcnt lgkmcnt(1)
	v_ashrrev_i32_e32 v194, s21, v194
	v_and_b32_e32 v198, 0x3030303, v194
	v_bfe_u32 v194, v194, 24, 2
	s_waitcnt lgkmcnt(0)
	v_ashrrev_i32_e32 v196, s19, v196
	v_lshlrev_b32_e32 v196, 2, v196
	v_and_b32_e32 v196, 0x4040404, v196
	v_ashrrev_i32_e32 v197, s19, v197
	v_sub_u16_e32 v199, v198, v196
	v_sub_u16_sdwa v200, v198, v196 dst_sel:BYTE_1 dst_unused:UNUSED_PAD src0_sel:BYTE_1 src1_sel:BYTE_1
	v_sub_u16_sdwa v194, v194, v196 dst_sel:BYTE_1 dst_unused:UNUSED_PAD src0_sel:DWORD src1_sel:BYTE_3
	v_sub_u16_sdwa v196, v198, v196 dst_sel:DWORD dst_unused:UNUSED_PAD src0_sel:WORD_1 src1_sel:WORD_1
	v_ashrrev_i32_e32 v195, s21, v195
	v_lshlrev_b32_e32 v197, 2, v197
	v_or_b32_sdwa v199, v199, v200 dst_sel:DWORD dst_unused:UNUSED_PAD src0_sel:BYTE_0 src1_sel:DWORD
	v_or_b32_sdwa v194, v196, v194 dst_sel:WORD_1 dst_unused:UNUSED_PAD src0_sel:BYTE_0 src1_sel:DWORD
	v_and_b32_e32 v196, 0x3030303, v195
	v_bfe_u32 v195, v195, 24, 2
	v_and_b32_e32 v197, 0x4040404, v197
	v_or_b32_sdwa v194, v199, v194 dst_sel:DWORD dst_unused:UNUSED_PAD src0_sel:WORD_0 src1_sel:DWORD
	v_sub_u16_e32 v198, v196, v197
	v_sub_u16_sdwa v199, v196, v197 dst_sel:BYTE_1 dst_unused:UNUSED_PAD src0_sel:BYTE_1 src1_sel:BYTE_1
	v_sub_u16_sdwa v195, v195, v197 dst_sel:BYTE_1 dst_unused:UNUSED_PAD src0_sel:DWORD src1_sel:BYTE_3
	v_sub_u16_sdwa v196, v196, v197 dst_sel:DWORD dst_unused:UNUSED_PAD src0_sel:WORD_1 src1_sel:WORD_1
	v_or_b32_sdwa v198, v198, v199 dst_sel:DWORD dst_unused:UNUSED_PAD src0_sel:BYTE_0 src1_sel:DWORD
	v_or_b32_sdwa v195, v196, v195 dst_sel:WORD_1 dst_unused:UNUSED_PAD src0_sel:BYTE_0 src1_sel:DWORD
	ds_read2_b32 v[196:197], v87 offset0:4 offset1:5
	v_or_b32_sdwa v195, v198, v195 dst_sel:DWORD dst_unused:UNUSED_PAD src0_sel:WORD_0 src1_sel:DWORD
	v_add_u32_e32 v198, 0x4210, v202
	ds_read2_b32 v[198:199], v198 offset1:1
	s_waitcnt lgkmcnt(1)
	v_ashrrev_i32_e32 v196, s21, v196
	v_and_b32_e32 v200, 0x3030303, v196
	v_bfe_u32 v196, v196, 24, 2
	s_waitcnt lgkmcnt(0)
	v_ashrrev_i32_e32 v198, s19, v198
	v_lshlrev_b32_e32 v198, 2, v198
	v_and_b32_e32 v198, 0x4040404, v198
	v_ashrrev_i32_e32 v199, s19, v199
	v_sub_u16_e32 v201, v200, v198
	v_sub_u16_sdwa v203, v200, v198 dst_sel:BYTE_1 dst_unused:UNUSED_PAD src0_sel:BYTE_1 src1_sel:BYTE_1
	v_sub_u16_sdwa v196, v196, v198 dst_sel:BYTE_1 dst_unused:UNUSED_PAD src0_sel:DWORD src1_sel:BYTE_3
	v_sub_u16_sdwa v198, v200, v198 dst_sel:DWORD dst_unused:UNUSED_PAD src0_sel:WORD_1 src1_sel:WORD_1
	v_ashrrev_i32_e32 v197, s21, v197
	v_lshlrev_b32_e32 v199, 2, v199
	v_or_b32_sdwa v201, v201, v203 dst_sel:DWORD dst_unused:UNUSED_PAD src0_sel:BYTE_0 src1_sel:DWORD
	v_or_b32_sdwa v196, v198, v196 dst_sel:WORD_1 dst_unused:UNUSED_PAD src0_sel:BYTE_0 src1_sel:DWORD
	v_and_b32_e32 v198, 0x3030303, v197
	v_bfe_u32 v197, v197, 24, 2
	v_and_b32_e32 v199, 0x4040404, v199
	v_or_b32_sdwa v196, v201, v196 dst_sel:DWORD dst_unused:UNUSED_PAD src0_sel:WORD_0 src1_sel:DWORD
	v_sub_u16_e32 v200, v198, v199
	v_sub_u16_sdwa v201, v198, v199 dst_sel:BYTE_1 dst_unused:UNUSED_PAD src0_sel:BYTE_1 src1_sel:BYTE_1
	v_sub_u16_sdwa v197, v197, v199 dst_sel:BYTE_1 dst_unused:UNUSED_PAD src0_sel:DWORD src1_sel:BYTE_3
	v_sub_u16_sdwa v198, v198, v199 dst_sel:DWORD dst_unused:UNUSED_PAD src0_sel:WORD_1 src1_sel:WORD_1
	v_or_b32_sdwa v200, v200, v201 dst_sel:DWORD dst_unused:UNUSED_PAD src0_sel:BYTE_0 src1_sel:DWORD
	v_or_b32_sdwa v197, v198, v197 dst_sel:WORD_1 dst_unused:UNUSED_PAD src0_sel:BYTE_0 src1_sel:DWORD
	v_add_u32_e32 v199, 0x4218, v202
	v_or_b32_sdwa v198, v200, v197 dst_sel:DWORD dst_unused:UNUSED_PAD src0_sel:WORD_0 src1_sel:DWORD
	ds_read2_b32 v[200:201], v87 offset0:6 offset1:7
	ds_read2_b32 v[202:203], v199 offset1:1
	s_waitcnt lgkmcnt(1)
	v_ashrrev_i32_e32 v87, s21, v200
	s_waitcnt lgkmcnt(0)
	v_ashrrev_i32_e32 v199, s19, v202
	v_lshlrev_b32_e32 v199, 2, v199
	v_and_b32_e32 v197, 0x3030303, v87
	v_bfe_u32 v87, v87, 24, 2
	v_and_b32_e32 v199, 0x4040404, v199
	v_sub_u16_e32 v200, v197, v199
	v_sub_u16_sdwa v202, v197, v199 dst_sel:BYTE_1 dst_unused:UNUSED_PAD src0_sel:BYTE_1 src1_sel:BYTE_1
	v_sub_u16_sdwa v87, v87, v199 dst_sel:BYTE_1 dst_unused:UNUSED_PAD src0_sel:DWORD src1_sel:BYTE_3
	v_sub_u16_sdwa v197, v197, v199 dst_sel:DWORD dst_unused:UNUSED_PAD src0_sel:WORD_1 src1_sel:WORD_1
	v_or_b32_sdwa v200, v200, v202 dst_sel:DWORD dst_unused:UNUSED_PAD src0_sel:BYTE_0 src1_sel:DWORD
	v_or_b32_sdwa v87, v197, v87 dst_sel:WORD_1 dst_unused:UNUSED_PAD src0_sel:BYTE_0 src1_sel:DWORD
	s_nop 0
	v_or_b32_sdwa v199, v200, v87 dst_sel:DWORD dst_unused:UNUSED_PAD src0_sel:WORD_0 src1_sel:DWORD
	v_ashrrev_i32_e32 v200, s19, v203
	v_ashrrev_i32_e32 v87, s21, v201
	v_lshlrev_b32_e32 v200, 2, v200
	v_and_b32_e32 v197, 0x3030303, v87
	v_bfe_u32 v87, v87, 24, 2
	v_and_b32_e32 v200, 0x4040404, v200
	v_sub_u16_e32 v201, v197, v200
	v_sub_u16_sdwa v202, v197, v200 dst_sel:BYTE_1 dst_unused:UNUSED_PAD src0_sel:BYTE_1 src1_sel:BYTE_1
	v_sub_u16_sdwa v87, v87, v200 dst_sel:BYTE_1 dst_unused:UNUSED_PAD src0_sel:DWORD src1_sel:BYTE_3
	v_sub_u16_sdwa v197, v197, v200 dst_sel:DWORD dst_unused:UNUSED_PAD src0_sel:WORD_1 src1_sel:WORD_1
	v_or_b32_sdwa v201, v201, v202 dst_sel:DWORD dst_unused:UNUSED_PAD src0_sel:BYTE_0 src1_sel:DWORD
	v_or_b32_sdwa v87, v197, v87 dst_sel:WORD_1 dst_unused:UNUSED_PAD src0_sel:BYTE_0 src1_sel:DWORD
	v_add_u32_e32 v197, s25, v137
	v_or_b32_sdwa v200, v201, v87 dst_sel:DWORD dst_unused:UNUSED_PAD src0_sel:WORD_0 src1_sel:DWORD
	v_add3_u32 v87, v149, s22, v86
	ds_read_b32 v197, v197
	ds_read_u16 v87, v87 offset:10242
	v_mov_b32_e32 v202, 0
	v_dot4c_i32_i8_e32 v202, v191, v4
	v_dot4c_i32_i8_e32 v202, v192, v5
	;; [unrolled: 1-line block ×3, first 2 shown]
	s_waitcnt lgkmcnt(0)
	v_lshrrev_b16_e32 v203, 8, v87
	v_bfe_i32 v201, v87, 0, 8
	v_mov_b32_e32 v87, 0
	v_dot4c_i32_i8_e32 v87, v196, v0
	v_dot4c_i32_i8_e32 v87, v198, v1
	;; [unrolled: 1-line block ×5, first 2 shown]
	v_bfe_i32 v204, v203, 0, 8
	v_mul_lo_u32 v202, v202, v201
	v_add3_u32 v86, v151, s22, v86
	v_mad_u64_u32 v[202:203], s[26:27], v87, v204, v[202:203]
	v_cvt_f32_i32_e32 v202, v202
	v_mul_f32_e32 v87, v84, v197
	v_fmac_f32_e32 v111, v87, v202
	v_add_u32_e32 v87, s24, v139
	ds_read2_b32 v[202:203], v87 offset1:1
	s_waitcnt lgkmcnt(0)
	v_ashrrev_i32_e32 v202, s21, v202
	v_and_b32_e32 v205, 0x3030303, v202
	v_bfe_u32 v202, v202, 24, 2
	v_sub_u16_e32 v208, v205, v206
	v_sub_u16_sdwa v209, v205, v206 dst_sel:BYTE_1 dst_unused:UNUSED_PAD src0_sel:BYTE_1 src1_sel:BYTE_1
	v_sub_u16_sdwa v202, v202, v206 dst_sel:BYTE_1 dst_unused:UNUSED_PAD src0_sel:DWORD src1_sel:BYTE_3
	v_sub_u16_sdwa v205, v205, v206 dst_sel:DWORD dst_unused:UNUSED_PAD src0_sel:WORD_1 src1_sel:WORD_1
	v_ashrrev_i32_e32 v206, s19, v207
	v_ashrrev_i32_e32 v203, s21, v203
	v_lshlrev_b32_e32 v206, 2, v206
	v_or_b32_sdwa v208, v208, v209 dst_sel:DWORD dst_unused:UNUSED_PAD src0_sel:BYTE_0 src1_sel:DWORD
	v_or_b32_sdwa v202, v205, v202 dst_sel:WORD_1 dst_unused:UNUSED_PAD src0_sel:BYTE_0 src1_sel:DWORD
	v_and_b32_e32 v205, 0x3030303, v203
	v_bfe_u32 v203, v203, 24, 2
	v_and_b32_e32 v206, 0x4040404, v206
	v_or_b32_sdwa v202, v208, v202 dst_sel:DWORD dst_unused:UNUSED_PAD src0_sel:WORD_0 src1_sel:DWORD
	v_sub_u16_e32 v207, v205, v206
	v_sub_u16_sdwa v208, v205, v206 dst_sel:BYTE_1 dst_unused:UNUSED_PAD src0_sel:BYTE_1 src1_sel:BYTE_1
	v_sub_u16_sdwa v203, v203, v206 dst_sel:BYTE_1 dst_unused:UNUSED_PAD src0_sel:DWORD src1_sel:BYTE_3
	v_sub_u16_sdwa v205, v205, v206 dst_sel:DWORD dst_unused:UNUSED_PAD src0_sel:WORD_1 src1_sel:WORD_1
	v_or_b32_sdwa v207, v207, v208 dst_sel:DWORD dst_unused:UNUSED_PAD src0_sel:BYTE_0 src1_sel:DWORD
	v_or_b32_sdwa v203, v205, v203 dst_sel:WORD_1 dst_unused:UNUSED_PAD src0_sel:BYTE_0 src1_sel:DWORD
	v_add_u32_e32 v208, 0x4208, v212
	v_or_b32_sdwa v203, v207, v203 dst_sel:DWORD dst_unused:UNUSED_PAD src0_sel:WORD_0 src1_sel:DWORD
	ds_read2_b32 v[206:207], v87 offset0:2 offset1:3
	ds_read2_b32 v[208:209], v208 offset1:1
	s_waitcnt lgkmcnt(1)
	v_ashrrev_i32_e32 v205, s21, v206
	s_waitcnt lgkmcnt(0)
	v_ashrrev_i32_e32 v208, s19, v208
	v_lshlrev_b32_e32 v208, 2, v208
	v_and_b32_e32 v206, 0x3030303, v205
	v_bfe_u32 v205, v205, 24, 2
	v_and_b32_e32 v208, 0x4040404, v208
	v_sub_u16_e32 v210, v206, v208
	v_sub_u16_sdwa v211, v206, v208 dst_sel:BYTE_1 dst_unused:UNUSED_PAD src0_sel:BYTE_1 src1_sel:BYTE_1
	v_sub_u16_sdwa v205, v205, v208 dst_sel:BYTE_1 dst_unused:UNUSED_PAD src0_sel:DWORD src1_sel:BYTE_3
	v_sub_u16_sdwa v206, v206, v208 dst_sel:DWORD dst_unused:UNUSED_PAD src0_sel:WORD_1 src1_sel:WORD_1
	v_ashrrev_i32_e32 v208, s19, v209
	v_or_b32_sdwa v205, v206, v205 dst_sel:WORD_1 dst_unused:UNUSED_PAD src0_sel:BYTE_0 src1_sel:DWORD
	v_ashrrev_i32_e32 v206, s21, v207
	v_lshlrev_b32_e32 v208, 2, v208
	v_or_b32_sdwa v210, v210, v211 dst_sel:DWORD dst_unused:UNUSED_PAD src0_sel:BYTE_0 src1_sel:DWORD
	v_and_b32_e32 v207, 0x3030303, v206
	v_bfe_u32 v206, v206, 24, 2
	v_and_b32_e32 v208, 0x4040404, v208
	v_or_b32_sdwa v205, v210, v205 dst_sel:DWORD dst_unused:UNUSED_PAD src0_sel:WORD_0 src1_sel:DWORD
	v_sub_u16_e32 v209, v207, v208
	v_sub_u16_sdwa v210, v207, v208 dst_sel:BYTE_1 dst_unused:UNUSED_PAD src0_sel:BYTE_1 src1_sel:BYTE_1
	v_sub_u16_sdwa v206, v206, v208 dst_sel:BYTE_1 dst_unused:UNUSED_PAD src0_sel:DWORD src1_sel:BYTE_3
	v_sub_u16_sdwa v207, v207, v208 dst_sel:DWORD dst_unused:UNUSED_PAD src0_sel:WORD_1 src1_sel:WORD_1
	v_or_b32_sdwa v209, v209, v210 dst_sel:DWORD dst_unused:UNUSED_PAD src0_sel:BYTE_0 src1_sel:DWORD
	v_or_b32_sdwa v206, v207, v206 dst_sel:WORD_1 dst_unused:UNUSED_PAD src0_sel:BYTE_0 src1_sel:DWORD
	v_add_u32_e32 v210, 0x4210, v212
	v_or_b32_sdwa v206, v209, v206 dst_sel:DWORD dst_unused:UNUSED_PAD src0_sel:WORD_0 src1_sel:DWORD
	ds_read2_b32 v[208:209], v87 offset0:4 offset1:5
	ds_read2_b32 v[210:211], v210 offset1:1
	s_waitcnt lgkmcnt(1)
	v_ashrrev_i32_e32 v207, s21, v208
	s_waitcnt lgkmcnt(0)
	v_ashrrev_i32_e32 v210, s19, v210
	v_lshlrev_b32_e32 v210, 2, v210
	v_and_b32_e32 v208, 0x3030303, v207
	v_bfe_u32 v207, v207, 24, 2
	v_and_b32_e32 v210, 0x4040404, v210
	v_sub_u16_e32 v213, v208, v210
	v_sub_u16_sdwa v214, v208, v210 dst_sel:BYTE_1 dst_unused:UNUSED_PAD src0_sel:BYTE_1 src1_sel:BYTE_1
	v_sub_u16_sdwa v207, v207, v210 dst_sel:BYTE_1 dst_unused:UNUSED_PAD src0_sel:DWORD src1_sel:BYTE_3
	v_sub_u16_sdwa v208, v208, v210 dst_sel:DWORD dst_unused:UNUSED_PAD src0_sel:WORD_1 src1_sel:WORD_1
	v_ashrrev_i32_e32 v210, s19, v211
	v_or_b32_sdwa v207, v208, v207 dst_sel:WORD_1 dst_unused:UNUSED_PAD src0_sel:BYTE_0 src1_sel:DWORD
	v_ashrrev_i32_e32 v208, s21, v209
	v_lshlrev_b32_e32 v210, 2, v210
	v_or_b32_sdwa v213, v213, v214 dst_sel:DWORD dst_unused:UNUSED_PAD src0_sel:BYTE_0 src1_sel:DWORD
	v_and_b32_e32 v209, 0x3030303, v208
	v_bfe_u32 v208, v208, 24, 2
	v_and_b32_e32 v210, 0x4040404, v210
	v_or_b32_sdwa v207, v213, v207 dst_sel:DWORD dst_unused:UNUSED_PAD src0_sel:WORD_0 src1_sel:DWORD
	v_sub_u16_e32 v211, v209, v210
	v_sub_u16_sdwa v213, v209, v210 dst_sel:BYTE_1 dst_unused:UNUSED_PAD src0_sel:BYTE_1 src1_sel:BYTE_1
	v_sub_u16_sdwa v208, v208, v210 dst_sel:BYTE_1 dst_unused:UNUSED_PAD src0_sel:DWORD src1_sel:BYTE_3
	v_sub_u16_sdwa v209, v209, v210 dst_sel:DWORD dst_unused:UNUSED_PAD src0_sel:WORD_1 src1_sel:WORD_1
	v_or_b32_sdwa v211, v211, v213 dst_sel:DWORD dst_unused:UNUSED_PAD src0_sel:BYTE_0 src1_sel:DWORD
	v_or_b32_sdwa v208, v209, v208 dst_sel:WORD_1 dst_unused:UNUSED_PAD src0_sel:BYTE_0 src1_sel:DWORD
	s_nop 0
	v_or_b32_sdwa v209, v211, v208 dst_sel:DWORD dst_unused:UNUSED_PAD src0_sel:WORD_0 src1_sel:DWORD
	ds_read2_b32 v[210:211], v87 offset0:6 offset1:7
	s_waitcnt lgkmcnt(0)
	v_ashrrev_i32_e32 v87, s21, v210
	v_add_u32_e32 v210, 0x4218, v212
	ds_read2_b32 v[212:213], v210 offset1:1
	v_and_b32_e32 v208, 0x3030303, v87
	v_bfe_u32 v87, v87, 24, 2
	s_waitcnt lgkmcnt(0)
	v_ashrrev_i32_e32 v210, s19, v212
	v_lshlrev_b32_e32 v210, 2, v210
	v_and_b32_e32 v210, 0x4040404, v210
	v_sub_u16_e32 v212, v208, v210
	v_sub_u16_sdwa v214, v208, v210 dst_sel:BYTE_1 dst_unused:UNUSED_PAD src0_sel:BYTE_1 src1_sel:BYTE_1
	v_sub_u16_sdwa v87, v87, v210 dst_sel:BYTE_1 dst_unused:UNUSED_PAD src0_sel:DWORD src1_sel:BYTE_3
	v_sub_u16_sdwa v208, v208, v210 dst_sel:DWORD dst_unused:UNUSED_PAD src0_sel:WORD_1 src1_sel:WORD_1
	v_or_b32_sdwa v212, v212, v214 dst_sel:DWORD dst_unused:UNUSED_PAD src0_sel:BYTE_0 src1_sel:DWORD
	v_or_b32_sdwa v87, v208, v87 dst_sel:WORD_1 dst_unused:UNUSED_PAD src0_sel:BYTE_0 src1_sel:DWORD
	s_nop 0
	v_or_b32_sdwa v210, v212, v87 dst_sel:DWORD dst_unused:UNUSED_PAD src0_sel:WORD_0 src1_sel:DWORD
	v_ashrrev_i32_e32 v87, s21, v211
	v_ashrrev_i32_e32 v211, s19, v213
	v_lshlrev_b32_e32 v211, 2, v211
	v_and_b32_e32 v208, 0x3030303, v87
	v_bfe_u32 v87, v87, 24, 2
	v_and_b32_e32 v211, 0x4040404, v211
	v_sub_u16_e32 v212, v208, v211
	v_sub_u16_sdwa v213, v208, v211 dst_sel:BYTE_1 dst_unused:UNUSED_PAD src0_sel:BYTE_1 src1_sel:BYTE_1
	v_sub_u16_sdwa v87, v87, v211 dst_sel:BYTE_1 dst_unused:UNUSED_PAD src0_sel:DWORD src1_sel:BYTE_3
	v_sub_u16_sdwa v208, v208, v211 dst_sel:DWORD dst_unused:UNUSED_PAD src0_sel:WORD_1 src1_sel:WORD_1
	v_or_b32_sdwa v212, v212, v213 dst_sel:DWORD dst_unused:UNUSED_PAD src0_sel:BYTE_0 src1_sel:DWORD
	v_or_b32_sdwa v87, v208, v87 dst_sel:WORD_1 dst_unused:UNUSED_PAD src0_sel:BYTE_0 src1_sel:DWORD
	s_add_i32 s19, s19, 1
	v_or_b32_sdwa v211, v212, v87 dst_sel:DWORD dst_unused:UNUSED_PAD src0_sel:WORD_0 src1_sel:DWORD
	v_add_u32_e32 v87, s25, v140
	ds_read_b32 v208, v87
	v_mov_b32_e32 v87, 0
	v_dot4c_i32_i8_e32 v87, v202, v4
	ds_read_u16 v4, v86 offset:11266
	v_dot4c_i32_i8_e32 v87, v203, v5
	v_dot4c_i32_i8_e32 v87, v205, v6
	v_mov_b32_e32 v6, 0
	v_dot4c_i32_i8_e32 v6, v207, v0
	v_dot4c_i32_i8_e32 v6, v209, v1
	;; [unrolled: 1-line block ×3, first 2 shown]
	s_waitcnt lgkmcnt(0)
	v_lshrrev_b16_e32 v5, 8, v4
	v_bfe_i32 v212, v4, 0, 8
	v_dot4c_i32_i8_e32 v6, v210, v2
	v_mul_lo_u32 v4, v87, v212
	v_dot4c_i32_i8_e32 v6, v211, v3
	v_bfe_i32 v213, v5, 0, 8
	v_mov_b32_e32 v86, 0
	s_cmp_lt_u32 s21, 6
	v_mad_u64_u32 v[0:1], s[22:23], v6, v213, v[4:5]
	v_cvt_f32_i32_e32 v0, v0
	v_mul_f32_e32 v1, v84, v208
	v_mov_b32_e32 v84, 0
	v_fmac_f32_e32 v106, v1, v0
	ds_read_b128 v[0:3], v168 offset:26368
	ds_read_b128 v[4:7], v168 offset:26384
	s_waitcnt lgkmcnt(1)
	v_dot4c_i32_i8_e32 v84, v170, v0
	v_dot4c_i32_i8_e32 v84, v171, v1
	s_waitcnt lgkmcnt(0)
	v_dot4c_i32_i8_e32 v86, v174, v4
	v_dot4c_i32_i8_e32 v84, v172, v2
	;; [unrolled: 1-line block ×6, first 2 shown]
	s_nop 0
	v_mul_lo_u32 v84, v84, v180
	s_nop 0
	v_mad_u64_u32 v[86:87], s[22:23], v86, v182, v[84:85]
	v_cvt_f32_i32_e32 v86, v86
	v_mul_f32_e32 v84, v175, v85
	v_fmac_f32_e32 v105, v84, v86
	v_mov_b32_e32 v84, 0
	v_dot4c_i32_i8_e32 v84, v179, v0
	v_mov_b32_e32 v86, 0
	v_dot4c_i32_i8_e32 v84, v181, v1
	v_dot4c_i32_i8_e32 v86, v185, v4
	;; [unrolled: 1-line block ×7, first 2 shown]
	s_nop 0
	v_mul_lo_u32 v84, v84, v190
	s_nop 0
	v_mad_u64_u32 v[86:87], s[22:23], v86, v193, v[84:85]
	v_cvt_f32_i32_e32 v86, v86
	v_mul_f32_e32 v84, v186, v85
	v_fmac_f32_e32 v104, v84, v86
	v_mov_b32_e32 v84, 0
	v_dot4c_i32_i8_e32 v84, v191, v0
	v_mov_b32_e32 v86, 0
	v_dot4c_i32_i8_e32 v84, v192, v1
	v_dot4c_i32_i8_e32 v86, v196, v4
	;; [unrolled: 1-line block ×7, first 2 shown]
	s_nop 0
	v_mul_lo_u32 v84, v84, v201
	s_nop 0
	v_mad_u64_u32 v[86:87], s[22:23], v86, v204, v[84:85]
	v_cvt_f32_i32_e32 v86, v86
	v_mul_f32_e32 v84, v197, v85
	v_fmac_f32_e32 v101, v84, v86
	v_mov_b32_e32 v84, 0
	v_dot4c_i32_i8_e32 v84, v202, v0
	v_dot4c_i32_i8_e32 v84, v203, v1
	v_mov_b32_e32 v1, 0
	v_dot4c_i32_i8_e32 v1, v207, v4
	v_dot4c_i32_i8_e32 v84, v205, v2
	;; [unrolled: 1-line block ×6, first 2 shown]
	s_nop 0
	v_mul_lo_u32 v0, v84, v212
	s_nop 0
	v_mad_u64_u32 v[0:1], s[22:23], v1, v213, v[0:1]
	v_cvt_f32_i32_e32 v0, v0
	v_mul_f32_e32 v1, v208, v85
	v_fmac_f32_e32 v99, v1, v0
	v_add_u32_e32 v0, 0x9800, v169
	ds_read2_b32 v[6:7], v0 offset0:40 offset1:72
	ds_read_b128 v[2:5], v168 offset:27392
	ds_read_b128 v[84:87], v168 offset:27408
	v_mov_b32_e32 v1, 0
	v_add_u32_e32 v169, 4, v169
	s_waitcnt lgkmcnt(1)
	v_dot4c_i32_i8_e32 v1, v170, v2
	v_dot4c_i32_i8_e32 v1, v171, v3
	;; [unrolled: 1-line block ×4, first 2 shown]
	s_nop 2
	v_mul_lo_u32 v214, v1, v180
	v_mov_b32_e32 v1, 0
	s_waitcnt lgkmcnt(0)
	v_dot4c_i32_i8_e32 v1, v174, v84
	v_dot4c_i32_i8_e32 v1, v176, v85
	v_dot4c_i32_i8_e32 v1, v177, v86
	v_dot4c_i32_i8_e32 v1, v178, v87
	s_nop 2
	v_mad_u64_u32 v[214:215], s[22:23], v1, v182, v[214:215]
	v_cvt_f32_i32_e32 v214, v214
	v_mul_f32_e32 v1, v175, v6
	v_fmac_f32_e32 v98, v1, v214
	v_mov_b32_e32 v1, 0
	v_dot4c_i32_i8_e32 v1, v179, v2
	v_dot4c_i32_i8_e32 v1, v181, v3
	v_dot4c_i32_i8_e32 v1, v183, v4
	v_dot4c_i32_i8_e32 v1, v184, v5
	s_nop 2
	v_mul_lo_u32 v214, v1, v190
	v_mov_b32_e32 v1, 0
	v_dot4c_i32_i8_e32 v1, v185, v84
	v_dot4c_i32_i8_e32 v1, v187, v85
	v_dot4c_i32_i8_e32 v1, v188, v86
	v_dot4c_i32_i8_e32 v1, v189, v87
	s_nop 2
	v_mad_u64_u32 v[214:215], s[22:23], v1, v193, v[214:215]
	v_cvt_f32_i32_e32 v214, v214
	v_mul_f32_e32 v1, v186, v6
	v_fmac_f32_e32 v97, v1, v214
	v_mov_b32_e32 v1, 0
	v_dot4c_i32_i8_e32 v1, v191, v2
	v_dot4c_i32_i8_e32 v1, v192, v3
	v_dot4c_i32_i8_e32 v1, v194, v4
	v_dot4c_i32_i8_e32 v1, v195, v5
	s_nop 2
	v_mul_lo_u32 v214, v1, v201
	v_mov_b32_e32 v1, 0
	;; [unrolled: 17-line block ×3, first 2 shown]
	v_dot4c_i32_i8_e32 v1, v207, v84
	v_dot4c_i32_i8_e32 v1, v209, v85
	v_dot4c_i32_i8_e32 v1, v210, v86
	v_dot4c_i32_i8_e32 v1, v211, v87
	s_nop 2
	v_mad_u64_u32 v[2:3], s[22:23], v1, v213, v[2:3]
	v_cvt_f32_i32_e32 v2, v2
	v_mul_f32_e32 v1, v208, v6
	v_fmac_f32_e32 v83, v1, v2
	ds_read_b128 v[2:5], v168 offset:28416
	ds_read_b128 v[84:87], v168 offset:28432
	v_mov_b32_e32 v1, 0
	s_waitcnt lgkmcnt(1)
	v_dot4c_i32_i8_e32 v1, v170, v2
	v_dot4c_i32_i8_e32 v1, v171, v3
	v_dot4c_i32_i8_e32 v1, v172, v4
	v_dot4c_i32_i8_e32 v1, v173, v5
	s_nop 2
	v_mul_lo_u32 v6, v1, v180
	v_mov_b32_e32 v1, 0
	s_waitcnt lgkmcnt(0)
	v_dot4c_i32_i8_e32 v1, v174, v84
	v_dot4c_i32_i8_e32 v1, v176, v85
	v_dot4c_i32_i8_e32 v1, v177, v86
	v_dot4c_i32_i8_e32 v1, v178, v87
	s_nop 2
	v_mad_u64_u32 v[214:215], s[22:23], v1, v182, v[6:7]
	v_cvt_f32_i32_e32 v6, v214
	v_mul_f32_e32 v1, v175, v7
	v_fmac_f32_e32 v77, v1, v6
	v_mov_b32_e32 v1, 0
	v_dot4c_i32_i8_e32 v1, v179, v2
	v_dot4c_i32_i8_e32 v1, v181, v3
	v_dot4c_i32_i8_e32 v1, v183, v4
	v_dot4c_i32_i8_e32 v1, v184, v5
	s_nop 2
	v_mul_lo_u32 v6, v1, v190
	v_mov_b32_e32 v1, 0
	v_dot4c_i32_i8_e32 v1, v185, v84
	v_dot4c_i32_i8_e32 v1, v187, v85
	v_dot4c_i32_i8_e32 v1, v188, v86
	v_dot4c_i32_i8_e32 v1, v189, v87
	s_nop 2
	v_mad_u64_u32 v[214:215], s[22:23], v1, v193, v[6:7]
	v_cvt_f32_i32_e32 v6, v214
	v_mul_f32_e32 v1, v186, v7
	v_fmac_f32_e32 v63, v1, v6
	v_mov_b32_e32 v1, 0
	v_dot4c_i32_i8_e32 v1, v191, v2
	v_dot4c_i32_i8_e32 v1, v192, v3
	v_dot4c_i32_i8_e32 v1, v194, v4
	v_dot4c_i32_i8_e32 v1, v195, v5
	s_nop 2
	v_mul_lo_u32 v6, v1, v201
	v_mov_b32_e32 v1, 0
	;; [unrolled: 17-line block ×3, first 2 shown]
	v_dot4c_i32_i8_e32 v1, v207, v84
	v_dot4c_i32_i8_e32 v1, v209, v85
	;; [unrolled: 1-line block ×4, first 2 shown]
	s_nop 2
	v_mad_u64_u32 v[2:3], s[22:23], v1, v213, v[2:3]
	v_cvt_f32_i32_e32 v2, v2
	v_mul_f32_e32 v1, v208, v7
	v_fmac_f32_e32 v47, v1, v2
	ds_read2_b32 v[6:7], v0 offset0:104 offset1:136
	ds_read_b128 v[2:5], v168 offset:29440
	ds_read_b128 v[84:87], v168 offset:29456
	v_mov_b32_e32 v1, 0
	s_waitcnt lgkmcnt(1)
	v_dot4c_i32_i8_e32 v1, v170, v2
	v_dot4c_i32_i8_e32 v1, v171, v3
	;; [unrolled: 1-line block ×4, first 2 shown]
	s_nop 2
	v_mul_lo_u32 v214, v1, v180
	v_mov_b32_e32 v1, 0
	s_waitcnt lgkmcnt(0)
	v_dot4c_i32_i8_e32 v1, v174, v84
	v_dot4c_i32_i8_e32 v1, v176, v85
	v_dot4c_i32_i8_e32 v1, v177, v86
	v_dot4c_i32_i8_e32 v1, v178, v87
	s_nop 2
	v_mad_u64_u32 v[214:215], s[22:23], v1, v182, v[214:215]
	v_cvt_f32_i32_e32 v214, v214
	v_mul_f32_e32 v1, v175, v6
	v_fmac_f32_e32 v45, v1, v214
	v_mov_b32_e32 v1, 0
	v_dot4c_i32_i8_e32 v1, v179, v2
	v_dot4c_i32_i8_e32 v1, v181, v3
	v_dot4c_i32_i8_e32 v1, v183, v4
	v_dot4c_i32_i8_e32 v1, v184, v5
	s_nop 2
	v_mul_lo_u32 v214, v1, v190
	v_mov_b32_e32 v1, 0
	v_dot4c_i32_i8_e32 v1, v185, v84
	v_dot4c_i32_i8_e32 v1, v187, v85
	v_dot4c_i32_i8_e32 v1, v188, v86
	v_dot4c_i32_i8_e32 v1, v189, v87
	s_nop 2
	v_mad_u64_u32 v[214:215], s[22:23], v1, v193, v[214:215]
	v_cvt_f32_i32_e32 v214, v214
	v_mul_f32_e32 v1, v186, v6
	v_fmac_f32_e32 v43, v1, v214
	v_mov_b32_e32 v1, 0
	v_dot4c_i32_i8_e32 v1, v191, v2
	v_dot4c_i32_i8_e32 v1, v192, v3
	v_dot4c_i32_i8_e32 v1, v194, v4
	v_dot4c_i32_i8_e32 v1, v195, v5
	s_nop 2
	v_mul_lo_u32 v214, v1, v201
	v_mov_b32_e32 v1, 0
	;; [unrolled: 17-line block ×3, first 2 shown]
	v_dot4c_i32_i8_e32 v1, v207, v84
	v_dot4c_i32_i8_e32 v1, v209, v85
	;; [unrolled: 1-line block ×4, first 2 shown]
	s_nop 2
	v_mad_u64_u32 v[2:3], s[22:23], v1, v213, v[2:3]
	v_cvt_f32_i32_e32 v2, v2
	v_mul_f32_e32 v1, v208, v6
	v_fmac_f32_e32 v39, v1, v2
	ds_read_b128 v[2:5], v168 offset:30464
	ds_read_b128 v[84:87], v168 offset:30480
	v_mov_b32_e32 v1, 0
	s_waitcnt lgkmcnt(1)
	v_dot4c_i32_i8_e32 v1, v170, v2
	v_dot4c_i32_i8_e32 v1, v171, v3
	;; [unrolled: 1-line block ×4, first 2 shown]
	s_nop 2
	v_mul_lo_u32 v6, v1, v180
	v_mov_b32_e32 v1, 0
	s_waitcnt lgkmcnt(0)
	v_dot4c_i32_i8_e32 v1, v174, v84
	v_dot4c_i32_i8_e32 v1, v176, v85
	v_dot4c_i32_i8_e32 v1, v177, v86
	v_dot4c_i32_i8_e32 v1, v178, v87
	s_nop 2
	v_mad_u64_u32 v[214:215], s[22:23], v1, v182, v[6:7]
	v_cvt_f32_i32_e32 v6, v214
	v_mul_f32_e32 v1, v175, v7
	v_fmac_f32_e32 v37, v1, v6
	v_mov_b32_e32 v1, 0
	v_dot4c_i32_i8_e32 v1, v179, v2
	v_dot4c_i32_i8_e32 v1, v181, v3
	v_dot4c_i32_i8_e32 v1, v183, v4
	v_dot4c_i32_i8_e32 v1, v184, v5
	s_nop 2
	v_mul_lo_u32 v6, v1, v190
	v_mov_b32_e32 v1, 0
	v_dot4c_i32_i8_e32 v1, v185, v84
	v_dot4c_i32_i8_e32 v1, v187, v85
	v_dot4c_i32_i8_e32 v1, v188, v86
	v_dot4c_i32_i8_e32 v1, v189, v87
	s_nop 2
	v_mad_u64_u32 v[214:215], s[22:23], v1, v193, v[6:7]
	v_cvt_f32_i32_e32 v6, v214
	v_mul_f32_e32 v1, v186, v7
	v_fmac_f32_e32 v35, v1, v6
	v_mov_b32_e32 v1, 0
	v_dot4c_i32_i8_e32 v1, v191, v2
	v_dot4c_i32_i8_e32 v1, v192, v3
	v_dot4c_i32_i8_e32 v1, v194, v4
	v_dot4c_i32_i8_e32 v1, v195, v5
	s_nop 2
	v_mul_lo_u32 v6, v1, v201
	v_mov_b32_e32 v1, 0
	;; [unrolled: 17-line block ×3, first 2 shown]
	v_dot4c_i32_i8_e32 v1, v207, v84
	v_dot4c_i32_i8_e32 v1, v209, v85
	;; [unrolled: 1-line block ×4, first 2 shown]
	v_mov_b32_e32 v86, 0
	v_mov_b32_e32 v87, 0
	s_nop 0
	v_mad_u64_u32 v[2:3], s[22:23], v1, v213, v[2:3]
	v_cvt_f32_i32_e32 v2, v2
	v_mul_f32_e32 v1, v208, v7
	v_fmac_f32_e32 v29, v1, v2
	ds_read2_b32 v[84:85], v0 offset0:168 offset1:200
	ds_read_b128 v[4:7], v168 offset:31488
	ds_read_b128 v[0:3], v168 offset:31504
	s_waitcnt lgkmcnt(1)
	v_dot4c_i32_i8_e32 v86, v170, v4
	v_dot4c_i32_i8_e32 v86, v171, v5
	s_waitcnt lgkmcnt(0)
	v_dot4c_i32_i8_e32 v87, v174, v0
	v_dot4c_i32_i8_e32 v86, v172, v6
	v_dot4c_i32_i8_e32 v87, v176, v1
	v_dot4c_i32_i8_e32 v86, v173, v7
	v_dot4c_i32_i8_e32 v87, v177, v2
	v_dot4c_i32_i8_e32 v87, v178, v3
	s_nop 0
	v_mul_lo_u32 v86, v86, v180
	s_nop 0
	v_mad_u64_u32 v[86:87], s[22:23], v87, v182, v[86:87]
	v_cvt_f32_i32_e32 v86, v86
	v_mul_f32_e32 v87, v175, v84
	v_fmac_f32_e32 v25, v87, v86
	v_mov_b32_e32 v86, 0
	v_dot4c_i32_i8_e32 v86, v179, v4
	v_mov_b32_e32 v87, 0
	v_dot4c_i32_i8_e32 v86, v181, v5
	v_dot4c_i32_i8_e32 v87, v185, v0
	;; [unrolled: 1-line block ×7, first 2 shown]
	s_nop 0
	v_mul_lo_u32 v86, v86, v190
	s_nop 0
	v_mad_u64_u32 v[86:87], s[22:23], v87, v193, v[86:87]
	v_cvt_f32_i32_e32 v86, v86
	v_mul_f32_e32 v87, v186, v84
	v_fmac_f32_e32 v23, v87, v86
	v_mov_b32_e32 v86, 0
	v_dot4c_i32_i8_e32 v86, v191, v4
	v_mov_b32_e32 v87, 0
	v_dot4c_i32_i8_e32 v86, v192, v5
	v_dot4c_i32_i8_e32 v87, v196, v0
	;; [unrolled: 1-line block ×7, first 2 shown]
	s_nop 0
	v_mul_lo_u32 v86, v86, v201
	s_nop 0
	v_mad_u64_u32 v[86:87], s[22:23], v87, v204, v[86:87]
	v_cvt_f32_i32_e32 v86, v86
	v_mul_f32_e32 v87, v197, v84
	v_fmac_f32_e32 v21, v87, v86
	v_mov_b32_e32 v86, 0
	v_dot4c_i32_i8_e32 v86, v202, v4
	v_dot4c_i32_i8_e32 v86, v203, v5
	v_mov_b32_e32 v5, 0
	v_dot4c_i32_i8_e32 v5, v207, v0
	v_dot4c_i32_i8_e32 v86, v205, v6
	;; [unrolled: 1-line block ×6, first 2 shown]
	s_nop 0
	v_mul_lo_u32 v4, v86, v212
	v_mov_b32_e32 v86, 0
	v_mad_u64_u32 v[0:1], s[22:23], v5, v213, v[4:5]
	v_cvt_f32_i32_e32 v0, v0
	v_mul_f32_e32 v1, v208, v84
	v_mov_b32_e32 v84, 0
	v_fmac_f32_e32 v19, v1, v0
	ds_read_b128 v[0:3], v168 offset:32512
	ds_read_b128 v[4:7], v168 offset:32528
	v_add_u32_e32 v168, 32, v168
	s_waitcnt lgkmcnt(1)
	v_dot4c_i32_i8_e32 v84, v170, v0
	v_dot4c_i32_i8_e32 v84, v171, v1
	s_waitcnt lgkmcnt(0)
	v_dot4c_i32_i8_e32 v86, v174, v4
	v_dot4c_i32_i8_e32 v84, v172, v2
	v_dot4c_i32_i8_e32 v86, v176, v5
	v_dot4c_i32_i8_e32 v84, v173, v3
	v_dot4c_i32_i8_e32 v86, v177, v6
	v_dot4c_i32_i8_e32 v86, v178, v7
	s_nop 0
	v_mul_lo_u32 v84, v84, v180
	s_nop 0
	v_mad_u64_u32 v[86:87], s[22:23], v86, v182, v[84:85]
	v_cvt_f32_i32_e32 v86, v86
	v_mul_f32_e32 v84, v175, v85
	v_fmac_f32_e32 v17, v84, v86
	v_mov_b32_e32 v84, 0
	v_dot4c_i32_i8_e32 v84, v179, v0
	v_mov_b32_e32 v86, 0
	v_dot4c_i32_i8_e32 v84, v181, v1
	v_dot4c_i32_i8_e32 v86, v185, v4
	;; [unrolled: 1-line block ×7, first 2 shown]
	s_nop 0
	v_mul_lo_u32 v84, v84, v190
	s_nop 0
	v_mad_u64_u32 v[86:87], s[22:23], v86, v193, v[84:85]
	v_cvt_f32_i32_e32 v86, v86
	v_mul_f32_e32 v84, v186, v85
	v_fmac_f32_e32 v15, v84, v86
	v_mov_b32_e32 v84, 0
	v_dot4c_i32_i8_e32 v84, v191, v0
	v_mov_b32_e32 v86, 0
	v_dot4c_i32_i8_e32 v84, v192, v1
	v_dot4c_i32_i8_e32 v86, v196, v4
	;; [unrolled: 1-line block ×7, first 2 shown]
	s_nop 0
	v_mul_lo_u32 v84, v84, v201
	s_nop 0
	v_mad_u64_u32 v[86:87], s[22:23], v86, v204, v[84:85]
	v_cvt_f32_i32_e32 v86, v86
	v_mul_f32_e32 v84, v197, v85
	v_fmac_f32_e32 v13, v84, v86
	v_mov_b32_e32 v84, 0
	v_dot4c_i32_i8_e32 v84, v202, v0
	v_dot4c_i32_i8_e32 v84, v203, v1
	v_mov_b32_e32 v1, 0
	v_dot4c_i32_i8_e32 v1, v207, v4
	v_dot4c_i32_i8_e32 v84, v205, v2
	;; [unrolled: 1-line block ×6, first 2 shown]
	s_nop 0
	v_mul_lo_u32 v0, v84, v212
	s_nop 0
	v_mad_u64_u32 v[0:1], s[22:23], v1, v213, v[0:1]
	v_cvt_f32_i32_e32 v0, v0
	v_mul_f32_e32 v1, v208, v85
	s_mov_b32 s22, s21
	v_fmac_f32_e32 v9, v1, v0
	s_cbranch_scc1 .LBB129_7
; %bb.8:                                ;   in Loop: Header=BB129_6 Depth=1
	v_add_u32_e32 v170, s18, v141
	v_add_u32_e32 v0, v170, v108
	;; [unrolled: 1-line block ×6, first 2 shown]
	v_mad_i64_i32 v[0:1], s[20:21], v0, 36, v[80:81]
	v_mad_i64_i32 v[2:3], s[20:21], v2, 36, v[80:81]
	;; [unrolled: 1-line block ×4, first 2 shown]
	v_add_u32_e32 v84, v170, v119
	v_add_u32_e32 v86, v170, v121
	;; [unrolled: 1-line block ×4, first 2 shown]
	v_mad_u64_u32 v[172:173], s[20:21], v172, 36, s[2:3]
	s_barrier
	v_mad_i64_i32 v[84:85], s[20:21], v84, 36, v[80:81]
	v_mad_i64_i32 v[86:87], s[20:21], v86, 36, v[80:81]
	;; [unrolled: 1-line block ×4, first 2 shown]
	global_load_dword v172, v[172:173], off
	s_nop 0
	global_load_dword v0, v[0:1], off offset:4
	s_nop 0
	global_load_dword v1, v[2:3], off offset:4
	;; [unrolled: 2-line block ×3, first 2 shown]
	global_load_dword v3, v[6:7], off offset:4
	s_nop 0
	global_load_dword v4, v[84:85], off offset:4
	global_load_dword v5, v[86:87], off offset:4
	;; [unrolled: 1-line block ×4, first 2 shown]
	s_mov_b32 s19, 4
	s_mov_b32 s20, 8
	;; [unrolled: 1-line block ×3, first 2 shown]
	v_mov_b32_e32 v168, v109
	v_mov_b32_e32 v169, v94
	s_waitcnt vmcnt(8)
	v_cvt_f32_f16_e32 v84, v172
	s_waitcnt vmcnt(7)
	ds_write_b32 v110, v0
	s_waitcnt vmcnt(6)
	ds_write_b32 v113, v1
	;; [unrolled: 2-line block ×8, first 2 shown]
	ds_write_b32 v107, v84
	s_waitcnt lgkmcnt(0)
	s_barrier
.LBB129_9:                              ;   Parent Loop BB129_6 Depth=1
                                        ; =>  This Inner Loop Header: Depth=2
	s_and_b32 s21, s20, -16
	v_add_u32_e32 v86, s21, v128
	s_add_i32 s21, s22, 2
	s_lshr_b32 s26, s21, 4
	s_and_b32 s25, s21, 0x3ffffff8
	s_lshl_b32 s24, s26, 3
	s_lshl_b32 s25, s25, 2
	v_add_lshl_u32 v180, v129, s24, 2
	v_add_u32_e32 v0, 0x9600, v169
	v_add_u32_e32 v87, s25, v130
	;; [unrolled: 1-line block ×3, first 2 shown]
	ds_read2_b32 v[84:85], v0 offset0:104 offset1:136
	ds_read_b128 v[4:7], v168 offset:25344
	ds_read_b128 v[0:3], v168 offset:25360
	ds_read2_b32 v[170:171], v87 offset1:1
	ds_read2_b32 v[172:173], v172 offset1:1
	s_add_i32 s23, s22, -6
	s_lshl_b32 s26, s26, 2
	v_add_lshl_u32 v190, v132, s24, 2
	s_waitcnt lgkmcnt(1)
	v_ashrrev_i32_e32 v170, s23, v170
	s_waitcnt lgkmcnt(0)
	v_ashrrev_i32_e32 v172, s19, v172
	v_lshlrev_b32_e32 v172, 2, v172
	v_and_b32_e32 v174, 0x3030303, v170
	v_bfe_u32 v170, v170, 24, 2
	v_and_b32_e32 v172, 0x4040404, v172
	v_ashrrev_i32_e32 v173, s19, v173
	v_sub_u16_e32 v175, v174, v172
	v_sub_u16_sdwa v176, v174, v172 dst_sel:BYTE_1 dst_unused:UNUSED_PAD src0_sel:BYTE_1 src1_sel:BYTE_1
	v_sub_u16_sdwa v170, v170, v172 dst_sel:BYTE_1 dst_unused:UNUSED_PAD src0_sel:DWORD src1_sel:BYTE_3
	v_sub_u16_sdwa v172, v174, v172 dst_sel:DWORD dst_unused:UNUSED_PAD src0_sel:WORD_1 src1_sel:WORD_1
	v_ashrrev_i32_e32 v171, s23, v171
	v_lshlrev_b32_e32 v173, 2, v173
	v_or_b32_sdwa v175, v175, v176 dst_sel:DWORD dst_unused:UNUSED_PAD src0_sel:BYTE_0 src1_sel:DWORD
	v_or_b32_sdwa v170, v172, v170 dst_sel:WORD_1 dst_unused:UNUSED_PAD src0_sel:BYTE_0 src1_sel:DWORD
	v_and_b32_e32 v172, 0x3030303, v171
	v_bfe_u32 v171, v171, 24, 2
	v_and_b32_e32 v173, 0x4040404, v173
	v_or_b32_sdwa v170, v175, v170 dst_sel:DWORD dst_unused:UNUSED_PAD src0_sel:WORD_0 src1_sel:DWORD
	v_sub_u16_e32 v174, v172, v173
	v_sub_u16_sdwa v175, v172, v173 dst_sel:BYTE_1 dst_unused:UNUSED_PAD src0_sel:BYTE_1 src1_sel:BYTE_1
	v_sub_u16_sdwa v171, v171, v173 dst_sel:BYTE_1 dst_unused:UNUSED_PAD src0_sel:DWORD src1_sel:BYTE_3
	v_sub_u16_sdwa v172, v172, v173 dst_sel:DWORD dst_unused:UNUSED_PAD src0_sel:WORD_1 src1_sel:WORD_1
	v_or_b32_sdwa v174, v174, v175 dst_sel:DWORD dst_unused:UNUSED_PAD src0_sel:BYTE_0 src1_sel:DWORD
	v_or_b32_sdwa v171, v172, v171 dst_sel:WORD_1 dst_unused:UNUSED_PAD src0_sel:BYTE_0 src1_sel:DWORD
	ds_read2_b32 v[172:173], v87 offset0:2 offset1:3
	v_or_b32_sdwa v171, v174, v171 dst_sel:DWORD dst_unused:UNUSED_PAD src0_sel:WORD_0 src1_sel:DWORD
	v_add_u32_e32 v174, 0x4208, v180
	ds_read2_b32 v[174:175], v174 offset1:1
	v_add_u32_e32 v184, 0x4200, v190
	s_waitcnt lgkmcnt(1)
	v_ashrrev_i32_e32 v172, s23, v172
	v_and_b32_e32 v176, 0x3030303, v172
	v_bfe_u32 v172, v172, 24, 2
	s_waitcnt lgkmcnt(0)
	v_ashrrev_i32_e32 v174, s19, v174
	v_lshlrev_b32_e32 v174, 2, v174
	v_and_b32_e32 v174, 0x4040404, v174
	v_ashrrev_i32_e32 v175, s19, v175
	v_sub_u16_e32 v177, v176, v174
	v_sub_u16_sdwa v178, v176, v174 dst_sel:BYTE_1 dst_unused:UNUSED_PAD src0_sel:BYTE_1 src1_sel:BYTE_1
	v_sub_u16_sdwa v172, v172, v174 dst_sel:BYTE_1 dst_unused:UNUSED_PAD src0_sel:DWORD src1_sel:BYTE_3
	v_sub_u16_sdwa v174, v176, v174 dst_sel:DWORD dst_unused:UNUSED_PAD src0_sel:WORD_1 src1_sel:WORD_1
	v_ashrrev_i32_e32 v173, s23, v173
	v_lshlrev_b32_e32 v175, 2, v175
	v_or_b32_sdwa v177, v177, v178 dst_sel:DWORD dst_unused:UNUSED_PAD src0_sel:BYTE_0 src1_sel:DWORD
	v_or_b32_sdwa v172, v174, v172 dst_sel:WORD_1 dst_unused:UNUSED_PAD src0_sel:BYTE_0 src1_sel:DWORD
	v_and_b32_e32 v174, 0x3030303, v173
	v_bfe_u32 v173, v173, 24, 2
	v_and_b32_e32 v175, 0x4040404, v175
	v_or_b32_sdwa v172, v177, v172 dst_sel:DWORD dst_unused:UNUSED_PAD src0_sel:WORD_0 src1_sel:DWORD
	v_sub_u16_e32 v176, v174, v175
	v_sub_u16_sdwa v177, v174, v175 dst_sel:BYTE_1 dst_unused:UNUSED_PAD src0_sel:BYTE_1 src1_sel:BYTE_1
	v_sub_u16_sdwa v173, v173, v175 dst_sel:BYTE_1 dst_unused:UNUSED_PAD src0_sel:DWORD src1_sel:BYTE_3
	v_sub_u16_sdwa v174, v174, v175 dst_sel:DWORD dst_unused:UNUSED_PAD src0_sel:WORD_1 src1_sel:WORD_1
	v_or_b32_sdwa v176, v176, v177 dst_sel:DWORD dst_unused:UNUSED_PAD src0_sel:BYTE_0 src1_sel:DWORD
	v_or_b32_sdwa v173, v174, v173 dst_sel:WORD_1 dst_unused:UNUSED_PAD src0_sel:BYTE_0 src1_sel:DWORD
	v_add_lshl_u32 v212, v138, s24, 2
	v_or_b32_sdwa v173, v176, v173 dst_sel:DWORD dst_unused:UNUSED_PAD src0_sel:WORD_0 src1_sel:DWORD
	ds_read2_b32 v[176:177], v87 offset0:4 offset1:5
	v_add_lshl_u32 v202, v135, s24, 2
	v_add_u32_e32 v206, 0x4200, v212
                                        ; kill: def $vgpr215 killed $sgpr0 killed $exec
	s_add_i32 s20, s20, 2
	ds_read2_b32 v[184:185], v184 offset1:1
	s_waitcnt lgkmcnt(1)
	v_ashrrev_i32_e32 v174, s23, v176
	v_add_u32_e32 v176, 0x4210, v180
	ds_read2_b32 v[178:179], v176 offset1:1
	v_and_b32_e32 v175, 0x3030303, v174
	v_bfe_u32 v174, v174, 24, 2
	s_waitcnt lgkmcnt(1)
	v_ashrrev_i32_e32 v184, s19, v184
	v_lshlrev_b32_e32 v184, 2, v184
	s_waitcnt lgkmcnt(0)
	v_ashrrev_i32_e32 v176, s19, v178
	v_lshlrev_b32_e32 v176, 2, v176
	v_and_b32_e32 v176, 0x4040404, v176
	v_sub_u16_e32 v178, v175, v176
	v_sub_u16_sdwa v181, v175, v176 dst_sel:BYTE_1 dst_unused:UNUSED_PAD src0_sel:BYTE_1 src1_sel:BYTE_1
	v_sub_u16_sdwa v174, v174, v176 dst_sel:BYTE_1 dst_unused:UNUSED_PAD src0_sel:DWORD src1_sel:BYTE_3
	v_sub_u16_sdwa v175, v175, v176 dst_sel:DWORD dst_unused:UNUSED_PAD src0_sel:WORD_1 src1_sel:WORD_1
	v_or_b32_sdwa v178, v178, v181 dst_sel:DWORD dst_unused:UNUSED_PAD src0_sel:BYTE_0 src1_sel:DWORD
	v_or_b32_sdwa v174, v175, v174 dst_sel:WORD_1 dst_unused:UNUSED_PAD src0_sel:BYTE_0 src1_sel:DWORD
	v_and_b32_e32 v184, 0x4040404, v184
	v_or_b32_sdwa v175, v178, v174 dst_sel:DWORD dst_unused:UNUSED_PAD src0_sel:WORD_0 src1_sel:DWORD
	v_ashrrev_i32_e32 v174, s23, v177
	v_ashrrev_i32_e32 v177, s19, v179
	v_lshlrev_b32_e32 v177, 2, v177
	v_and_b32_e32 v176, 0x3030303, v174
	v_bfe_u32 v174, v174, 24, 2
	v_and_b32_e32 v177, 0x4040404, v177
	v_sub_u16_e32 v178, v176, v177
	v_sub_u16_sdwa v179, v176, v177 dst_sel:BYTE_1 dst_unused:UNUSED_PAD src0_sel:BYTE_1 src1_sel:BYTE_1
	v_sub_u16_sdwa v174, v174, v177 dst_sel:BYTE_1 dst_unused:UNUSED_PAD src0_sel:DWORD src1_sel:BYTE_3
	v_sub_u16_sdwa v176, v176, v177 dst_sel:DWORD dst_unused:UNUSED_PAD src0_sel:WORD_1 src1_sel:WORD_1
	v_or_b32_sdwa v178, v178, v179 dst_sel:DWORD dst_unused:UNUSED_PAD src0_sel:BYTE_0 src1_sel:DWORD
	v_or_b32_sdwa v174, v176, v174 dst_sel:WORD_1 dst_unused:UNUSED_PAD src0_sel:BYTE_0 src1_sel:DWORD
	v_add_u32_e32 v177, 0x4218, v180
	v_or_b32_sdwa v176, v178, v174 dst_sel:DWORD dst_unused:UNUSED_PAD src0_sel:WORD_0 src1_sel:DWORD
	ds_read2_b32 v[178:179], v87 offset0:6 offset1:7
	ds_read2_b32 v[180:181], v177 offset1:1
	ds_read2_b32 v[206:207], v206 offset1:1
	s_waitcnt lgkmcnt(2)
	v_ashrrev_i32_e32 v87, s23, v178
	s_waitcnt lgkmcnt(1)
	v_ashrrev_i32_e32 v177, s19, v180
	v_lshlrev_b32_e32 v177, 2, v177
	v_and_b32_e32 v174, 0x3030303, v87
	v_bfe_u32 v87, v87, 24, 2
	v_and_b32_e32 v177, 0x4040404, v177
	v_sub_u16_e32 v178, v174, v177
	v_sub_u16_sdwa v180, v174, v177 dst_sel:BYTE_1 dst_unused:UNUSED_PAD src0_sel:BYTE_1 src1_sel:BYTE_1
	v_sub_u16_sdwa v87, v87, v177 dst_sel:BYTE_1 dst_unused:UNUSED_PAD src0_sel:DWORD src1_sel:BYTE_3
	v_sub_u16_sdwa v174, v174, v177 dst_sel:DWORD dst_unused:UNUSED_PAD src0_sel:WORD_1 src1_sel:WORD_1
	v_or_b32_sdwa v178, v178, v180 dst_sel:DWORD dst_unused:UNUSED_PAD src0_sel:BYTE_0 src1_sel:DWORD
	v_or_b32_sdwa v87, v174, v87 dst_sel:WORD_1 dst_unused:UNUSED_PAD src0_sel:BYTE_0 src1_sel:DWORD
	s_waitcnt lgkmcnt(0)
	v_ashrrev_i32_e32 v206, s19, v206
	v_or_b32_sdwa v177, v178, v87 dst_sel:DWORD dst_unused:UNUSED_PAD src0_sel:WORD_0 src1_sel:DWORD
	v_ashrrev_i32_e32 v178, s19, v181
	v_ashrrev_i32_e32 v87, s23, v179
	v_lshlrev_b32_e32 v178, 2, v178
	v_and_b32_e32 v174, 0x3030303, v87
	v_bfe_u32 v87, v87, 24, 2
	v_and_b32_e32 v178, 0x4040404, v178
	v_sub_u16_e32 v179, v174, v178
	v_sub_u16_sdwa v180, v174, v178 dst_sel:BYTE_1 dst_unused:UNUSED_PAD src0_sel:BYTE_1 src1_sel:BYTE_1
	v_sub_u16_sdwa v87, v87, v178 dst_sel:BYTE_1 dst_unused:UNUSED_PAD src0_sel:DWORD src1_sel:BYTE_3
	v_sub_u16_sdwa v174, v174, v178 dst_sel:DWORD dst_unused:UNUSED_PAD src0_sel:WORD_1 src1_sel:WORD_1
	v_or_b32_sdwa v179, v179, v180 dst_sel:DWORD dst_unused:UNUSED_PAD src0_sel:BYTE_0 src1_sel:DWORD
	v_or_b32_sdwa v87, v174, v87 dst_sel:WORD_1 dst_unused:UNUSED_PAD src0_sel:BYTE_0 src1_sel:DWORD
	v_add_u32_e32 v174, s26, v131
	v_or_b32_sdwa v178, v179, v87 dst_sel:DWORD dst_unused:UNUSED_PAD src0_sel:WORD_0 src1_sel:DWORD
	v_add3_u32 v87, v145, s22, v86
	ds_read_b32 v174, v174
	ds_read_u16 v87, v87 offset:8194
	v_mov_b32_e32 v180, 0
	v_dot4c_i32_i8_e32 v180, v170, v4
	v_dot4c_i32_i8_e32 v180, v171, v5
	;; [unrolled: 1-line block ×3, first 2 shown]
	s_waitcnt lgkmcnt(0)
	v_lshrrev_b16_e32 v181, 8, v87
	v_bfe_i32 v179, v87, 0, 8
	v_mov_b32_e32 v87, 0
	v_dot4c_i32_i8_e32 v87, v175, v0
	v_dot4c_i32_i8_e32 v87, v176, v1
	;; [unrolled: 1-line block ×5, first 2 shown]
	v_bfe_i32 v181, v181, 0, 8
	v_mul_lo_u32 v180, v180, v179
	v_lshlrev_b32_e32 v206, 2, v206
	v_mad_u64_u32 v[182:183], s[28:29], v87, v181, v[180:181]
	v_cvt_f32_i32_e32 v180, v182
	v_mul_f32_e32 v87, v84, v174
	v_and_b32_e32 v206, 0x4040404, v206
	v_fmac_f32_e32 v125, v87, v180
	v_add_u32_e32 v87, s25, v133
	ds_read2_b32 v[182:183], v87 offset1:1
	s_waitcnt lgkmcnt(0)
	v_ashrrev_i32_e32 v180, s23, v182
	v_and_b32_e32 v182, 0x3030303, v180
	v_bfe_u32 v180, v180, 24, 2
	v_sub_u16_e32 v186, v182, v184
	v_sub_u16_sdwa v187, v182, v184 dst_sel:BYTE_1 dst_unused:UNUSED_PAD src0_sel:BYTE_1 src1_sel:BYTE_1
	v_sub_u16_sdwa v180, v180, v184 dst_sel:BYTE_1 dst_unused:UNUSED_PAD src0_sel:DWORD src1_sel:BYTE_3
	v_sub_u16_sdwa v182, v182, v184 dst_sel:DWORD dst_unused:UNUSED_PAD src0_sel:WORD_1 src1_sel:WORD_1
	v_ashrrev_i32_e32 v184, s19, v185
	v_or_b32_sdwa v180, v182, v180 dst_sel:WORD_1 dst_unused:UNUSED_PAD src0_sel:BYTE_0 src1_sel:DWORD
	v_ashrrev_i32_e32 v182, s23, v183
	v_lshlrev_b32_e32 v184, 2, v184
	v_or_b32_sdwa v186, v186, v187 dst_sel:DWORD dst_unused:UNUSED_PAD src0_sel:BYTE_0 src1_sel:DWORD
	v_and_b32_e32 v183, 0x3030303, v182
	v_bfe_u32 v182, v182, 24, 2
	v_and_b32_e32 v184, 0x4040404, v184
	v_or_b32_sdwa v180, v186, v180 dst_sel:DWORD dst_unused:UNUSED_PAD src0_sel:WORD_0 src1_sel:DWORD
	v_sub_u16_e32 v185, v183, v184
	v_sub_u16_sdwa v186, v183, v184 dst_sel:BYTE_1 dst_unused:UNUSED_PAD src0_sel:BYTE_1 src1_sel:BYTE_1
	v_sub_u16_sdwa v182, v182, v184 dst_sel:BYTE_1 dst_unused:UNUSED_PAD src0_sel:DWORD src1_sel:BYTE_3
	v_sub_u16_sdwa v183, v183, v184 dst_sel:DWORD dst_unused:UNUSED_PAD src0_sel:WORD_1 src1_sel:WORD_1
	v_or_b32_sdwa v185, v185, v186 dst_sel:DWORD dst_unused:UNUSED_PAD src0_sel:BYTE_0 src1_sel:DWORD
	v_or_b32_sdwa v182, v183, v182 dst_sel:WORD_1 dst_unused:UNUSED_PAD src0_sel:BYTE_0 src1_sel:DWORD
	v_add_u32_e32 v186, 0x4208, v190
	v_or_b32_sdwa v182, v185, v182 dst_sel:DWORD dst_unused:UNUSED_PAD src0_sel:WORD_0 src1_sel:DWORD
	ds_read2_b32 v[184:185], v87 offset0:2 offset1:3
	ds_read2_b32 v[186:187], v186 offset1:1
	s_waitcnt lgkmcnt(1)
	v_ashrrev_i32_e32 v183, s23, v184
	s_waitcnt lgkmcnt(0)
	v_ashrrev_i32_e32 v186, s19, v186
	v_lshlrev_b32_e32 v186, 2, v186
	v_and_b32_e32 v184, 0x3030303, v183
	v_bfe_u32 v183, v183, 24, 2
	v_and_b32_e32 v186, 0x4040404, v186
	v_sub_u16_e32 v188, v184, v186
	v_sub_u16_sdwa v189, v184, v186 dst_sel:BYTE_1 dst_unused:UNUSED_PAD src0_sel:BYTE_1 src1_sel:BYTE_1
	v_sub_u16_sdwa v183, v183, v186 dst_sel:BYTE_1 dst_unused:UNUSED_PAD src0_sel:DWORD src1_sel:BYTE_3
	v_sub_u16_sdwa v184, v184, v186 dst_sel:DWORD dst_unused:UNUSED_PAD src0_sel:WORD_1 src1_sel:WORD_1
	v_ashrrev_i32_e32 v186, s19, v187
	v_or_b32_sdwa v183, v184, v183 dst_sel:WORD_1 dst_unused:UNUSED_PAD src0_sel:BYTE_0 src1_sel:DWORD
	v_ashrrev_i32_e32 v184, s23, v185
	v_lshlrev_b32_e32 v186, 2, v186
	v_or_b32_sdwa v188, v188, v189 dst_sel:DWORD dst_unused:UNUSED_PAD src0_sel:BYTE_0 src1_sel:DWORD
	v_and_b32_e32 v185, 0x3030303, v184
	v_bfe_u32 v184, v184, 24, 2
	v_and_b32_e32 v186, 0x4040404, v186
	v_or_b32_sdwa v183, v188, v183 dst_sel:DWORD dst_unused:UNUSED_PAD src0_sel:WORD_0 src1_sel:DWORD
	v_sub_u16_e32 v187, v185, v186
	v_sub_u16_sdwa v188, v185, v186 dst_sel:BYTE_1 dst_unused:UNUSED_PAD src0_sel:BYTE_1 src1_sel:BYTE_1
	v_sub_u16_sdwa v184, v184, v186 dst_sel:BYTE_1 dst_unused:UNUSED_PAD src0_sel:DWORD src1_sel:BYTE_3
	v_sub_u16_sdwa v185, v185, v186 dst_sel:DWORD dst_unused:UNUSED_PAD src0_sel:WORD_1 src1_sel:WORD_1
	v_or_b32_sdwa v187, v187, v188 dst_sel:DWORD dst_unused:UNUSED_PAD src0_sel:BYTE_0 src1_sel:DWORD
	v_or_b32_sdwa v184, v185, v184 dst_sel:WORD_1 dst_unused:UNUSED_PAD src0_sel:BYTE_0 src1_sel:DWORD
	v_add_u32_e32 v188, 0x4210, v190
	v_or_b32_sdwa v184, v187, v184 dst_sel:DWORD dst_unused:UNUSED_PAD src0_sel:WORD_0 src1_sel:DWORD
	ds_read2_b32 v[186:187], v87 offset0:4 offset1:5
	ds_read2_b32 v[188:189], v188 offset1:1
	s_waitcnt lgkmcnt(1)
	v_ashrrev_i32_e32 v185, s23, v186
	s_waitcnt lgkmcnt(0)
	v_ashrrev_i32_e32 v188, s19, v188
	v_lshlrev_b32_e32 v188, 2, v188
	v_and_b32_e32 v186, 0x3030303, v185
	v_bfe_u32 v185, v185, 24, 2
	v_and_b32_e32 v188, 0x4040404, v188
	v_sub_u16_e32 v191, v186, v188
	v_sub_u16_sdwa v192, v186, v188 dst_sel:BYTE_1 dst_unused:UNUSED_PAD src0_sel:BYTE_1 src1_sel:BYTE_1
	v_sub_u16_sdwa v185, v185, v188 dst_sel:BYTE_1 dst_unused:UNUSED_PAD src0_sel:DWORD src1_sel:BYTE_3
	v_sub_u16_sdwa v186, v186, v188 dst_sel:DWORD dst_unused:UNUSED_PAD src0_sel:WORD_1 src1_sel:WORD_1
	v_ashrrev_i32_e32 v188, s19, v189
	v_or_b32_sdwa v185, v186, v185 dst_sel:WORD_1 dst_unused:UNUSED_PAD src0_sel:BYTE_0 src1_sel:DWORD
	v_ashrrev_i32_e32 v186, s23, v187
	v_lshlrev_b32_e32 v188, 2, v188
	v_or_b32_sdwa v191, v191, v192 dst_sel:DWORD dst_unused:UNUSED_PAD src0_sel:BYTE_0 src1_sel:DWORD
	v_and_b32_e32 v187, 0x3030303, v186
	v_bfe_u32 v186, v186, 24, 2
	v_and_b32_e32 v188, 0x4040404, v188
	v_or_b32_sdwa v185, v191, v185 dst_sel:DWORD dst_unused:UNUSED_PAD src0_sel:WORD_0 src1_sel:DWORD
	v_sub_u16_e32 v189, v187, v188
	v_sub_u16_sdwa v191, v187, v188 dst_sel:BYTE_1 dst_unused:UNUSED_PAD src0_sel:BYTE_1 src1_sel:BYTE_1
	v_sub_u16_sdwa v186, v186, v188 dst_sel:BYTE_1 dst_unused:UNUSED_PAD src0_sel:DWORD src1_sel:BYTE_3
	v_sub_u16_sdwa v187, v187, v188 dst_sel:DWORD dst_unused:UNUSED_PAD src0_sel:WORD_1 src1_sel:WORD_1
	v_or_b32_sdwa v189, v189, v191 dst_sel:DWORD dst_unused:UNUSED_PAD src0_sel:BYTE_0 src1_sel:DWORD
	v_or_b32_sdwa v186, v187, v186 dst_sel:WORD_1 dst_unused:UNUSED_PAD src0_sel:BYTE_0 src1_sel:DWORD
	s_nop 0
	v_or_b32_sdwa v187, v189, v186 dst_sel:DWORD dst_unused:UNUSED_PAD src0_sel:WORD_0 src1_sel:DWORD
	ds_read2_b32 v[188:189], v87 offset0:6 offset1:7
	s_waitcnt lgkmcnt(0)
	v_ashrrev_i32_e32 v87, s23, v188
	v_add_u32_e32 v188, 0x4218, v190
	ds_read2_b32 v[190:191], v188 offset1:1
	v_and_b32_e32 v186, 0x3030303, v87
	v_bfe_u32 v87, v87, 24, 2
	s_waitcnt lgkmcnt(0)
	v_ashrrev_i32_e32 v188, s19, v190
	v_lshlrev_b32_e32 v188, 2, v188
	v_and_b32_e32 v188, 0x4040404, v188
	v_sub_u16_e32 v190, v186, v188
	v_sub_u16_sdwa v192, v186, v188 dst_sel:BYTE_1 dst_unused:UNUSED_PAD src0_sel:BYTE_1 src1_sel:BYTE_1
	v_sub_u16_sdwa v87, v87, v188 dst_sel:BYTE_1 dst_unused:UNUSED_PAD src0_sel:DWORD src1_sel:BYTE_3
	v_sub_u16_sdwa v186, v186, v188 dst_sel:DWORD dst_unused:UNUSED_PAD src0_sel:WORD_1 src1_sel:WORD_1
	v_or_b32_sdwa v190, v190, v192 dst_sel:DWORD dst_unused:UNUSED_PAD src0_sel:BYTE_0 src1_sel:DWORD
	v_or_b32_sdwa v87, v186, v87 dst_sel:WORD_1 dst_unused:UNUSED_PAD src0_sel:BYTE_0 src1_sel:DWORD
	s_nop 0
	v_or_b32_sdwa v188, v190, v87 dst_sel:DWORD dst_unused:UNUSED_PAD src0_sel:WORD_0 src1_sel:DWORD
	v_ashrrev_i32_e32 v87, s23, v189
	v_ashrrev_i32_e32 v189, s19, v191
	v_lshlrev_b32_e32 v189, 2, v189
	v_and_b32_e32 v186, 0x3030303, v87
	v_bfe_u32 v87, v87, 24, 2
	v_and_b32_e32 v189, 0x4040404, v189
	v_sub_u16_e32 v190, v186, v189
	v_sub_u16_sdwa v191, v186, v189 dst_sel:BYTE_1 dst_unused:UNUSED_PAD src0_sel:BYTE_1 src1_sel:BYTE_1
	v_sub_u16_sdwa v87, v87, v189 dst_sel:BYTE_1 dst_unused:UNUSED_PAD src0_sel:DWORD src1_sel:BYTE_3
	v_sub_u16_sdwa v186, v186, v189 dst_sel:DWORD dst_unused:UNUSED_PAD src0_sel:WORD_1 src1_sel:WORD_1
	v_or_b32_sdwa v190, v190, v191 dst_sel:DWORD dst_unused:UNUSED_PAD src0_sel:BYTE_0 src1_sel:DWORD
	v_or_b32_sdwa v87, v186, v87 dst_sel:WORD_1 dst_unused:UNUSED_PAD src0_sel:BYTE_0 src1_sel:DWORD
	v_add_u32_e32 v186, s26, v134
	v_or_b32_sdwa v189, v190, v87 dst_sel:DWORD dst_unused:UNUSED_PAD src0_sel:WORD_0 src1_sel:DWORD
	v_add3_u32 v87, v147, s22, v86
	ds_read_b32 v186, v186
	ds_read_u16 v87, v87 offset:9218
	v_mov_b32_e32 v191, 0
	v_dot4c_i32_i8_e32 v191, v180, v4
	v_dot4c_i32_i8_e32 v191, v182, v5
	;; [unrolled: 1-line block ×3, first 2 shown]
	s_waitcnt lgkmcnt(0)
	v_lshrrev_b16_e32 v192, 8, v87
	v_bfe_i32 v190, v87, 0, 8
	v_mov_b32_e32 v87, 0
	v_dot4c_i32_i8_e32 v87, v185, v0
	v_dot4c_i32_i8_e32 v87, v187, v1
	;; [unrolled: 1-line block ×5, first 2 shown]
	v_bfe_i32 v192, v192, 0, 8
	v_mul_lo_u32 v194, v191, v190
	s_nop 0
	v_mad_u64_u32 v[194:195], s[28:29], v87, v192, v[194:195]
	v_cvt_f32_i32_e32 v191, v194
	v_mul_f32_e32 v87, v84, v186
	v_fmac_f32_e32 v118, v87, v191
	v_add_u32_e32 v87, s25, v136
	ds_read2_b32 v[194:195], v87 offset1:1
	s_waitcnt lgkmcnt(0)
	v_ashrrev_i32_e32 v191, s23, v194
	v_add_u32_e32 v194, 0x4200, v202
	ds_read2_b32 v[196:197], v194 offset1:1
	v_and_b32_e32 v193, 0x3030303, v191
	v_bfe_u32 v191, v191, 24, 2
	s_waitcnt lgkmcnt(0)
	v_ashrrev_i32_e32 v194, s19, v196
	v_lshlrev_b32_e32 v194, 2, v194
	v_and_b32_e32 v194, 0x4040404, v194
	v_sub_u16_e32 v196, v193, v194
	v_sub_u16_sdwa v198, v193, v194 dst_sel:BYTE_1 dst_unused:UNUSED_PAD src0_sel:BYTE_1 src1_sel:BYTE_1
	v_sub_u16_sdwa v191, v191, v194 dst_sel:BYTE_1 dst_unused:UNUSED_PAD src0_sel:DWORD src1_sel:BYTE_3
	v_sub_u16_sdwa v193, v193, v194 dst_sel:DWORD dst_unused:UNUSED_PAD src0_sel:WORD_1 src1_sel:WORD_1
	v_or_b32_sdwa v191, v193, v191 dst_sel:WORD_1 dst_unused:UNUSED_PAD src0_sel:BYTE_0 src1_sel:DWORD
	v_ashrrev_i32_e32 v193, s23, v195
	v_ashrrev_i32_e32 v195, s19, v197
	v_lshlrev_b32_e32 v195, 2, v195
	v_or_b32_sdwa v196, v196, v198 dst_sel:DWORD dst_unused:UNUSED_PAD src0_sel:BYTE_0 src1_sel:DWORD
	v_and_b32_e32 v194, 0x3030303, v193
	v_bfe_u32 v193, v193, 24, 2
	v_and_b32_e32 v195, 0x4040404, v195
	v_or_b32_sdwa v191, v196, v191 dst_sel:DWORD dst_unused:UNUSED_PAD src0_sel:WORD_0 src1_sel:DWORD
	v_sub_u16_e32 v196, v194, v195
	v_sub_u16_sdwa v197, v194, v195 dst_sel:BYTE_1 dst_unused:UNUSED_PAD src0_sel:BYTE_1 src1_sel:BYTE_1
	v_sub_u16_sdwa v193, v193, v195 dst_sel:BYTE_1 dst_unused:UNUSED_PAD src0_sel:DWORD src1_sel:BYTE_3
	v_sub_u16_sdwa v194, v194, v195 dst_sel:DWORD dst_unused:UNUSED_PAD src0_sel:WORD_1 src1_sel:WORD_1
	v_or_b32_sdwa v196, v196, v197 dst_sel:DWORD dst_unused:UNUSED_PAD src0_sel:BYTE_0 src1_sel:DWORD
	v_or_b32_sdwa v193, v194, v193 dst_sel:WORD_1 dst_unused:UNUSED_PAD src0_sel:BYTE_0 src1_sel:DWORD
	ds_read2_b32 v[194:195], v87 offset0:2 offset1:3
	v_or_b32_sdwa v193, v196, v193 dst_sel:DWORD dst_unused:UNUSED_PAD src0_sel:WORD_0 src1_sel:DWORD
	v_add_u32_e32 v196, 0x4208, v202
	ds_read2_b32 v[196:197], v196 offset1:1
	s_waitcnt lgkmcnt(1)
	v_ashrrev_i32_e32 v194, s23, v194
	v_and_b32_e32 v198, 0x3030303, v194
	v_bfe_u32 v194, v194, 24, 2
	s_waitcnt lgkmcnt(0)
	v_ashrrev_i32_e32 v196, s19, v196
	v_lshlrev_b32_e32 v196, 2, v196
	v_and_b32_e32 v196, 0x4040404, v196
	v_ashrrev_i32_e32 v197, s19, v197
	v_sub_u16_e32 v199, v198, v196
	v_sub_u16_sdwa v200, v198, v196 dst_sel:BYTE_1 dst_unused:UNUSED_PAD src0_sel:BYTE_1 src1_sel:BYTE_1
	v_sub_u16_sdwa v194, v194, v196 dst_sel:BYTE_1 dst_unused:UNUSED_PAD src0_sel:DWORD src1_sel:BYTE_3
	v_sub_u16_sdwa v196, v198, v196 dst_sel:DWORD dst_unused:UNUSED_PAD src0_sel:WORD_1 src1_sel:WORD_1
	v_ashrrev_i32_e32 v195, s23, v195
	v_lshlrev_b32_e32 v197, 2, v197
	v_or_b32_sdwa v199, v199, v200 dst_sel:DWORD dst_unused:UNUSED_PAD src0_sel:BYTE_0 src1_sel:DWORD
	v_or_b32_sdwa v194, v196, v194 dst_sel:WORD_1 dst_unused:UNUSED_PAD src0_sel:BYTE_0 src1_sel:DWORD
	v_and_b32_e32 v196, 0x3030303, v195
	v_bfe_u32 v195, v195, 24, 2
	v_and_b32_e32 v197, 0x4040404, v197
	v_or_b32_sdwa v194, v199, v194 dst_sel:DWORD dst_unused:UNUSED_PAD src0_sel:WORD_0 src1_sel:DWORD
	v_sub_u16_e32 v198, v196, v197
	v_sub_u16_sdwa v199, v196, v197 dst_sel:BYTE_1 dst_unused:UNUSED_PAD src0_sel:BYTE_1 src1_sel:BYTE_1
	v_sub_u16_sdwa v195, v195, v197 dst_sel:BYTE_1 dst_unused:UNUSED_PAD src0_sel:DWORD src1_sel:BYTE_3
	v_sub_u16_sdwa v196, v196, v197 dst_sel:DWORD dst_unused:UNUSED_PAD src0_sel:WORD_1 src1_sel:WORD_1
	v_or_b32_sdwa v198, v198, v199 dst_sel:DWORD dst_unused:UNUSED_PAD src0_sel:BYTE_0 src1_sel:DWORD
	v_or_b32_sdwa v195, v196, v195 dst_sel:WORD_1 dst_unused:UNUSED_PAD src0_sel:BYTE_0 src1_sel:DWORD
	ds_read2_b32 v[196:197], v87 offset0:4 offset1:5
	v_or_b32_sdwa v195, v198, v195 dst_sel:DWORD dst_unused:UNUSED_PAD src0_sel:WORD_0 src1_sel:DWORD
	v_add_u32_e32 v198, 0x4210, v202
	ds_read2_b32 v[198:199], v198 offset1:1
	s_waitcnt lgkmcnt(1)
	v_ashrrev_i32_e32 v196, s23, v196
	v_and_b32_e32 v200, 0x3030303, v196
	v_bfe_u32 v196, v196, 24, 2
	s_waitcnt lgkmcnt(0)
	v_ashrrev_i32_e32 v198, s19, v198
	v_lshlrev_b32_e32 v198, 2, v198
	v_and_b32_e32 v198, 0x4040404, v198
	v_ashrrev_i32_e32 v199, s19, v199
	v_sub_u16_e32 v201, v200, v198
	v_sub_u16_sdwa v203, v200, v198 dst_sel:BYTE_1 dst_unused:UNUSED_PAD src0_sel:BYTE_1 src1_sel:BYTE_1
	v_sub_u16_sdwa v196, v196, v198 dst_sel:BYTE_1 dst_unused:UNUSED_PAD src0_sel:DWORD src1_sel:BYTE_3
	v_sub_u16_sdwa v198, v200, v198 dst_sel:DWORD dst_unused:UNUSED_PAD src0_sel:WORD_1 src1_sel:WORD_1
	v_ashrrev_i32_e32 v197, s23, v197
	v_lshlrev_b32_e32 v199, 2, v199
	v_or_b32_sdwa v201, v201, v203 dst_sel:DWORD dst_unused:UNUSED_PAD src0_sel:BYTE_0 src1_sel:DWORD
	v_or_b32_sdwa v196, v198, v196 dst_sel:WORD_1 dst_unused:UNUSED_PAD src0_sel:BYTE_0 src1_sel:DWORD
	v_and_b32_e32 v198, 0x3030303, v197
	v_bfe_u32 v197, v197, 24, 2
	v_and_b32_e32 v199, 0x4040404, v199
	v_or_b32_sdwa v196, v201, v196 dst_sel:DWORD dst_unused:UNUSED_PAD src0_sel:WORD_0 src1_sel:DWORD
	v_sub_u16_e32 v200, v198, v199
	v_sub_u16_sdwa v201, v198, v199 dst_sel:BYTE_1 dst_unused:UNUSED_PAD src0_sel:BYTE_1 src1_sel:BYTE_1
	v_sub_u16_sdwa v197, v197, v199 dst_sel:BYTE_1 dst_unused:UNUSED_PAD src0_sel:DWORD src1_sel:BYTE_3
	v_sub_u16_sdwa v198, v198, v199 dst_sel:DWORD dst_unused:UNUSED_PAD src0_sel:WORD_1 src1_sel:WORD_1
	v_or_b32_sdwa v200, v200, v201 dst_sel:DWORD dst_unused:UNUSED_PAD src0_sel:BYTE_0 src1_sel:DWORD
	v_or_b32_sdwa v197, v198, v197 dst_sel:WORD_1 dst_unused:UNUSED_PAD src0_sel:BYTE_0 src1_sel:DWORD
	v_add_u32_e32 v199, 0x4218, v202
	v_or_b32_sdwa v198, v200, v197 dst_sel:DWORD dst_unused:UNUSED_PAD src0_sel:WORD_0 src1_sel:DWORD
	ds_read2_b32 v[200:201], v87 offset0:6 offset1:7
	ds_read2_b32 v[202:203], v199 offset1:1
	s_waitcnt lgkmcnt(1)
	v_ashrrev_i32_e32 v87, s23, v200
	s_waitcnt lgkmcnt(0)
	v_ashrrev_i32_e32 v199, s19, v202
	v_lshlrev_b32_e32 v199, 2, v199
	v_and_b32_e32 v197, 0x3030303, v87
	v_bfe_u32 v87, v87, 24, 2
	v_and_b32_e32 v199, 0x4040404, v199
	v_sub_u16_e32 v200, v197, v199
	v_sub_u16_sdwa v202, v197, v199 dst_sel:BYTE_1 dst_unused:UNUSED_PAD src0_sel:BYTE_1 src1_sel:BYTE_1
	v_sub_u16_sdwa v87, v87, v199 dst_sel:BYTE_1 dst_unused:UNUSED_PAD src0_sel:DWORD src1_sel:BYTE_3
	v_sub_u16_sdwa v197, v197, v199 dst_sel:DWORD dst_unused:UNUSED_PAD src0_sel:WORD_1 src1_sel:WORD_1
	v_or_b32_sdwa v200, v200, v202 dst_sel:DWORD dst_unused:UNUSED_PAD src0_sel:BYTE_0 src1_sel:DWORD
	v_or_b32_sdwa v87, v197, v87 dst_sel:WORD_1 dst_unused:UNUSED_PAD src0_sel:BYTE_0 src1_sel:DWORD
	s_nop 0
	v_or_b32_sdwa v199, v200, v87 dst_sel:DWORD dst_unused:UNUSED_PAD src0_sel:WORD_0 src1_sel:DWORD
	v_ashrrev_i32_e32 v200, s19, v203
	v_ashrrev_i32_e32 v87, s23, v201
	v_lshlrev_b32_e32 v200, 2, v200
	v_and_b32_e32 v197, 0x3030303, v87
	v_bfe_u32 v87, v87, 24, 2
	v_and_b32_e32 v200, 0x4040404, v200
	v_sub_u16_e32 v201, v197, v200
	v_sub_u16_sdwa v202, v197, v200 dst_sel:BYTE_1 dst_unused:UNUSED_PAD src0_sel:BYTE_1 src1_sel:BYTE_1
	v_sub_u16_sdwa v87, v87, v200 dst_sel:BYTE_1 dst_unused:UNUSED_PAD src0_sel:DWORD src1_sel:BYTE_3
	v_sub_u16_sdwa v197, v197, v200 dst_sel:DWORD dst_unused:UNUSED_PAD src0_sel:WORD_1 src1_sel:WORD_1
	v_or_b32_sdwa v201, v201, v202 dst_sel:DWORD dst_unused:UNUSED_PAD src0_sel:BYTE_0 src1_sel:DWORD
	v_or_b32_sdwa v87, v197, v87 dst_sel:WORD_1 dst_unused:UNUSED_PAD src0_sel:BYTE_0 src1_sel:DWORD
	v_add_u32_e32 v197, s26, v137
	v_or_b32_sdwa v200, v201, v87 dst_sel:DWORD dst_unused:UNUSED_PAD src0_sel:WORD_0 src1_sel:DWORD
	v_add3_u32 v87, v149, s22, v86
	ds_read_b32 v197, v197
	ds_read_u16 v87, v87 offset:10242
	v_mov_b32_e32 v202, 0
	v_dot4c_i32_i8_e32 v202, v191, v4
	v_dot4c_i32_i8_e32 v202, v193, v5
	;; [unrolled: 1-line block ×3, first 2 shown]
	s_waitcnt lgkmcnt(0)
	v_lshrrev_b16_e32 v203, 8, v87
	v_bfe_i32 v201, v87, 0, 8
	v_mov_b32_e32 v87, 0
	v_dot4c_i32_i8_e32 v87, v196, v0
	v_dot4c_i32_i8_e32 v87, v198, v1
	;; [unrolled: 1-line block ×5, first 2 shown]
	v_bfe_i32 v203, v203, 0, 8
	v_mul_lo_u32 v202, v202, v201
	v_add3_u32 v86, v151, s22, v86
	v_mad_u64_u32 v[204:205], s[28:29], v87, v203, v[202:203]
	v_cvt_f32_i32_e32 v202, v204
	v_mul_f32_e32 v87, v84, v197
	v_fmac_f32_e32 v111, v87, v202
	v_add_u32_e32 v87, s25, v139
	ds_read2_b32 v[204:205], v87 offset1:1
	s_waitcnt lgkmcnt(0)
	v_ashrrev_i32_e32 v202, s23, v204
	v_and_b32_e32 v204, 0x3030303, v202
	v_bfe_u32 v202, v202, 24, 2
	v_sub_u16_e32 v208, v204, v206
	v_sub_u16_sdwa v209, v204, v206 dst_sel:BYTE_1 dst_unused:UNUSED_PAD src0_sel:BYTE_1 src1_sel:BYTE_1
	v_sub_u16_sdwa v202, v202, v206 dst_sel:BYTE_1 dst_unused:UNUSED_PAD src0_sel:DWORD src1_sel:BYTE_3
	v_sub_u16_sdwa v204, v204, v206 dst_sel:DWORD dst_unused:UNUSED_PAD src0_sel:WORD_1 src1_sel:WORD_1
	v_ashrrev_i32_e32 v206, s19, v207
	v_or_b32_sdwa v202, v204, v202 dst_sel:WORD_1 dst_unused:UNUSED_PAD src0_sel:BYTE_0 src1_sel:DWORD
	v_ashrrev_i32_e32 v204, s23, v205
	v_lshlrev_b32_e32 v206, 2, v206
	v_or_b32_sdwa v208, v208, v209 dst_sel:DWORD dst_unused:UNUSED_PAD src0_sel:BYTE_0 src1_sel:DWORD
	v_and_b32_e32 v205, 0x3030303, v204
	v_bfe_u32 v204, v204, 24, 2
	v_and_b32_e32 v206, 0x4040404, v206
	v_or_b32_sdwa v202, v208, v202 dst_sel:DWORD dst_unused:UNUSED_PAD src0_sel:WORD_0 src1_sel:DWORD
	v_sub_u16_e32 v207, v205, v206
	v_sub_u16_sdwa v208, v205, v206 dst_sel:BYTE_1 dst_unused:UNUSED_PAD src0_sel:BYTE_1 src1_sel:BYTE_1
	v_sub_u16_sdwa v204, v204, v206 dst_sel:BYTE_1 dst_unused:UNUSED_PAD src0_sel:DWORD src1_sel:BYTE_3
	v_sub_u16_sdwa v205, v205, v206 dst_sel:DWORD dst_unused:UNUSED_PAD src0_sel:WORD_1 src1_sel:WORD_1
	v_or_b32_sdwa v207, v207, v208 dst_sel:DWORD dst_unused:UNUSED_PAD src0_sel:BYTE_0 src1_sel:DWORD
	v_or_b32_sdwa v204, v205, v204 dst_sel:WORD_1 dst_unused:UNUSED_PAD src0_sel:BYTE_0 src1_sel:DWORD
	v_add_u32_e32 v208, 0x4208, v212
	v_or_b32_sdwa v204, v207, v204 dst_sel:DWORD dst_unused:UNUSED_PAD src0_sel:WORD_0 src1_sel:DWORD
	ds_read2_b32 v[206:207], v87 offset0:2 offset1:3
	ds_read2_b32 v[208:209], v208 offset1:1
	s_waitcnt lgkmcnt(1)
	v_ashrrev_i32_e32 v205, s23, v206
	s_waitcnt lgkmcnt(0)
	v_ashrrev_i32_e32 v208, s19, v208
	v_lshlrev_b32_e32 v208, 2, v208
	v_and_b32_e32 v206, 0x3030303, v205
	v_bfe_u32 v205, v205, 24, 2
	v_and_b32_e32 v208, 0x4040404, v208
	v_sub_u16_e32 v210, v206, v208
	v_sub_u16_sdwa v211, v206, v208 dst_sel:BYTE_1 dst_unused:UNUSED_PAD src0_sel:BYTE_1 src1_sel:BYTE_1
	v_sub_u16_sdwa v205, v205, v208 dst_sel:BYTE_1 dst_unused:UNUSED_PAD src0_sel:DWORD src1_sel:BYTE_3
	v_sub_u16_sdwa v206, v206, v208 dst_sel:DWORD dst_unused:UNUSED_PAD src0_sel:WORD_1 src1_sel:WORD_1
	v_ashrrev_i32_e32 v208, s19, v209
	v_or_b32_sdwa v205, v206, v205 dst_sel:WORD_1 dst_unused:UNUSED_PAD src0_sel:BYTE_0 src1_sel:DWORD
	v_ashrrev_i32_e32 v206, s23, v207
	v_lshlrev_b32_e32 v208, 2, v208
	v_or_b32_sdwa v210, v210, v211 dst_sel:DWORD dst_unused:UNUSED_PAD src0_sel:BYTE_0 src1_sel:DWORD
	v_and_b32_e32 v207, 0x3030303, v206
	v_bfe_u32 v206, v206, 24, 2
	v_and_b32_e32 v208, 0x4040404, v208
	v_or_b32_sdwa v205, v210, v205 dst_sel:DWORD dst_unused:UNUSED_PAD src0_sel:WORD_0 src1_sel:DWORD
	v_sub_u16_e32 v209, v207, v208
	v_sub_u16_sdwa v210, v207, v208 dst_sel:BYTE_1 dst_unused:UNUSED_PAD src0_sel:BYTE_1 src1_sel:BYTE_1
	v_sub_u16_sdwa v206, v206, v208 dst_sel:BYTE_1 dst_unused:UNUSED_PAD src0_sel:DWORD src1_sel:BYTE_3
	v_sub_u16_sdwa v207, v207, v208 dst_sel:DWORD dst_unused:UNUSED_PAD src0_sel:WORD_1 src1_sel:WORD_1
	v_or_b32_sdwa v209, v209, v210 dst_sel:DWORD dst_unused:UNUSED_PAD src0_sel:BYTE_0 src1_sel:DWORD
	v_or_b32_sdwa v206, v207, v206 dst_sel:WORD_1 dst_unused:UNUSED_PAD src0_sel:BYTE_0 src1_sel:DWORD
	v_add_u32_e32 v210, 0x4210, v212
	v_or_b32_sdwa v206, v209, v206 dst_sel:DWORD dst_unused:UNUSED_PAD src0_sel:WORD_0 src1_sel:DWORD
	ds_read2_b32 v[208:209], v87 offset0:4 offset1:5
	ds_read2_b32 v[210:211], v210 offset1:1
	s_waitcnt lgkmcnt(1)
	v_ashrrev_i32_e32 v207, s23, v208
	s_waitcnt lgkmcnt(0)
	v_ashrrev_i32_e32 v210, s19, v210
	v_lshlrev_b32_e32 v210, 2, v210
	v_and_b32_e32 v208, 0x3030303, v207
	v_bfe_u32 v207, v207, 24, 2
	v_and_b32_e32 v210, 0x4040404, v210
	v_sub_u16_e32 v213, v208, v210
	v_sub_u16_sdwa v214, v208, v210 dst_sel:BYTE_1 dst_unused:UNUSED_PAD src0_sel:BYTE_1 src1_sel:BYTE_1
	v_sub_u16_sdwa v207, v207, v210 dst_sel:BYTE_1 dst_unused:UNUSED_PAD src0_sel:DWORD src1_sel:BYTE_3
	v_sub_u16_sdwa v208, v208, v210 dst_sel:DWORD dst_unused:UNUSED_PAD src0_sel:WORD_1 src1_sel:WORD_1
	v_ashrrev_i32_e32 v210, s19, v211
	v_or_b32_sdwa v207, v208, v207 dst_sel:WORD_1 dst_unused:UNUSED_PAD src0_sel:BYTE_0 src1_sel:DWORD
	v_ashrrev_i32_e32 v208, s23, v209
	v_lshlrev_b32_e32 v210, 2, v210
	v_or_b32_sdwa v213, v213, v214 dst_sel:DWORD dst_unused:UNUSED_PAD src0_sel:BYTE_0 src1_sel:DWORD
	v_and_b32_e32 v209, 0x3030303, v208
	v_bfe_u32 v208, v208, 24, 2
	v_and_b32_e32 v210, 0x4040404, v210
	v_or_b32_sdwa v207, v213, v207 dst_sel:DWORD dst_unused:UNUSED_PAD src0_sel:WORD_0 src1_sel:DWORD
	v_sub_u16_e32 v211, v209, v210
	v_sub_u16_sdwa v213, v209, v210 dst_sel:BYTE_1 dst_unused:UNUSED_PAD src0_sel:BYTE_1 src1_sel:BYTE_1
	v_sub_u16_sdwa v208, v208, v210 dst_sel:BYTE_1 dst_unused:UNUSED_PAD src0_sel:DWORD src1_sel:BYTE_3
	v_sub_u16_sdwa v209, v209, v210 dst_sel:DWORD dst_unused:UNUSED_PAD src0_sel:WORD_1 src1_sel:WORD_1
	v_or_b32_sdwa v211, v211, v213 dst_sel:DWORD dst_unused:UNUSED_PAD src0_sel:BYTE_0 src1_sel:DWORD
	v_or_b32_sdwa v208, v209, v208 dst_sel:WORD_1 dst_unused:UNUSED_PAD src0_sel:BYTE_0 src1_sel:DWORD
	s_nop 0
	v_or_b32_sdwa v209, v211, v208 dst_sel:DWORD dst_unused:UNUSED_PAD src0_sel:WORD_0 src1_sel:DWORD
	ds_read2_b32 v[210:211], v87 offset0:6 offset1:7
	s_waitcnt lgkmcnt(0)
	v_ashrrev_i32_e32 v87, s23, v210
	v_add_u32_e32 v210, 0x4218, v212
	ds_read2_b32 v[212:213], v210 offset1:1
	v_and_b32_e32 v208, 0x3030303, v87
	v_bfe_u32 v87, v87, 24, 2
	s_waitcnt lgkmcnt(0)
	v_ashrrev_i32_e32 v210, s19, v212
	v_lshlrev_b32_e32 v210, 2, v210
	v_and_b32_e32 v210, 0x4040404, v210
	v_sub_u16_e32 v212, v208, v210
	v_sub_u16_sdwa v214, v208, v210 dst_sel:BYTE_1 dst_unused:UNUSED_PAD src0_sel:BYTE_1 src1_sel:BYTE_1
	v_sub_u16_sdwa v87, v87, v210 dst_sel:BYTE_1 dst_unused:UNUSED_PAD src0_sel:DWORD src1_sel:BYTE_3
	v_sub_u16_sdwa v208, v208, v210 dst_sel:DWORD dst_unused:UNUSED_PAD src0_sel:WORD_1 src1_sel:WORD_1
	v_or_b32_sdwa v212, v212, v214 dst_sel:DWORD dst_unused:UNUSED_PAD src0_sel:BYTE_0 src1_sel:DWORD
	v_or_b32_sdwa v87, v208, v87 dst_sel:WORD_1 dst_unused:UNUSED_PAD src0_sel:BYTE_0 src1_sel:DWORD
	s_nop 0
	v_or_b32_sdwa v210, v212, v87 dst_sel:DWORD dst_unused:UNUSED_PAD src0_sel:WORD_0 src1_sel:DWORD
	v_ashrrev_i32_e32 v87, s23, v211
	v_ashrrev_i32_e32 v211, s19, v213
	v_lshlrev_b32_e32 v211, 2, v211
	v_and_b32_e32 v208, 0x3030303, v87
	v_bfe_u32 v87, v87, 24, 2
	v_and_b32_e32 v211, 0x4040404, v211
	v_sub_u16_e32 v212, v208, v211
	v_sub_u16_sdwa v213, v208, v211 dst_sel:BYTE_1 dst_unused:UNUSED_PAD src0_sel:BYTE_1 src1_sel:BYTE_1
	v_sub_u16_sdwa v87, v87, v211 dst_sel:BYTE_1 dst_unused:UNUSED_PAD src0_sel:DWORD src1_sel:BYTE_3
	v_sub_u16_sdwa v208, v208, v211 dst_sel:DWORD dst_unused:UNUSED_PAD src0_sel:WORD_1 src1_sel:WORD_1
	v_or_b32_sdwa v212, v212, v213 dst_sel:DWORD dst_unused:UNUSED_PAD src0_sel:BYTE_0 src1_sel:DWORD
	v_or_b32_sdwa v87, v208, v87 dst_sel:WORD_1 dst_unused:UNUSED_PAD src0_sel:BYTE_0 src1_sel:DWORD
	s_add_i32 s19, s19, 1
	v_or_b32_sdwa v211, v212, v87 dst_sel:DWORD dst_unused:UNUSED_PAD src0_sel:WORD_0 src1_sel:DWORD
	v_add_u32_e32 v87, s26, v140
	ds_read_b32 v208, v87
	v_mov_b32_e32 v87, 0
	v_dot4c_i32_i8_e32 v87, v202, v4
	ds_read_u16 v4, v86 offset:11266
	v_dot4c_i32_i8_e32 v87, v204, v5
	v_dot4c_i32_i8_e32 v87, v205, v6
	v_mov_b32_e32 v6, 0
	v_dot4c_i32_i8_e32 v6, v207, v0
	v_dot4c_i32_i8_e32 v6, v209, v1
	;; [unrolled: 1-line block ×3, first 2 shown]
	s_waitcnt lgkmcnt(0)
	v_lshrrev_b16_e32 v5, 8, v4
	v_bfe_i32 v212, v4, 0, 8
	v_dot4c_i32_i8_e32 v6, v210, v2
	v_mul_lo_u32 v4, v87, v212
	v_dot4c_i32_i8_e32 v6, v211, v3
	v_bfe_i32 v213, v5, 0, 8
	v_mov_b32_e32 v86, 0
	s_cmp_lt_u32 s21, 14
	v_mad_u64_u32 v[0:1], s[22:23], v6, v213, v[4:5]
	v_cvt_f32_i32_e32 v0, v0
	v_mul_f32_e32 v1, v84, v208
	v_mov_b32_e32 v84, 0
	v_fmac_f32_e32 v106, v1, v0
	ds_read_b128 v[0:3], v168 offset:26368
	ds_read_b128 v[4:7], v168 offset:26384
	s_waitcnt lgkmcnt(1)
	v_dot4c_i32_i8_e32 v84, v170, v0
	v_dot4c_i32_i8_e32 v84, v171, v1
	s_waitcnt lgkmcnt(0)
	v_dot4c_i32_i8_e32 v86, v175, v4
	v_dot4c_i32_i8_e32 v84, v172, v2
	;; [unrolled: 1-line block ×6, first 2 shown]
	s_nop 0
	v_mul_lo_u32 v84, v84, v179
	s_nop 0
	v_mad_u64_u32 v[86:87], s[22:23], v86, v181, v[84:85]
	v_cvt_f32_i32_e32 v86, v86
	v_mul_f32_e32 v84, v174, v85
	v_fmac_f32_e32 v105, v84, v86
	v_mov_b32_e32 v84, 0
	v_dot4c_i32_i8_e32 v84, v180, v0
	v_mov_b32_e32 v86, 0
	v_dot4c_i32_i8_e32 v84, v182, v1
	v_dot4c_i32_i8_e32 v86, v185, v4
	;; [unrolled: 1-line block ×7, first 2 shown]
	s_nop 0
	v_mul_lo_u32 v84, v84, v190
	s_nop 0
	v_mad_u64_u32 v[86:87], s[22:23], v86, v192, v[84:85]
	v_cvt_f32_i32_e32 v86, v86
	v_mul_f32_e32 v84, v186, v85
	v_fmac_f32_e32 v104, v84, v86
	v_mov_b32_e32 v84, 0
	v_dot4c_i32_i8_e32 v84, v191, v0
	v_mov_b32_e32 v86, 0
	v_dot4c_i32_i8_e32 v84, v193, v1
	v_dot4c_i32_i8_e32 v86, v196, v4
	;; [unrolled: 1-line block ×7, first 2 shown]
	s_nop 0
	v_mul_lo_u32 v84, v84, v201
	s_nop 0
	v_mad_u64_u32 v[86:87], s[22:23], v86, v203, v[84:85]
	v_cvt_f32_i32_e32 v86, v86
	v_mul_f32_e32 v84, v197, v85
	v_fmac_f32_e32 v101, v84, v86
	v_mov_b32_e32 v84, 0
	v_dot4c_i32_i8_e32 v84, v202, v0
	v_dot4c_i32_i8_e32 v84, v204, v1
	v_mov_b32_e32 v1, 0
	v_dot4c_i32_i8_e32 v1, v207, v4
	v_dot4c_i32_i8_e32 v84, v205, v2
	v_dot4c_i32_i8_e32 v1, v209, v5
	v_dot4c_i32_i8_e32 v84, v206, v3
	v_dot4c_i32_i8_e32 v1, v210, v6
	v_dot4c_i32_i8_e32 v1, v211, v7
	s_nop 0
	v_mul_lo_u32 v0, v84, v212
	s_nop 0
	v_mad_u64_u32 v[0:1], s[22:23], v1, v213, v[0:1]
	v_cvt_f32_i32_e32 v0, v0
	v_mul_f32_e32 v1, v208, v85
	v_fmac_f32_e32 v99, v1, v0
	v_add_u32_e32 v0, 0x9800, v169
	ds_read2_b32 v[6:7], v0 offset0:40 offset1:72
	ds_read_b128 v[2:5], v168 offset:27392
	ds_read_b128 v[84:87], v168 offset:27408
	v_mov_b32_e32 v1, 0
	v_add_u32_e32 v169, 4, v169
	s_waitcnt lgkmcnt(1)
	v_dot4c_i32_i8_e32 v1, v170, v2
	v_dot4c_i32_i8_e32 v1, v171, v3
	;; [unrolled: 1-line block ×4, first 2 shown]
	s_nop 2
	v_mul_lo_u32 v214, v1, v179
	v_mov_b32_e32 v1, 0
	s_waitcnt lgkmcnt(0)
	v_dot4c_i32_i8_e32 v1, v175, v84
	v_dot4c_i32_i8_e32 v1, v176, v85
	;; [unrolled: 1-line block ×4, first 2 shown]
	s_nop 2
	v_mad_u64_u32 v[214:215], s[22:23], v1, v181, v[214:215]
	v_cvt_f32_i32_e32 v214, v214
	v_mul_f32_e32 v1, v174, v6
                                        ; kill: def $vgpr215 killed $sgpr0 killed $exec
	v_fmac_f32_e32 v98, v1, v214
	v_mov_b32_e32 v1, 0
	v_dot4c_i32_i8_e32 v1, v180, v2
	v_dot4c_i32_i8_e32 v1, v182, v3
	;; [unrolled: 1-line block ×4, first 2 shown]
	s_nop 2
	v_mul_lo_u32 v214, v1, v190
	v_mov_b32_e32 v1, 0
	v_dot4c_i32_i8_e32 v1, v185, v84
	v_dot4c_i32_i8_e32 v1, v187, v85
	;; [unrolled: 1-line block ×4, first 2 shown]
	s_nop 2
	v_mad_u64_u32 v[214:215], s[22:23], v1, v192, v[214:215]
	v_cvt_f32_i32_e32 v214, v214
	v_mul_f32_e32 v1, v186, v6
                                        ; kill: def $vgpr215 killed $sgpr0 killed $exec
	v_fmac_f32_e32 v97, v1, v214
	v_mov_b32_e32 v1, 0
	v_dot4c_i32_i8_e32 v1, v191, v2
	v_dot4c_i32_i8_e32 v1, v193, v3
	;; [unrolled: 1-line block ×4, first 2 shown]
	s_nop 2
	v_mul_lo_u32 v214, v1, v201
	v_mov_b32_e32 v1, 0
	v_dot4c_i32_i8_e32 v1, v196, v84
	v_dot4c_i32_i8_e32 v1, v198, v85
	;; [unrolled: 1-line block ×4, first 2 shown]
	s_nop 2
	v_mad_u64_u32 v[214:215], s[22:23], v1, v203, v[214:215]
	v_cvt_f32_i32_e32 v214, v214
	v_mul_f32_e32 v1, v197, v6
	v_fmac_f32_e32 v96, v1, v214
	v_mov_b32_e32 v1, 0
	v_dot4c_i32_i8_e32 v1, v202, v2
	v_dot4c_i32_i8_e32 v1, v204, v3
	;; [unrolled: 1-line block ×4, first 2 shown]
                                        ; kill: def $vgpr3 killed $sgpr0 killed $exec
	s_nop 2
	v_mul_lo_u32 v2, v1, v212
	v_mov_b32_e32 v1, 0
	v_dot4c_i32_i8_e32 v1, v207, v84
	v_dot4c_i32_i8_e32 v1, v209, v85
	;; [unrolled: 1-line block ×4, first 2 shown]
	s_nop 2
	v_mad_u64_u32 v[2:3], s[22:23], v1, v213, v[2:3]
	v_cvt_f32_i32_e32 v2, v2
	v_mul_f32_e32 v1, v208, v6
	v_fmac_f32_e32 v83, v1, v2
	ds_read_b128 v[2:5], v168 offset:28416
	ds_read_b128 v[84:87], v168 offset:28432
	v_mov_b32_e32 v1, 0
	s_waitcnt lgkmcnt(1)
	v_dot4c_i32_i8_e32 v1, v170, v2
	v_dot4c_i32_i8_e32 v1, v171, v3
	;; [unrolled: 1-line block ×4, first 2 shown]
	s_nop 2
	v_mul_lo_u32 v6, v1, v179
	v_mov_b32_e32 v1, 0
	s_waitcnt lgkmcnt(0)
	v_dot4c_i32_i8_e32 v1, v175, v84
	v_dot4c_i32_i8_e32 v1, v176, v85
	;; [unrolled: 1-line block ×4, first 2 shown]
	s_nop 2
	v_mad_u64_u32 v[214:215], s[22:23], v1, v181, v[6:7]
	v_cvt_f32_i32_e32 v6, v214
	v_mul_f32_e32 v1, v174, v7
	v_fmac_f32_e32 v77, v1, v6
	v_mov_b32_e32 v1, 0
	v_dot4c_i32_i8_e32 v1, v180, v2
	v_dot4c_i32_i8_e32 v1, v182, v3
	;; [unrolled: 1-line block ×4, first 2 shown]
	s_nop 2
	v_mul_lo_u32 v6, v1, v190
	v_mov_b32_e32 v1, 0
	v_dot4c_i32_i8_e32 v1, v185, v84
	v_dot4c_i32_i8_e32 v1, v187, v85
	;; [unrolled: 1-line block ×4, first 2 shown]
	s_nop 2
	v_mad_u64_u32 v[214:215], s[22:23], v1, v192, v[6:7]
	v_cvt_f32_i32_e32 v6, v214
	v_mul_f32_e32 v1, v186, v7
	v_fmac_f32_e32 v63, v1, v6
	v_mov_b32_e32 v1, 0
	v_dot4c_i32_i8_e32 v1, v191, v2
	v_dot4c_i32_i8_e32 v1, v193, v3
	;; [unrolled: 1-line block ×4, first 2 shown]
	s_nop 2
	v_mul_lo_u32 v6, v1, v201
	v_mov_b32_e32 v1, 0
	v_dot4c_i32_i8_e32 v1, v196, v84
	v_dot4c_i32_i8_e32 v1, v198, v85
	v_dot4c_i32_i8_e32 v1, v199, v86
	v_dot4c_i32_i8_e32 v1, v200, v87
	s_nop 2
	v_mad_u64_u32 v[214:215], s[22:23], v1, v203, v[6:7]
	v_cvt_f32_i32_e32 v6, v214
	v_mul_f32_e32 v1, v197, v7
                                        ; kill: def $vgpr215 killed $sgpr0 killed $exec
	v_fmac_f32_e32 v53, v1, v6
	v_mov_b32_e32 v1, 0
	v_dot4c_i32_i8_e32 v1, v202, v2
	v_dot4c_i32_i8_e32 v1, v204, v3
	;; [unrolled: 1-line block ×4, first 2 shown]
                                        ; kill: def $vgpr3 killed $sgpr0 killed $exec
	s_nop 2
	v_mul_lo_u32 v2, v1, v212
	v_mov_b32_e32 v1, 0
	v_dot4c_i32_i8_e32 v1, v207, v84
	v_dot4c_i32_i8_e32 v1, v209, v85
	;; [unrolled: 1-line block ×4, first 2 shown]
	s_nop 2
	v_mad_u64_u32 v[2:3], s[22:23], v1, v213, v[2:3]
	v_cvt_f32_i32_e32 v2, v2
	v_mul_f32_e32 v1, v208, v7
	v_fmac_f32_e32 v47, v1, v2
	ds_read2_b32 v[6:7], v0 offset0:104 offset1:136
	ds_read_b128 v[2:5], v168 offset:29440
	ds_read_b128 v[84:87], v168 offset:29456
	v_mov_b32_e32 v1, 0
	s_waitcnt lgkmcnt(1)
	v_dot4c_i32_i8_e32 v1, v170, v2
	v_dot4c_i32_i8_e32 v1, v171, v3
	v_dot4c_i32_i8_e32 v1, v172, v4
	v_dot4c_i32_i8_e32 v1, v173, v5
	s_nop 2
	v_mul_lo_u32 v214, v1, v179
	v_mov_b32_e32 v1, 0
	s_waitcnt lgkmcnt(0)
	v_dot4c_i32_i8_e32 v1, v175, v84
	v_dot4c_i32_i8_e32 v1, v176, v85
	;; [unrolled: 1-line block ×4, first 2 shown]
	s_nop 2
	v_mad_u64_u32 v[214:215], s[22:23], v1, v181, v[214:215]
	v_cvt_f32_i32_e32 v214, v214
	v_mul_f32_e32 v1, v174, v6
                                        ; kill: def $vgpr215 killed $sgpr0 killed $exec
	v_fmac_f32_e32 v45, v1, v214
	v_mov_b32_e32 v1, 0
	v_dot4c_i32_i8_e32 v1, v180, v2
	v_dot4c_i32_i8_e32 v1, v182, v3
	;; [unrolled: 1-line block ×4, first 2 shown]
	s_nop 2
	v_mul_lo_u32 v214, v1, v190
	v_mov_b32_e32 v1, 0
	v_dot4c_i32_i8_e32 v1, v185, v84
	v_dot4c_i32_i8_e32 v1, v187, v85
	;; [unrolled: 1-line block ×4, first 2 shown]
	s_nop 2
	v_mad_u64_u32 v[214:215], s[22:23], v1, v192, v[214:215]
	v_cvt_f32_i32_e32 v214, v214
	v_mul_f32_e32 v1, v186, v6
                                        ; kill: def $vgpr215 killed $sgpr0 killed $exec
	v_fmac_f32_e32 v43, v1, v214
	v_mov_b32_e32 v1, 0
	v_dot4c_i32_i8_e32 v1, v191, v2
	v_dot4c_i32_i8_e32 v1, v193, v3
	;; [unrolled: 1-line block ×4, first 2 shown]
	s_nop 2
	v_mul_lo_u32 v214, v1, v201
	v_mov_b32_e32 v1, 0
	v_dot4c_i32_i8_e32 v1, v196, v84
	v_dot4c_i32_i8_e32 v1, v198, v85
	;; [unrolled: 1-line block ×4, first 2 shown]
	s_nop 2
	v_mad_u64_u32 v[214:215], s[22:23], v1, v203, v[214:215]
	v_cvt_f32_i32_e32 v214, v214
	v_mul_f32_e32 v1, v197, v6
	v_fmac_f32_e32 v41, v1, v214
	v_mov_b32_e32 v1, 0
	v_dot4c_i32_i8_e32 v1, v202, v2
	v_dot4c_i32_i8_e32 v1, v204, v3
	v_dot4c_i32_i8_e32 v1, v205, v4
	v_dot4c_i32_i8_e32 v1, v206, v5
                                        ; kill: def $vgpr3 killed $sgpr0 killed $exec
	s_nop 2
	v_mul_lo_u32 v2, v1, v212
	v_mov_b32_e32 v1, 0
	v_dot4c_i32_i8_e32 v1, v207, v84
	v_dot4c_i32_i8_e32 v1, v209, v85
	v_dot4c_i32_i8_e32 v1, v210, v86
	v_dot4c_i32_i8_e32 v1, v211, v87
	s_nop 2
	v_mad_u64_u32 v[2:3], s[22:23], v1, v213, v[2:3]
	v_cvt_f32_i32_e32 v2, v2
	v_mul_f32_e32 v1, v208, v6
	v_fmac_f32_e32 v39, v1, v2
	ds_read_b128 v[2:5], v168 offset:30464
	ds_read_b128 v[84:87], v168 offset:30480
	v_mov_b32_e32 v1, 0
	s_waitcnt lgkmcnt(1)
	v_dot4c_i32_i8_e32 v1, v170, v2
	v_dot4c_i32_i8_e32 v1, v171, v3
	;; [unrolled: 1-line block ×4, first 2 shown]
	s_nop 2
	v_mul_lo_u32 v6, v1, v179
	v_mov_b32_e32 v1, 0
	s_waitcnt lgkmcnt(0)
	v_dot4c_i32_i8_e32 v1, v175, v84
	v_dot4c_i32_i8_e32 v1, v176, v85
	;; [unrolled: 1-line block ×4, first 2 shown]
	s_nop 2
	v_mad_u64_u32 v[214:215], s[22:23], v1, v181, v[6:7]
	v_cvt_f32_i32_e32 v6, v214
	v_mul_f32_e32 v1, v174, v7
	v_fmac_f32_e32 v37, v1, v6
	v_mov_b32_e32 v1, 0
	v_dot4c_i32_i8_e32 v1, v180, v2
	v_dot4c_i32_i8_e32 v1, v182, v3
	;; [unrolled: 1-line block ×4, first 2 shown]
	s_nop 2
	v_mul_lo_u32 v6, v1, v190
	v_mov_b32_e32 v1, 0
	v_dot4c_i32_i8_e32 v1, v185, v84
	v_dot4c_i32_i8_e32 v1, v187, v85
	;; [unrolled: 1-line block ×4, first 2 shown]
	s_nop 2
	v_mad_u64_u32 v[214:215], s[22:23], v1, v192, v[6:7]
	v_cvt_f32_i32_e32 v6, v214
	v_mul_f32_e32 v1, v186, v7
	v_fmac_f32_e32 v35, v1, v6
	v_mov_b32_e32 v1, 0
	v_dot4c_i32_i8_e32 v1, v191, v2
	v_dot4c_i32_i8_e32 v1, v193, v3
	;; [unrolled: 1-line block ×4, first 2 shown]
	s_nop 2
	v_mul_lo_u32 v6, v1, v201
	v_mov_b32_e32 v1, 0
	v_dot4c_i32_i8_e32 v1, v196, v84
	v_dot4c_i32_i8_e32 v1, v198, v85
	v_dot4c_i32_i8_e32 v1, v199, v86
	v_dot4c_i32_i8_e32 v1, v200, v87
	s_nop 2
	v_mad_u64_u32 v[214:215], s[22:23], v1, v203, v[6:7]
	v_cvt_f32_i32_e32 v6, v214
	v_mul_f32_e32 v1, v197, v7
	v_fmac_f32_e32 v33, v1, v6
	v_mov_b32_e32 v1, 0
	v_dot4c_i32_i8_e32 v1, v202, v2
	v_dot4c_i32_i8_e32 v1, v204, v3
	;; [unrolled: 1-line block ×4, first 2 shown]
                                        ; kill: def $vgpr3 killed $sgpr0 killed $exec
	s_nop 2
	v_mul_lo_u32 v2, v1, v212
	v_mov_b32_e32 v1, 0
	v_dot4c_i32_i8_e32 v1, v207, v84
	v_dot4c_i32_i8_e32 v1, v209, v85
	;; [unrolled: 1-line block ×4, first 2 shown]
	v_mov_b32_e32 v86, 0
	v_mov_b32_e32 v87, 0
	s_nop 0
	v_mad_u64_u32 v[2:3], s[22:23], v1, v213, v[2:3]
	v_cvt_f32_i32_e32 v2, v2
	v_mul_f32_e32 v1, v208, v7
	v_fmac_f32_e32 v29, v1, v2
	ds_read2_b32 v[84:85], v0 offset0:168 offset1:200
	ds_read_b128 v[4:7], v168 offset:31488
	ds_read_b128 v[0:3], v168 offset:31504
	s_waitcnt lgkmcnt(1)
	v_dot4c_i32_i8_e32 v86, v170, v4
	v_dot4c_i32_i8_e32 v86, v171, v5
	s_waitcnt lgkmcnt(0)
	v_dot4c_i32_i8_e32 v87, v175, v0
	v_dot4c_i32_i8_e32 v86, v172, v6
	;; [unrolled: 1-line block ×6, first 2 shown]
	s_nop 0
	v_mul_lo_u32 v86, v86, v179
	s_nop 0
	v_mad_u64_u32 v[86:87], s[22:23], v87, v181, v[86:87]
	v_cvt_f32_i32_e32 v86, v86
	v_mul_f32_e32 v87, v174, v84
	v_fmac_f32_e32 v25, v87, v86
	v_mov_b32_e32 v86, 0
	v_dot4c_i32_i8_e32 v86, v180, v4
	v_mov_b32_e32 v87, 0
	v_dot4c_i32_i8_e32 v86, v182, v5
	v_dot4c_i32_i8_e32 v87, v185, v0
	;; [unrolled: 1-line block ×7, first 2 shown]
	s_nop 0
	v_mul_lo_u32 v86, v86, v190
	s_nop 0
	v_mad_u64_u32 v[86:87], s[22:23], v87, v192, v[86:87]
	v_cvt_f32_i32_e32 v86, v86
	v_mul_f32_e32 v87, v186, v84
	v_fmac_f32_e32 v23, v87, v86
	v_mov_b32_e32 v86, 0
	v_dot4c_i32_i8_e32 v86, v191, v4
	v_mov_b32_e32 v87, 0
	v_dot4c_i32_i8_e32 v86, v193, v5
	v_dot4c_i32_i8_e32 v87, v196, v0
	;; [unrolled: 1-line block ×7, first 2 shown]
	s_nop 0
	v_mul_lo_u32 v86, v86, v201
	s_nop 0
	v_mad_u64_u32 v[86:87], s[22:23], v87, v203, v[86:87]
	v_cvt_f32_i32_e32 v86, v86
	v_mul_f32_e32 v87, v197, v84
	v_fmac_f32_e32 v21, v87, v86
	v_mov_b32_e32 v86, 0
	v_dot4c_i32_i8_e32 v86, v202, v4
	v_dot4c_i32_i8_e32 v86, v204, v5
	v_mov_b32_e32 v5, 0
	v_dot4c_i32_i8_e32 v5, v207, v0
	v_dot4c_i32_i8_e32 v86, v205, v6
	;; [unrolled: 1-line block ×6, first 2 shown]
	s_nop 0
	v_mul_lo_u32 v4, v86, v212
	v_mov_b32_e32 v86, 0
	v_mad_u64_u32 v[0:1], s[22:23], v5, v213, v[4:5]
	v_cvt_f32_i32_e32 v0, v0
	v_mul_f32_e32 v1, v208, v84
	v_mov_b32_e32 v84, 0
	v_fmac_f32_e32 v19, v1, v0
	ds_read_b128 v[0:3], v168 offset:32512
	ds_read_b128 v[4:7], v168 offset:32528
	v_add_u32_e32 v168, 32, v168
	s_waitcnt lgkmcnt(1)
	v_dot4c_i32_i8_e32 v84, v170, v0
	v_dot4c_i32_i8_e32 v84, v171, v1
	s_waitcnt lgkmcnt(0)
	v_dot4c_i32_i8_e32 v86, v175, v4
	v_dot4c_i32_i8_e32 v84, v172, v2
	;; [unrolled: 1-line block ×6, first 2 shown]
	s_nop 0
	v_mul_lo_u32 v84, v84, v179
	s_nop 0
	v_mad_u64_u32 v[86:87], s[22:23], v86, v181, v[84:85]
	v_cvt_f32_i32_e32 v86, v86
	v_mul_f32_e32 v84, v174, v85
	v_fmac_f32_e32 v17, v84, v86
	v_mov_b32_e32 v84, 0
	v_dot4c_i32_i8_e32 v84, v180, v0
	v_mov_b32_e32 v86, 0
	v_dot4c_i32_i8_e32 v84, v182, v1
	v_dot4c_i32_i8_e32 v86, v185, v4
	v_dot4c_i32_i8_e32 v84, v183, v2
	v_dot4c_i32_i8_e32 v86, v187, v5
	v_dot4c_i32_i8_e32 v84, v184, v3
	v_dot4c_i32_i8_e32 v86, v188, v6
	v_dot4c_i32_i8_e32 v86, v189, v7
	s_nop 0
	v_mul_lo_u32 v84, v84, v190
	s_nop 0
	v_mad_u64_u32 v[86:87], s[22:23], v86, v192, v[84:85]
	v_cvt_f32_i32_e32 v86, v86
	v_mul_f32_e32 v84, v186, v85
	v_fmac_f32_e32 v15, v84, v86
	v_mov_b32_e32 v84, 0
	v_dot4c_i32_i8_e32 v84, v191, v0
	v_mov_b32_e32 v86, 0
	v_dot4c_i32_i8_e32 v84, v193, v1
	v_dot4c_i32_i8_e32 v86, v196, v4
	;; [unrolled: 1-line block ×7, first 2 shown]
	s_nop 0
	v_mul_lo_u32 v84, v84, v201
	s_nop 0
	v_mad_u64_u32 v[86:87], s[22:23], v86, v203, v[84:85]
	v_cvt_f32_i32_e32 v86, v86
	v_mul_f32_e32 v84, v197, v85
	v_fmac_f32_e32 v13, v84, v86
	v_mov_b32_e32 v84, 0
	v_dot4c_i32_i8_e32 v84, v202, v0
	v_dot4c_i32_i8_e32 v84, v204, v1
	v_mov_b32_e32 v1, 0
	v_dot4c_i32_i8_e32 v1, v207, v4
	v_dot4c_i32_i8_e32 v84, v205, v2
	;; [unrolled: 1-line block ×6, first 2 shown]
	s_nop 0
	v_mul_lo_u32 v0, v84, v212
	s_nop 0
	v_mad_u64_u32 v[0:1], s[22:23], v1, v213, v[0:1]
	v_cvt_f32_i32_e32 v0, v0
	v_mul_f32_e32 v1, v208, v85
	s_mov_b32 s22, s21
	v_fmac_f32_e32 v9, v1, v0
	s_cbranch_scc1 .LBB129_9
; %bb.10:                               ;   in Loop: Header=BB129_6 Depth=1
	s_or_b32 s19, s14, 1
	s_cmp_ge_i32 s19, s4
	s_barrier
	s_cbranch_scc1 .LBB129_5
; %bb.11:                               ;   in Loop: Header=BB129_6 Depth=1
	v_add_u32_e32 v170, s18, v142
	v_add_u32_e32 v0, v170, v108
	;; [unrolled: 1-line block ×6, first 2 shown]
	v_mad_i64_i32 v[0:1], s[20:21], v0, 36, v[80:81]
	v_mad_i64_i32 v[2:3], s[20:21], v2, 36, v[80:81]
	;; [unrolled: 1-line block ×4, first 2 shown]
	v_add_u32_e32 v84, v170, v119
	v_add_u32_e32 v86, v170, v121
	;; [unrolled: 1-line block ×4, first 2 shown]
	v_mad_u64_u32 v[172:173], s[20:21], v172, 36, s[2:3]
	v_mad_i64_i32 v[84:85], s[20:21], v84, 36, v[80:81]
	v_mad_i64_i32 v[86:87], s[20:21], v86, 36, v[80:81]
	v_mad_i64_i32 v[168:169], s[20:21], v168, 36, v[80:81]
	v_mad_i64_i32 v[170:171], s[20:21], v170, 36, v[80:81]
	global_load_dword v172, v[172:173], off
	s_nop 0
	global_load_dword v0, v[0:1], off offset:4
	s_nop 0
	global_load_dword v1, v[2:3], off offset:4
	;; [unrolled: 2-line block ×3, first 2 shown]
	global_load_dword v3, v[6:7], off offset:4
	s_nop 0
	global_load_dword v4, v[84:85], off offset:4
	global_load_dword v5, v[86:87], off offset:4
	;; [unrolled: 1-line block ×4, first 2 shown]
	s_mov_b32 s19, 16
	s_mov_b32 s22, 14
	s_mov_b32 s20, 0
	v_mov_b32_e32 v168, v153
	v_mov_b32_e32 v169, v152
	s_waitcnt vmcnt(8)
	v_cvt_f32_f16_e32 v84, v172
	s_waitcnt vmcnt(7)
	ds_write_b32 v110, v0
	s_waitcnt vmcnt(6)
	ds_write_b32 v113, v1
	;; [unrolled: 2-line block ×8, first 2 shown]
	ds_write_b32 v107, v84
	s_waitcnt lgkmcnt(0)
	s_barrier
.LBB129_12:                             ;   Parent Loop BB129_6 Depth=1
                                        ; =>  This Inner Loop Header: Depth=2
	s_add_i32 s21, s22, 2
	s_lshr_b32 s26, s21, 4
	s_and_b32 s25, s21, 0x3ffffff8
	s_lshl_b32 s24, s26, 3
	s_lshl_b32 s25, s25, 2
	v_add_lshl_u32 v180, v129, s24, 2
	v_add_u32_e32 v87, s25, v130
	v_add_u32_e32 v172, 0x4200, v180
	ds_read2_b32 v[84:85], v169 offset1:32
	ds_read_b128 v[4:7], v168
	ds_read_b128 v[0:3], v168 offset:16
	ds_read2_b32 v[170:171], v87 offset1:1
	ds_read2_b32 v[172:173], v172 offset1:1
	s_and_b32 s23, s19, -16
	v_add_u32_e32 v86, s23, v128
	s_add_i32 s23, s22, -14
	s_waitcnt lgkmcnt(1)
	v_ashrrev_i32_e32 v170, s23, v170
	s_waitcnt lgkmcnt(0)
	v_ashrrev_i32_e32 v172, s20, v172
	v_lshlrev_b32_e32 v172, 2, v172
	v_and_b32_e32 v174, 0x3030303, v170
	v_bfe_u32 v170, v170, 24, 2
	v_and_b32_e32 v172, 0x4040404, v172
	v_ashrrev_i32_e32 v173, s20, v173
	v_sub_u16_e32 v175, v174, v172
	v_sub_u16_sdwa v176, v174, v172 dst_sel:BYTE_1 dst_unused:UNUSED_PAD src0_sel:BYTE_1 src1_sel:BYTE_1
	v_sub_u16_sdwa v170, v170, v172 dst_sel:BYTE_1 dst_unused:UNUSED_PAD src0_sel:DWORD src1_sel:BYTE_3
	v_sub_u16_sdwa v172, v174, v172 dst_sel:DWORD dst_unused:UNUSED_PAD src0_sel:WORD_1 src1_sel:WORD_1
	v_ashrrev_i32_e32 v171, s23, v171
	v_lshlrev_b32_e32 v173, 2, v173
	v_or_b32_sdwa v175, v175, v176 dst_sel:DWORD dst_unused:UNUSED_PAD src0_sel:BYTE_0 src1_sel:DWORD
	v_or_b32_sdwa v170, v172, v170 dst_sel:WORD_1 dst_unused:UNUSED_PAD src0_sel:BYTE_0 src1_sel:DWORD
	v_and_b32_e32 v172, 0x3030303, v171
	v_bfe_u32 v171, v171, 24, 2
	v_and_b32_e32 v173, 0x4040404, v173
	v_or_b32_sdwa v170, v175, v170 dst_sel:DWORD dst_unused:UNUSED_PAD src0_sel:WORD_0 src1_sel:DWORD
	v_sub_u16_e32 v174, v172, v173
	v_sub_u16_sdwa v175, v172, v173 dst_sel:BYTE_1 dst_unused:UNUSED_PAD src0_sel:BYTE_1 src1_sel:BYTE_1
	v_sub_u16_sdwa v171, v171, v173 dst_sel:BYTE_1 dst_unused:UNUSED_PAD src0_sel:DWORD src1_sel:BYTE_3
	v_sub_u16_sdwa v172, v172, v173 dst_sel:DWORD dst_unused:UNUSED_PAD src0_sel:WORD_1 src1_sel:WORD_1
	v_or_b32_sdwa v174, v174, v175 dst_sel:DWORD dst_unused:UNUSED_PAD src0_sel:BYTE_0 src1_sel:DWORD
	v_or_b32_sdwa v171, v172, v171 dst_sel:WORD_1 dst_unused:UNUSED_PAD src0_sel:BYTE_0 src1_sel:DWORD
	ds_read2_b32 v[172:173], v87 offset0:2 offset1:3
	v_or_b32_sdwa v171, v174, v171 dst_sel:DWORD dst_unused:UNUSED_PAD src0_sel:WORD_0 src1_sel:DWORD
	v_add_u32_e32 v174, 0x4208, v180
	ds_read2_b32 v[174:175], v174 offset1:1
	s_lshl_b32 s26, s26, 2
	s_waitcnt lgkmcnt(1)
	v_ashrrev_i32_e32 v172, s23, v172
	v_and_b32_e32 v176, 0x3030303, v172
	v_bfe_u32 v172, v172, 24, 2
	s_waitcnt lgkmcnt(0)
	v_ashrrev_i32_e32 v174, s20, v174
	v_lshlrev_b32_e32 v174, 2, v174
	v_and_b32_e32 v174, 0x4040404, v174
	v_ashrrev_i32_e32 v175, s20, v175
	v_sub_u16_e32 v177, v176, v174
	v_sub_u16_sdwa v178, v176, v174 dst_sel:BYTE_1 dst_unused:UNUSED_PAD src0_sel:BYTE_1 src1_sel:BYTE_1
	v_sub_u16_sdwa v172, v172, v174 dst_sel:BYTE_1 dst_unused:UNUSED_PAD src0_sel:DWORD src1_sel:BYTE_3
	v_sub_u16_sdwa v174, v176, v174 dst_sel:DWORD dst_unused:UNUSED_PAD src0_sel:WORD_1 src1_sel:WORD_1
	v_ashrrev_i32_e32 v173, s23, v173
	v_lshlrev_b32_e32 v175, 2, v175
	v_or_b32_sdwa v177, v177, v178 dst_sel:DWORD dst_unused:UNUSED_PAD src0_sel:BYTE_0 src1_sel:DWORD
	v_or_b32_sdwa v172, v174, v172 dst_sel:WORD_1 dst_unused:UNUSED_PAD src0_sel:BYTE_0 src1_sel:DWORD
	v_and_b32_e32 v174, 0x3030303, v173
	v_bfe_u32 v173, v173, 24, 2
	v_and_b32_e32 v175, 0x4040404, v175
	v_or_b32_sdwa v172, v177, v172 dst_sel:DWORD dst_unused:UNUSED_PAD src0_sel:WORD_0 src1_sel:DWORD
	v_sub_u16_e32 v176, v174, v175
	v_sub_u16_sdwa v177, v174, v175 dst_sel:BYTE_1 dst_unused:UNUSED_PAD src0_sel:BYTE_1 src1_sel:BYTE_1
	v_sub_u16_sdwa v173, v173, v175 dst_sel:BYTE_1 dst_unused:UNUSED_PAD src0_sel:DWORD src1_sel:BYTE_3
	v_sub_u16_sdwa v174, v174, v175 dst_sel:DWORD dst_unused:UNUSED_PAD src0_sel:WORD_1 src1_sel:WORD_1
	v_or_b32_sdwa v176, v176, v177 dst_sel:DWORD dst_unused:UNUSED_PAD src0_sel:BYTE_0 src1_sel:DWORD
	v_or_b32_sdwa v173, v174, v173 dst_sel:WORD_1 dst_unused:UNUSED_PAD src0_sel:BYTE_0 src1_sel:DWORD
	v_add_lshl_u32 v190, v132, s24, 2
	v_or_b32_sdwa v173, v176, v173 dst_sel:DWORD dst_unused:UNUSED_PAD src0_sel:WORD_0 src1_sel:DWORD
	ds_read2_b32 v[176:177], v87 offset0:4 offset1:5
	v_add_u32_e32 v184, 0x4200, v190
	v_add_lshl_u32 v212, v138, s24, 2
	v_add_lshl_u32 v202, v135, s24, 2
	v_add_u32_e32 v206, 0x4200, v212
	s_waitcnt lgkmcnt(0)
	v_ashrrev_i32_e32 v174, s23, v176
	v_add_u32_e32 v176, 0x4210, v180
	ds_read2_b32 v[178:179], v176 offset1:1
	v_and_b32_e32 v175, 0x3030303, v174
	v_bfe_u32 v174, v174, 24, 2
	s_add_i32 s19, s19, 2
	ds_read2_b32 v[184:185], v184 offset1:1
	s_waitcnt lgkmcnt(1)
	v_ashrrev_i32_e32 v176, s20, v178
	v_lshlrev_b32_e32 v176, 2, v176
	v_and_b32_e32 v176, 0x4040404, v176
	v_sub_u16_e32 v178, v175, v176
	v_sub_u16_sdwa v181, v175, v176 dst_sel:BYTE_1 dst_unused:UNUSED_PAD src0_sel:BYTE_1 src1_sel:BYTE_1
	v_sub_u16_sdwa v174, v174, v176 dst_sel:BYTE_1 dst_unused:UNUSED_PAD src0_sel:DWORD src1_sel:BYTE_3
	v_sub_u16_sdwa v175, v175, v176 dst_sel:DWORD dst_unused:UNUSED_PAD src0_sel:WORD_1 src1_sel:WORD_1
	v_or_b32_sdwa v178, v178, v181 dst_sel:DWORD dst_unused:UNUSED_PAD src0_sel:BYTE_0 src1_sel:DWORD
	v_or_b32_sdwa v174, v175, v174 dst_sel:WORD_1 dst_unused:UNUSED_PAD src0_sel:BYTE_0 src1_sel:DWORD
	s_waitcnt lgkmcnt(0)
	v_ashrrev_i32_e32 v184, s20, v184
	v_or_b32_sdwa v175, v178, v174 dst_sel:DWORD dst_unused:UNUSED_PAD src0_sel:WORD_0 src1_sel:DWORD
	v_ashrrev_i32_e32 v174, s23, v177
	v_ashrrev_i32_e32 v177, s20, v179
	v_lshlrev_b32_e32 v177, 2, v177
	v_and_b32_e32 v176, 0x3030303, v174
	v_bfe_u32 v174, v174, 24, 2
	v_and_b32_e32 v177, 0x4040404, v177
	v_sub_u16_e32 v178, v176, v177
	v_sub_u16_sdwa v179, v176, v177 dst_sel:BYTE_1 dst_unused:UNUSED_PAD src0_sel:BYTE_1 src1_sel:BYTE_1
	v_sub_u16_sdwa v174, v174, v177 dst_sel:BYTE_1 dst_unused:UNUSED_PAD src0_sel:DWORD src1_sel:BYTE_3
	v_sub_u16_sdwa v176, v176, v177 dst_sel:DWORD dst_unused:UNUSED_PAD src0_sel:WORD_1 src1_sel:WORD_1
	v_or_b32_sdwa v178, v178, v179 dst_sel:DWORD dst_unused:UNUSED_PAD src0_sel:BYTE_0 src1_sel:DWORD
	v_or_b32_sdwa v174, v176, v174 dst_sel:WORD_1 dst_unused:UNUSED_PAD src0_sel:BYTE_0 src1_sel:DWORD
	v_add_u32_e32 v177, 0x4218, v180
	v_or_b32_sdwa v176, v178, v174 dst_sel:DWORD dst_unused:UNUSED_PAD src0_sel:WORD_0 src1_sel:DWORD
	ds_read2_b32 v[178:179], v87 offset0:6 offset1:7
	ds_read2_b32 v[180:181], v177 offset1:1
	v_lshlrev_b32_e32 v184, 2, v184
	v_and_b32_e32 v184, 0x4040404, v184
	ds_read2_b32 v[206:207], v206 offset1:1
	s_waitcnt lgkmcnt(2)
	v_ashrrev_i32_e32 v87, s23, v178
	s_waitcnt lgkmcnt(1)
	v_ashrrev_i32_e32 v177, s20, v180
	v_lshlrev_b32_e32 v177, 2, v177
	v_and_b32_e32 v174, 0x3030303, v87
	v_bfe_u32 v87, v87, 24, 2
	v_and_b32_e32 v177, 0x4040404, v177
	v_sub_u16_e32 v178, v174, v177
	v_sub_u16_sdwa v180, v174, v177 dst_sel:BYTE_1 dst_unused:UNUSED_PAD src0_sel:BYTE_1 src1_sel:BYTE_1
	v_sub_u16_sdwa v87, v87, v177 dst_sel:BYTE_1 dst_unused:UNUSED_PAD src0_sel:DWORD src1_sel:BYTE_3
	v_sub_u16_sdwa v174, v174, v177 dst_sel:DWORD dst_unused:UNUSED_PAD src0_sel:WORD_1 src1_sel:WORD_1
	v_or_b32_sdwa v178, v178, v180 dst_sel:DWORD dst_unused:UNUSED_PAD src0_sel:BYTE_0 src1_sel:DWORD
	v_or_b32_sdwa v87, v174, v87 dst_sel:WORD_1 dst_unused:UNUSED_PAD src0_sel:BYTE_0 src1_sel:DWORD
	s_waitcnt lgkmcnt(0)
	v_ashrrev_i32_e32 v206, s20, v206
	v_or_b32_sdwa v177, v178, v87 dst_sel:DWORD dst_unused:UNUSED_PAD src0_sel:WORD_0 src1_sel:DWORD
	v_ashrrev_i32_e32 v178, s20, v181
	v_ashrrev_i32_e32 v87, s23, v179
	v_lshlrev_b32_e32 v178, 2, v178
	v_and_b32_e32 v174, 0x3030303, v87
	v_bfe_u32 v87, v87, 24, 2
	v_and_b32_e32 v178, 0x4040404, v178
	v_sub_u16_e32 v179, v174, v178
	v_sub_u16_sdwa v180, v174, v178 dst_sel:BYTE_1 dst_unused:UNUSED_PAD src0_sel:BYTE_1 src1_sel:BYTE_1
	v_sub_u16_sdwa v87, v87, v178 dst_sel:BYTE_1 dst_unused:UNUSED_PAD src0_sel:DWORD src1_sel:BYTE_3
	v_sub_u16_sdwa v174, v174, v178 dst_sel:DWORD dst_unused:UNUSED_PAD src0_sel:WORD_1 src1_sel:WORD_1
	v_or_b32_sdwa v179, v179, v180 dst_sel:DWORD dst_unused:UNUSED_PAD src0_sel:BYTE_0 src1_sel:DWORD
	v_or_b32_sdwa v87, v174, v87 dst_sel:WORD_1 dst_unused:UNUSED_PAD src0_sel:BYTE_0 src1_sel:DWORD
	v_add_u32_e32 v174, s26, v131
	v_or_b32_sdwa v178, v179, v87 dst_sel:DWORD dst_unused:UNUSED_PAD src0_sel:WORD_0 src1_sel:DWORD
	v_add3_u32 v87, v144, s22, v86
	ds_read_b32 v174, v174
	ds_read_u16 v87, v87 offset:33522
	v_mov_b32_e32 v180, 0
	v_dot4c_i32_i8_e32 v180, v170, v4
	v_dot4c_i32_i8_e32 v180, v171, v5
	;; [unrolled: 1-line block ×3, first 2 shown]
	s_waitcnt lgkmcnt(0)
	v_lshrrev_b16_e32 v181, 8, v87
	v_bfe_i32 v179, v87, 0, 8
	v_mov_b32_e32 v87, 0
	v_dot4c_i32_i8_e32 v87, v175, v0
	v_dot4c_i32_i8_e32 v87, v176, v1
	;; [unrolled: 1-line block ×5, first 2 shown]
	v_bfe_i32 v181, v181, 0, 8
	v_mul_lo_u32 v180, v180, v179
	v_lshlrev_b32_e32 v206, 2, v206
	v_mad_u64_u32 v[182:183], s[28:29], v87, v181, v[180:181]
	v_cvt_f32_i32_e32 v180, v182
	v_mul_f32_e32 v87, v84, v174
	v_and_b32_e32 v206, 0x4040404, v206
	v_fmac_f32_e32 v125, v87, v180
	v_add_u32_e32 v87, s25, v133
	ds_read2_b32 v[182:183], v87 offset1:1
	s_waitcnt lgkmcnt(0)
	v_ashrrev_i32_e32 v180, s23, v182
	v_and_b32_e32 v182, 0x3030303, v180
	v_bfe_u32 v180, v180, 24, 2
	v_sub_u16_e32 v186, v182, v184
	v_sub_u16_sdwa v187, v182, v184 dst_sel:BYTE_1 dst_unused:UNUSED_PAD src0_sel:BYTE_1 src1_sel:BYTE_1
	v_sub_u16_sdwa v180, v180, v184 dst_sel:BYTE_1 dst_unused:UNUSED_PAD src0_sel:DWORD src1_sel:BYTE_3
	v_sub_u16_sdwa v182, v182, v184 dst_sel:DWORD dst_unused:UNUSED_PAD src0_sel:WORD_1 src1_sel:WORD_1
	v_ashrrev_i32_e32 v184, s20, v185
	v_or_b32_sdwa v180, v182, v180 dst_sel:WORD_1 dst_unused:UNUSED_PAD src0_sel:BYTE_0 src1_sel:DWORD
	v_ashrrev_i32_e32 v182, s23, v183
	v_lshlrev_b32_e32 v184, 2, v184
	v_or_b32_sdwa v186, v186, v187 dst_sel:DWORD dst_unused:UNUSED_PAD src0_sel:BYTE_0 src1_sel:DWORD
	v_and_b32_e32 v183, 0x3030303, v182
	v_bfe_u32 v182, v182, 24, 2
	v_and_b32_e32 v184, 0x4040404, v184
	v_or_b32_sdwa v180, v186, v180 dst_sel:DWORD dst_unused:UNUSED_PAD src0_sel:WORD_0 src1_sel:DWORD
	v_sub_u16_e32 v185, v183, v184
	v_sub_u16_sdwa v186, v183, v184 dst_sel:BYTE_1 dst_unused:UNUSED_PAD src0_sel:BYTE_1 src1_sel:BYTE_1
	v_sub_u16_sdwa v182, v182, v184 dst_sel:BYTE_1 dst_unused:UNUSED_PAD src0_sel:DWORD src1_sel:BYTE_3
	v_sub_u16_sdwa v183, v183, v184 dst_sel:DWORD dst_unused:UNUSED_PAD src0_sel:WORD_1 src1_sel:WORD_1
	v_or_b32_sdwa v185, v185, v186 dst_sel:DWORD dst_unused:UNUSED_PAD src0_sel:BYTE_0 src1_sel:DWORD
	v_or_b32_sdwa v182, v183, v182 dst_sel:WORD_1 dst_unused:UNUSED_PAD src0_sel:BYTE_0 src1_sel:DWORD
	v_add_u32_e32 v186, 0x4208, v190
	v_or_b32_sdwa v182, v185, v182 dst_sel:DWORD dst_unused:UNUSED_PAD src0_sel:WORD_0 src1_sel:DWORD
	ds_read2_b32 v[184:185], v87 offset0:2 offset1:3
	ds_read2_b32 v[186:187], v186 offset1:1
	s_waitcnt lgkmcnt(1)
	v_ashrrev_i32_e32 v183, s23, v184
	s_waitcnt lgkmcnt(0)
	v_ashrrev_i32_e32 v186, s20, v186
	v_lshlrev_b32_e32 v186, 2, v186
	v_and_b32_e32 v184, 0x3030303, v183
	v_bfe_u32 v183, v183, 24, 2
	v_and_b32_e32 v186, 0x4040404, v186
	v_sub_u16_e32 v188, v184, v186
	v_sub_u16_sdwa v189, v184, v186 dst_sel:BYTE_1 dst_unused:UNUSED_PAD src0_sel:BYTE_1 src1_sel:BYTE_1
	v_sub_u16_sdwa v183, v183, v186 dst_sel:BYTE_1 dst_unused:UNUSED_PAD src0_sel:DWORD src1_sel:BYTE_3
	v_sub_u16_sdwa v184, v184, v186 dst_sel:DWORD dst_unused:UNUSED_PAD src0_sel:WORD_1 src1_sel:WORD_1
	v_ashrrev_i32_e32 v186, s20, v187
	v_or_b32_sdwa v183, v184, v183 dst_sel:WORD_1 dst_unused:UNUSED_PAD src0_sel:BYTE_0 src1_sel:DWORD
	v_ashrrev_i32_e32 v184, s23, v185
	v_lshlrev_b32_e32 v186, 2, v186
	v_or_b32_sdwa v188, v188, v189 dst_sel:DWORD dst_unused:UNUSED_PAD src0_sel:BYTE_0 src1_sel:DWORD
	v_and_b32_e32 v185, 0x3030303, v184
	v_bfe_u32 v184, v184, 24, 2
	v_and_b32_e32 v186, 0x4040404, v186
	v_or_b32_sdwa v183, v188, v183 dst_sel:DWORD dst_unused:UNUSED_PAD src0_sel:WORD_0 src1_sel:DWORD
	v_sub_u16_e32 v187, v185, v186
	v_sub_u16_sdwa v188, v185, v186 dst_sel:BYTE_1 dst_unused:UNUSED_PAD src0_sel:BYTE_1 src1_sel:BYTE_1
	v_sub_u16_sdwa v184, v184, v186 dst_sel:BYTE_1 dst_unused:UNUSED_PAD src0_sel:DWORD src1_sel:BYTE_3
	v_sub_u16_sdwa v185, v185, v186 dst_sel:DWORD dst_unused:UNUSED_PAD src0_sel:WORD_1 src1_sel:WORD_1
	v_or_b32_sdwa v187, v187, v188 dst_sel:DWORD dst_unused:UNUSED_PAD src0_sel:BYTE_0 src1_sel:DWORD
	v_or_b32_sdwa v184, v185, v184 dst_sel:WORD_1 dst_unused:UNUSED_PAD src0_sel:BYTE_0 src1_sel:DWORD
	v_add_u32_e32 v188, 0x4210, v190
	v_or_b32_sdwa v184, v187, v184 dst_sel:DWORD dst_unused:UNUSED_PAD src0_sel:WORD_0 src1_sel:DWORD
	ds_read2_b32 v[186:187], v87 offset0:4 offset1:5
	ds_read2_b32 v[188:189], v188 offset1:1
	s_waitcnt lgkmcnt(1)
	v_ashrrev_i32_e32 v185, s23, v186
	s_waitcnt lgkmcnt(0)
	v_ashrrev_i32_e32 v188, s20, v188
	v_lshlrev_b32_e32 v188, 2, v188
	v_and_b32_e32 v186, 0x3030303, v185
	v_bfe_u32 v185, v185, 24, 2
	v_and_b32_e32 v188, 0x4040404, v188
	v_sub_u16_e32 v191, v186, v188
	v_sub_u16_sdwa v192, v186, v188 dst_sel:BYTE_1 dst_unused:UNUSED_PAD src0_sel:BYTE_1 src1_sel:BYTE_1
	v_sub_u16_sdwa v185, v185, v188 dst_sel:BYTE_1 dst_unused:UNUSED_PAD src0_sel:DWORD src1_sel:BYTE_3
	v_sub_u16_sdwa v186, v186, v188 dst_sel:DWORD dst_unused:UNUSED_PAD src0_sel:WORD_1 src1_sel:WORD_1
	v_ashrrev_i32_e32 v188, s20, v189
	v_or_b32_sdwa v185, v186, v185 dst_sel:WORD_1 dst_unused:UNUSED_PAD src0_sel:BYTE_0 src1_sel:DWORD
	v_ashrrev_i32_e32 v186, s23, v187
	v_lshlrev_b32_e32 v188, 2, v188
	v_or_b32_sdwa v191, v191, v192 dst_sel:DWORD dst_unused:UNUSED_PAD src0_sel:BYTE_0 src1_sel:DWORD
	v_and_b32_e32 v187, 0x3030303, v186
	v_bfe_u32 v186, v186, 24, 2
	v_and_b32_e32 v188, 0x4040404, v188
	v_or_b32_sdwa v185, v191, v185 dst_sel:DWORD dst_unused:UNUSED_PAD src0_sel:WORD_0 src1_sel:DWORD
	v_sub_u16_e32 v189, v187, v188
	v_sub_u16_sdwa v191, v187, v188 dst_sel:BYTE_1 dst_unused:UNUSED_PAD src0_sel:BYTE_1 src1_sel:BYTE_1
	v_sub_u16_sdwa v186, v186, v188 dst_sel:BYTE_1 dst_unused:UNUSED_PAD src0_sel:DWORD src1_sel:BYTE_3
	v_sub_u16_sdwa v187, v187, v188 dst_sel:DWORD dst_unused:UNUSED_PAD src0_sel:WORD_1 src1_sel:WORD_1
	v_or_b32_sdwa v189, v189, v191 dst_sel:DWORD dst_unused:UNUSED_PAD src0_sel:BYTE_0 src1_sel:DWORD
	v_or_b32_sdwa v186, v187, v186 dst_sel:WORD_1 dst_unused:UNUSED_PAD src0_sel:BYTE_0 src1_sel:DWORD
	s_nop 0
	v_or_b32_sdwa v187, v189, v186 dst_sel:DWORD dst_unused:UNUSED_PAD src0_sel:WORD_0 src1_sel:DWORD
	ds_read2_b32 v[188:189], v87 offset0:6 offset1:7
	s_waitcnt lgkmcnt(0)
	v_ashrrev_i32_e32 v87, s23, v188
	v_add_u32_e32 v188, 0x4218, v190
	ds_read2_b32 v[190:191], v188 offset1:1
	v_and_b32_e32 v186, 0x3030303, v87
	v_bfe_u32 v87, v87, 24, 2
	s_waitcnt lgkmcnt(0)
	v_ashrrev_i32_e32 v188, s20, v190
	v_lshlrev_b32_e32 v188, 2, v188
	v_and_b32_e32 v188, 0x4040404, v188
	v_sub_u16_e32 v190, v186, v188
	v_sub_u16_sdwa v192, v186, v188 dst_sel:BYTE_1 dst_unused:UNUSED_PAD src0_sel:BYTE_1 src1_sel:BYTE_1
	v_sub_u16_sdwa v87, v87, v188 dst_sel:BYTE_1 dst_unused:UNUSED_PAD src0_sel:DWORD src1_sel:BYTE_3
	v_sub_u16_sdwa v186, v186, v188 dst_sel:DWORD dst_unused:UNUSED_PAD src0_sel:WORD_1 src1_sel:WORD_1
	v_or_b32_sdwa v190, v190, v192 dst_sel:DWORD dst_unused:UNUSED_PAD src0_sel:BYTE_0 src1_sel:DWORD
	v_or_b32_sdwa v87, v186, v87 dst_sel:WORD_1 dst_unused:UNUSED_PAD src0_sel:BYTE_0 src1_sel:DWORD
	s_nop 0
	v_or_b32_sdwa v188, v190, v87 dst_sel:DWORD dst_unused:UNUSED_PAD src0_sel:WORD_0 src1_sel:DWORD
	v_ashrrev_i32_e32 v87, s23, v189
	v_ashrrev_i32_e32 v189, s20, v191
	v_lshlrev_b32_e32 v189, 2, v189
	v_and_b32_e32 v186, 0x3030303, v87
	v_bfe_u32 v87, v87, 24, 2
	v_and_b32_e32 v189, 0x4040404, v189
	v_sub_u16_e32 v190, v186, v189
	v_sub_u16_sdwa v191, v186, v189 dst_sel:BYTE_1 dst_unused:UNUSED_PAD src0_sel:BYTE_1 src1_sel:BYTE_1
	v_sub_u16_sdwa v87, v87, v189 dst_sel:BYTE_1 dst_unused:UNUSED_PAD src0_sel:DWORD src1_sel:BYTE_3
	v_sub_u16_sdwa v186, v186, v189 dst_sel:DWORD dst_unused:UNUSED_PAD src0_sel:WORD_1 src1_sel:WORD_1
	v_or_b32_sdwa v190, v190, v191 dst_sel:DWORD dst_unused:UNUSED_PAD src0_sel:BYTE_0 src1_sel:DWORD
	v_or_b32_sdwa v87, v186, v87 dst_sel:WORD_1 dst_unused:UNUSED_PAD src0_sel:BYTE_0 src1_sel:DWORD
	v_add_u32_e32 v186, s26, v134
	v_or_b32_sdwa v189, v190, v87 dst_sel:DWORD dst_unused:UNUSED_PAD src0_sel:WORD_0 src1_sel:DWORD
	v_add3_u32 v87, v146, s22, v86
	ds_read_b32 v186, v186
	ds_read_u16 v87, v87 offset:34546
	v_mov_b32_e32 v191, 0
	v_dot4c_i32_i8_e32 v191, v180, v4
	v_dot4c_i32_i8_e32 v191, v182, v5
	;; [unrolled: 1-line block ×3, first 2 shown]
	s_waitcnt lgkmcnt(0)
	v_lshrrev_b16_e32 v192, 8, v87
	v_bfe_i32 v190, v87, 0, 8
	v_mov_b32_e32 v87, 0
	v_dot4c_i32_i8_e32 v87, v185, v0
	v_dot4c_i32_i8_e32 v87, v187, v1
	;; [unrolled: 1-line block ×5, first 2 shown]
	v_bfe_i32 v192, v192, 0, 8
	v_mul_lo_u32 v194, v191, v190
	s_nop 0
	v_mad_u64_u32 v[194:195], s[28:29], v87, v192, v[194:195]
	v_cvt_f32_i32_e32 v191, v194
	v_mul_f32_e32 v87, v84, v186
	v_fmac_f32_e32 v118, v87, v191
	v_add_u32_e32 v87, s25, v136
	ds_read2_b32 v[194:195], v87 offset1:1
	s_waitcnt lgkmcnt(0)
	v_ashrrev_i32_e32 v191, s23, v194
	v_add_u32_e32 v194, 0x4200, v202
	ds_read2_b32 v[196:197], v194 offset1:1
	v_and_b32_e32 v193, 0x3030303, v191
	v_bfe_u32 v191, v191, 24, 2
	s_waitcnt lgkmcnt(0)
	v_ashrrev_i32_e32 v194, s20, v196
	v_lshlrev_b32_e32 v194, 2, v194
	v_and_b32_e32 v194, 0x4040404, v194
	v_sub_u16_e32 v196, v193, v194
	v_sub_u16_sdwa v198, v193, v194 dst_sel:BYTE_1 dst_unused:UNUSED_PAD src0_sel:BYTE_1 src1_sel:BYTE_1
	v_sub_u16_sdwa v191, v191, v194 dst_sel:BYTE_1 dst_unused:UNUSED_PAD src0_sel:DWORD src1_sel:BYTE_3
	v_sub_u16_sdwa v193, v193, v194 dst_sel:DWORD dst_unused:UNUSED_PAD src0_sel:WORD_1 src1_sel:WORD_1
	v_or_b32_sdwa v191, v193, v191 dst_sel:WORD_1 dst_unused:UNUSED_PAD src0_sel:BYTE_0 src1_sel:DWORD
	v_ashrrev_i32_e32 v193, s23, v195
	v_ashrrev_i32_e32 v195, s20, v197
	v_lshlrev_b32_e32 v195, 2, v195
	v_or_b32_sdwa v196, v196, v198 dst_sel:DWORD dst_unused:UNUSED_PAD src0_sel:BYTE_0 src1_sel:DWORD
	v_and_b32_e32 v194, 0x3030303, v193
	v_bfe_u32 v193, v193, 24, 2
	v_and_b32_e32 v195, 0x4040404, v195
	v_or_b32_sdwa v191, v196, v191 dst_sel:DWORD dst_unused:UNUSED_PAD src0_sel:WORD_0 src1_sel:DWORD
	v_sub_u16_e32 v196, v194, v195
	v_sub_u16_sdwa v197, v194, v195 dst_sel:BYTE_1 dst_unused:UNUSED_PAD src0_sel:BYTE_1 src1_sel:BYTE_1
	v_sub_u16_sdwa v193, v193, v195 dst_sel:BYTE_1 dst_unused:UNUSED_PAD src0_sel:DWORD src1_sel:BYTE_3
	v_sub_u16_sdwa v194, v194, v195 dst_sel:DWORD dst_unused:UNUSED_PAD src0_sel:WORD_1 src1_sel:WORD_1
	v_or_b32_sdwa v196, v196, v197 dst_sel:DWORD dst_unused:UNUSED_PAD src0_sel:BYTE_0 src1_sel:DWORD
	v_or_b32_sdwa v193, v194, v193 dst_sel:WORD_1 dst_unused:UNUSED_PAD src0_sel:BYTE_0 src1_sel:DWORD
	ds_read2_b32 v[194:195], v87 offset0:2 offset1:3
	v_or_b32_sdwa v193, v196, v193 dst_sel:DWORD dst_unused:UNUSED_PAD src0_sel:WORD_0 src1_sel:DWORD
	v_add_u32_e32 v196, 0x4208, v202
	ds_read2_b32 v[196:197], v196 offset1:1
	s_waitcnt lgkmcnt(1)
	v_ashrrev_i32_e32 v194, s23, v194
	v_and_b32_e32 v198, 0x3030303, v194
	v_bfe_u32 v194, v194, 24, 2
	s_waitcnt lgkmcnt(0)
	v_ashrrev_i32_e32 v196, s20, v196
	v_lshlrev_b32_e32 v196, 2, v196
	v_and_b32_e32 v196, 0x4040404, v196
	v_ashrrev_i32_e32 v197, s20, v197
	v_sub_u16_e32 v199, v198, v196
	v_sub_u16_sdwa v200, v198, v196 dst_sel:BYTE_1 dst_unused:UNUSED_PAD src0_sel:BYTE_1 src1_sel:BYTE_1
	v_sub_u16_sdwa v194, v194, v196 dst_sel:BYTE_1 dst_unused:UNUSED_PAD src0_sel:DWORD src1_sel:BYTE_3
	v_sub_u16_sdwa v196, v198, v196 dst_sel:DWORD dst_unused:UNUSED_PAD src0_sel:WORD_1 src1_sel:WORD_1
	v_ashrrev_i32_e32 v195, s23, v195
	v_lshlrev_b32_e32 v197, 2, v197
	v_or_b32_sdwa v199, v199, v200 dst_sel:DWORD dst_unused:UNUSED_PAD src0_sel:BYTE_0 src1_sel:DWORD
	v_or_b32_sdwa v194, v196, v194 dst_sel:WORD_1 dst_unused:UNUSED_PAD src0_sel:BYTE_0 src1_sel:DWORD
	v_and_b32_e32 v196, 0x3030303, v195
	v_bfe_u32 v195, v195, 24, 2
	v_and_b32_e32 v197, 0x4040404, v197
	v_or_b32_sdwa v194, v199, v194 dst_sel:DWORD dst_unused:UNUSED_PAD src0_sel:WORD_0 src1_sel:DWORD
	v_sub_u16_e32 v198, v196, v197
	v_sub_u16_sdwa v199, v196, v197 dst_sel:BYTE_1 dst_unused:UNUSED_PAD src0_sel:BYTE_1 src1_sel:BYTE_1
	v_sub_u16_sdwa v195, v195, v197 dst_sel:BYTE_1 dst_unused:UNUSED_PAD src0_sel:DWORD src1_sel:BYTE_3
	v_sub_u16_sdwa v196, v196, v197 dst_sel:DWORD dst_unused:UNUSED_PAD src0_sel:WORD_1 src1_sel:WORD_1
	v_or_b32_sdwa v198, v198, v199 dst_sel:DWORD dst_unused:UNUSED_PAD src0_sel:BYTE_0 src1_sel:DWORD
	v_or_b32_sdwa v195, v196, v195 dst_sel:WORD_1 dst_unused:UNUSED_PAD src0_sel:BYTE_0 src1_sel:DWORD
	ds_read2_b32 v[196:197], v87 offset0:4 offset1:5
	v_or_b32_sdwa v195, v198, v195 dst_sel:DWORD dst_unused:UNUSED_PAD src0_sel:WORD_0 src1_sel:DWORD
	v_add_u32_e32 v198, 0x4210, v202
	ds_read2_b32 v[198:199], v198 offset1:1
	s_waitcnt lgkmcnt(1)
	v_ashrrev_i32_e32 v196, s23, v196
	v_and_b32_e32 v200, 0x3030303, v196
	v_bfe_u32 v196, v196, 24, 2
	s_waitcnt lgkmcnt(0)
	v_ashrrev_i32_e32 v198, s20, v198
	v_lshlrev_b32_e32 v198, 2, v198
	v_and_b32_e32 v198, 0x4040404, v198
	v_ashrrev_i32_e32 v199, s20, v199
	v_sub_u16_e32 v201, v200, v198
	v_sub_u16_sdwa v203, v200, v198 dst_sel:BYTE_1 dst_unused:UNUSED_PAD src0_sel:BYTE_1 src1_sel:BYTE_1
	v_sub_u16_sdwa v196, v196, v198 dst_sel:BYTE_1 dst_unused:UNUSED_PAD src0_sel:DWORD src1_sel:BYTE_3
	v_sub_u16_sdwa v198, v200, v198 dst_sel:DWORD dst_unused:UNUSED_PAD src0_sel:WORD_1 src1_sel:WORD_1
	v_ashrrev_i32_e32 v197, s23, v197
	v_lshlrev_b32_e32 v199, 2, v199
	v_or_b32_sdwa v201, v201, v203 dst_sel:DWORD dst_unused:UNUSED_PAD src0_sel:BYTE_0 src1_sel:DWORD
	v_or_b32_sdwa v196, v198, v196 dst_sel:WORD_1 dst_unused:UNUSED_PAD src0_sel:BYTE_0 src1_sel:DWORD
	v_and_b32_e32 v198, 0x3030303, v197
	v_bfe_u32 v197, v197, 24, 2
	v_and_b32_e32 v199, 0x4040404, v199
	v_or_b32_sdwa v196, v201, v196 dst_sel:DWORD dst_unused:UNUSED_PAD src0_sel:WORD_0 src1_sel:DWORD
	v_sub_u16_e32 v200, v198, v199
	v_sub_u16_sdwa v201, v198, v199 dst_sel:BYTE_1 dst_unused:UNUSED_PAD src0_sel:BYTE_1 src1_sel:BYTE_1
	v_sub_u16_sdwa v197, v197, v199 dst_sel:BYTE_1 dst_unused:UNUSED_PAD src0_sel:DWORD src1_sel:BYTE_3
	v_sub_u16_sdwa v198, v198, v199 dst_sel:DWORD dst_unused:UNUSED_PAD src0_sel:WORD_1 src1_sel:WORD_1
	v_or_b32_sdwa v200, v200, v201 dst_sel:DWORD dst_unused:UNUSED_PAD src0_sel:BYTE_0 src1_sel:DWORD
	v_or_b32_sdwa v197, v198, v197 dst_sel:WORD_1 dst_unused:UNUSED_PAD src0_sel:BYTE_0 src1_sel:DWORD
	v_add_u32_e32 v199, 0x4218, v202
	v_or_b32_sdwa v198, v200, v197 dst_sel:DWORD dst_unused:UNUSED_PAD src0_sel:WORD_0 src1_sel:DWORD
	ds_read2_b32 v[200:201], v87 offset0:6 offset1:7
	ds_read2_b32 v[202:203], v199 offset1:1
	s_waitcnt lgkmcnt(1)
	v_ashrrev_i32_e32 v87, s23, v200
	s_waitcnt lgkmcnt(0)
	v_ashrrev_i32_e32 v199, s20, v202
	v_lshlrev_b32_e32 v199, 2, v199
	v_and_b32_e32 v197, 0x3030303, v87
	v_bfe_u32 v87, v87, 24, 2
	v_and_b32_e32 v199, 0x4040404, v199
	v_sub_u16_e32 v200, v197, v199
	v_sub_u16_sdwa v202, v197, v199 dst_sel:BYTE_1 dst_unused:UNUSED_PAD src0_sel:BYTE_1 src1_sel:BYTE_1
	v_sub_u16_sdwa v87, v87, v199 dst_sel:BYTE_1 dst_unused:UNUSED_PAD src0_sel:DWORD src1_sel:BYTE_3
	v_sub_u16_sdwa v197, v197, v199 dst_sel:DWORD dst_unused:UNUSED_PAD src0_sel:WORD_1 src1_sel:WORD_1
	v_or_b32_sdwa v200, v200, v202 dst_sel:DWORD dst_unused:UNUSED_PAD src0_sel:BYTE_0 src1_sel:DWORD
	v_or_b32_sdwa v87, v197, v87 dst_sel:WORD_1 dst_unused:UNUSED_PAD src0_sel:BYTE_0 src1_sel:DWORD
	s_nop 0
	v_or_b32_sdwa v199, v200, v87 dst_sel:DWORD dst_unused:UNUSED_PAD src0_sel:WORD_0 src1_sel:DWORD
	v_ashrrev_i32_e32 v200, s20, v203
	v_ashrrev_i32_e32 v87, s23, v201
	v_lshlrev_b32_e32 v200, 2, v200
	v_and_b32_e32 v197, 0x3030303, v87
	v_bfe_u32 v87, v87, 24, 2
	v_and_b32_e32 v200, 0x4040404, v200
	v_sub_u16_e32 v201, v197, v200
	v_sub_u16_sdwa v202, v197, v200 dst_sel:BYTE_1 dst_unused:UNUSED_PAD src0_sel:BYTE_1 src1_sel:BYTE_1
	v_sub_u16_sdwa v87, v87, v200 dst_sel:BYTE_1 dst_unused:UNUSED_PAD src0_sel:DWORD src1_sel:BYTE_3
	v_sub_u16_sdwa v197, v197, v200 dst_sel:DWORD dst_unused:UNUSED_PAD src0_sel:WORD_1 src1_sel:WORD_1
	v_or_b32_sdwa v201, v201, v202 dst_sel:DWORD dst_unused:UNUSED_PAD src0_sel:BYTE_0 src1_sel:DWORD
	v_or_b32_sdwa v87, v197, v87 dst_sel:WORD_1 dst_unused:UNUSED_PAD src0_sel:BYTE_0 src1_sel:DWORD
	v_add_u32_e32 v197, s26, v137
	v_or_b32_sdwa v200, v201, v87 dst_sel:DWORD dst_unused:UNUSED_PAD src0_sel:WORD_0 src1_sel:DWORD
	v_add3_u32 v87, v148, s22, v86
	ds_read_b32 v197, v197
	ds_read_u16 v87, v87 offset:35570
	v_mov_b32_e32 v202, 0
	v_dot4c_i32_i8_e32 v202, v191, v4
	v_dot4c_i32_i8_e32 v202, v193, v5
	;; [unrolled: 1-line block ×3, first 2 shown]
	s_waitcnt lgkmcnt(0)
	v_lshrrev_b16_e32 v203, 8, v87
	v_bfe_i32 v201, v87, 0, 8
	v_mov_b32_e32 v87, 0
	v_dot4c_i32_i8_e32 v87, v196, v0
	v_dot4c_i32_i8_e32 v87, v198, v1
	;; [unrolled: 1-line block ×5, first 2 shown]
	v_bfe_i32 v203, v203, 0, 8
	v_mul_lo_u32 v202, v202, v201
	v_add3_u32 v86, v150, s22, v86
	v_mad_u64_u32 v[204:205], s[28:29], v87, v203, v[202:203]
	v_cvt_f32_i32_e32 v202, v204
	v_mul_f32_e32 v87, v84, v197
	v_fmac_f32_e32 v111, v87, v202
	v_add_u32_e32 v87, s25, v139
	ds_read2_b32 v[204:205], v87 offset1:1
	s_waitcnt lgkmcnt(0)
	v_ashrrev_i32_e32 v202, s23, v204
	v_and_b32_e32 v204, 0x3030303, v202
	v_bfe_u32 v202, v202, 24, 2
	v_sub_u16_e32 v208, v204, v206
	v_sub_u16_sdwa v209, v204, v206 dst_sel:BYTE_1 dst_unused:UNUSED_PAD src0_sel:BYTE_1 src1_sel:BYTE_1
	v_sub_u16_sdwa v202, v202, v206 dst_sel:BYTE_1 dst_unused:UNUSED_PAD src0_sel:DWORD src1_sel:BYTE_3
	v_sub_u16_sdwa v204, v204, v206 dst_sel:DWORD dst_unused:UNUSED_PAD src0_sel:WORD_1 src1_sel:WORD_1
	v_ashrrev_i32_e32 v206, s20, v207
	v_or_b32_sdwa v202, v204, v202 dst_sel:WORD_1 dst_unused:UNUSED_PAD src0_sel:BYTE_0 src1_sel:DWORD
	v_ashrrev_i32_e32 v204, s23, v205
	v_lshlrev_b32_e32 v206, 2, v206
	v_or_b32_sdwa v208, v208, v209 dst_sel:DWORD dst_unused:UNUSED_PAD src0_sel:BYTE_0 src1_sel:DWORD
	v_and_b32_e32 v205, 0x3030303, v204
	v_bfe_u32 v204, v204, 24, 2
	v_and_b32_e32 v206, 0x4040404, v206
	v_or_b32_sdwa v202, v208, v202 dst_sel:DWORD dst_unused:UNUSED_PAD src0_sel:WORD_0 src1_sel:DWORD
	v_sub_u16_e32 v207, v205, v206
	v_sub_u16_sdwa v208, v205, v206 dst_sel:BYTE_1 dst_unused:UNUSED_PAD src0_sel:BYTE_1 src1_sel:BYTE_1
	v_sub_u16_sdwa v204, v204, v206 dst_sel:BYTE_1 dst_unused:UNUSED_PAD src0_sel:DWORD src1_sel:BYTE_3
	v_sub_u16_sdwa v205, v205, v206 dst_sel:DWORD dst_unused:UNUSED_PAD src0_sel:WORD_1 src1_sel:WORD_1
	v_or_b32_sdwa v207, v207, v208 dst_sel:DWORD dst_unused:UNUSED_PAD src0_sel:BYTE_0 src1_sel:DWORD
	v_or_b32_sdwa v204, v205, v204 dst_sel:WORD_1 dst_unused:UNUSED_PAD src0_sel:BYTE_0 src1_sel:DWORD
	v_add_u32_e32 v208, 0x4208, v212
	v_or_b32_sdwa v204, v207, v204 dst_sel:DWORD dst_unused:UNUSED_PAD src0_sel:WORD_0 src1_sel:DWORD
	ds_read2_b32 v[206:207], v87 offset0:2 offset1:3
	ds_read2_b32 v[208:209], v208 offset1:1
	s_waitcnt lgkmcnt(1)
	v_ashrrev_i32_e32 v205, s23, v206
	s_waitcnt lgkmcnt(0)
	v_ashrrev_i32_e32 v208, s20, v208
	v_lshlrev_b32_e32 v208, 2, v208
	v_and_b32_e32 v206, 0x3030303, v205
	v_bfe_u32 v205, v205, 24, 2
	v_and_b32_e32 v208, 0x4040404, v208
	v_sub_u16_e32 v210, v206, v208
	v_sub_u16_sdwa v211, v206, v208 dst_sel:BYTE_1 dst_unused:UNUSED_PAD src0_sel:BYTE_1 src1_sel:BYTE_1
	v_sub_u16_sdwa v205, v205, v208 dst_sel:BYTE_1 dst_unused:UNUSED_PAD src0_sel:DWORD src1_sel:BYTE_3
	v_sub_u16_sdwa v206, v206, v208 dst_sel:DWORD dst_unused:UNUSED_PAD src0_sel:WORD_1 src1_sel:WORD_1
	v_ashrrev_i32_e32 v208, s20, v209
	v_or_b32_sdwa v205, v206, v205 dst_sel:WORD_1 dst_unused:UNUSED_PAD src0_sel:BYTE_0 src1_sel:DWORD
	v_ashrrev_i32_e32 v206, s23, v207
	v_lshlrev_b32_e32 v208, 2, v208
	v_or_b32_sdwa v210, v210, v211 dst_sel:DWORD dst_unused:UNUSED_PAD src0_sel:BYTE_0 src1_sel:DWORD
	v_and_b32_e32 v207, 0x3030303, v206
	v_bfe_u32 v206, v206, 24, 2
	v_and_b32_e32 v208, 0x4040404, v208
	v_or_b32_sdwa v205, v210, v205 dst_sel:DWORD dst_unused:UNUSED_PAD src0_sel:WORD_0 src1_sel:DWORD
	v_sub_u16_e32 v209, v207, v208
	v_sub_u16_sdwa v210, v207, v208 dst_sel:BYTE_1 dst_unused:UNUSED_PAD src0_sel:BYTE_1 src1_sel:BYTE_1
	v_sub_u16_sdwa v206, v206, v208 dst_sel:BYTE_1 dst_unused:UNUSED_PAD src0_sel:DWORD src1_sel:BYTE_3
	v_sub_u16_sdwa v207, v207, v208 dst_sel:DWORD dst_unused:UNUSED_PAD src0_sel:WORD_1 src1_sel:WORD_1
	v_or_b32_sdwa v209, v209, v210 dst_sel:DWORD dst_unused:UNUSED_PAD src0_sel:BYTE_0 src1_sel:DWORD
	v_or_b32_sdwa v206, v207, v206 dst_sel:WORD_1 dst_unused:UNUSED_PAD src0_sel:BYTE_0 src1_sel:DWORD
	v_add_u32_e32 v210, 0x4210, v212
	v_or_b32_sdwa v206, v209, v206 dst_sel:DWORD dst_unused:UNUSED_PAD src0_sel:WORD_0 src1_sel:DWORD
	ds_read2_b32 v[208:209], v87 offset0:4 offset1:5
	ds_read2_b32 v[210:211], v210 offset1:1
	s_waitcnt lgkmcnt(1)
	v_ashrrev_i32_e32 v207, s23, v208
	s_waitcnt lgkmcnt(0)
	v_ashrrev_i32_e32 v210, s20, v210
	v_lshlrev_b32_e32 v210, 2, v210
	v_and_b32_e32 v208, 0x3030303, v207
	v_bfe_u32 v207, v207, 24, 2
	v_and_b32_e32 v210, 0x4040404, v210
	v_sub_u16_e32 v213, v208, v210
	v_sub_u16_sdwa v214, v208, v210 dst_sel:BYTE_1 dst_unused:UNUSED_PAD src0_sel:BYTE_1 src1_sel:BYTE_1
	v_sub_u16_sdwa v207, v207, v210 dst_sel:BYTE_1 dst_unused:UNUSED_PAD src0_sel:DWORD src1_sel:BYTE_3
	v_sub_u16_sdwa v208, v208, v210 dst_sel:DWORD dst_unused:UNUSED_PAD src0_sel:WORD_1 src1_sel:WORD_1
	v_ashrrev_i32_e32 v210, s20, v211
	v_or_b32_sdwa v207, v208, v207 dst_sel:WORD_1 dst_unused:UNUSED_PAD src0_sel:BYTE_0 src1_sel:DWORD
	v_ashrrev_i32_e32 v208, s23, v209
	v_lshlrev_b32_e32 v210, 2, v210
	v_or_b32_sdwa v213, v213, v214 dst_sel:DWORD dst_unused:UNUSED_PAD src0_sel:BYTE_0 src1_sel:DWORD
	v_and_b32_e32 v209, 0x3030303, v208
	v_bfe_u32 v208, v208, 24, 2
	v_and_b32_e32 v210, 0x4040404, v210
	v_or_b32_sdwa v207, v213, v207 dst_sel:DWORD dst_unused:UNUSED_PAD src0_sel:WORD_0 src1_sel:DWORD
	v_sub_u16_e32 v211, v209, v210
	v_sub_u16_sdwa v213, v209, v210 dst_sel:BYTE_1 dst_unused:UNUSED_PAD src0_sel:BYTE_1 src1_sel:BYTE_1
	v_sub_u16_sdwa v208, v208, v210 dst_sel:BYTE_1 dst_unused:UNUSED_PAD src0_sel:DWORD src1_sel:BYTE_3
	v_sub_u16_sdwa v209, v209, v210 dst_sel:DWORD dst_unused:UNUSED_PAD src0_sel:WORD_1 src1_sel:WORD_1
	v_or_b32_sdwa v211, v211, v213 dst_sel:DWORD dst_unused:UNUSED_PAD src0_sel:BYTE_0 src1_sel:DWORD
	v_or_b32_sdwa v208, v209, v208 dst_sel:WORD_1 dst_unused:UNUSED_PAD src0_sel:BYTE_0 src1_sel:DWORD
	s_nop 0
	v_or_b32_sdwa v209, v211, v208 dst_sel:DWORD dst_unused:UNUSED_PAD src0_sel:WORD_0 src1_sel:DWORD
	ds_read2_b32 v[210:211], v87 offset0:6 offset1:7
	s_waitcnt lgkmcnt(0)
	v_ashrrev_i32_e32 v87, s23, v210
	v_add_u32_e32 v210, 0x4218, v212
	ds_read2_b32 v[212:213], v210 offset1:1
	v_and_b32_e32 v208, 0x3030303, v87
	v_bfe_u32 v87, v87, 24, 2
	s_waitcnt lgkmcnt(0)
	v_ashrrev_i32_e32 v210, s20, v212
	v_lshlrev_b32_e32 v210, 2, v210
	v_and_b32_e32 v210, 0x4040404, v210
	v_sub_u16_e32 v212, v208, v210
	v_sub_u16_sdwa v214, v208, v210 dst_sel:BYTE_1 dst_unused:UNUSED_PAD src0_sel:BYTE_1 src1_sel:BYTE_1
	v_sub_u16_sdwa v87, v87, v210 dst_sel:BYTE_1 dst_unused:UNUSED_PAD src0_sel:DWORD src1_sel:BYTE_3
	v_sub_u16_sdwa v208, v208, v210 dst_sel:DWORD dst_unused:UNUSED_PAD src0_sel:WORD_1 src1_sel:WORD_1
	v_or_b32_sdwa v212, v212, v214 dst_sel:DWORD dst_unused:UNUSED_PAD src0_sel:BYTE_0 src1_sel:DWORD
	v_or_b32_sdwa v87, v208, v87 dst_sel:WORD_1 dst_unused:UNUSED_PAD src0_sel:BYTE_0 src1_sel:DWORD
	s_nop 0
	v_or_b32_sdwa v210, v212, v87 dst_sel:DWORD dst_unused:UNUSED_PAD src0_sel:WORD_0 src1_sel:DWORD
	v_ashrrev_i32_e32 v87, s23, v211
	v_ashrrev_i32_e32 v211, s20, v213
	v_lshlrev_b32_e32 v211, 2, v211
	v_and_b32_e32 v208, 0x3030303, v87
	v_bfe_u32 v87, v87, 24, 2
	v_and_b32_e32 v211, 0x4040404, v211
	v_sub_u16_e32 v212, v208, v211
	v_sub_u16_sdwa v213, v208, v211 dst_sel:BYTE_1 dst_unused:UNUSED_PAD src0_sel:BYTE_1 src1_sel:BYTE_1
	v_sub_u16_sdwa v87, v87, v211 dst_sel:BYTE_1 dst_unused:UNUSED_PAD src0_sel:DWORD src1_sel:BYTE_3
	v_sub_u16_sdwa v208, v208, v211 dst_sel:DWORD dst_unused:UNUSED_PAD src0_sel:WORD_1 src1_sel:WORD_1
	v_or_b32_sdwa v212, v212, v213 dst_sel:DWORD dst_unused:UNUSED_PAD src0_sel:BYTE_0 src1_sel:DWORD
	v_or_b32_sdwa v87, v208, v87 dst_sel:WORD_1 dst_unused:UNUSED_PAD src0_sel:BYTE_0 src1_sel:DWORD
	s_add_i32 s20, s20, 1
	v_or_b32_sdwa v211, v212, v87 dst_sel:DWORD dst_unused:UNUSED_PAD src0_sel:WORD_0 src1_sel:DWORD
	v_add_u32_e32 v87, s26, v140
	ds_read_b32 v208, v87
	v_mov_b32_e32 v87, 0
	v_dot4c_i32_i8_e32 v87, v202, v4
	ds_read_u16 v4, v86 offset:36594
	v_dot4c_i32_i8_e32 v87, v204, v5
	v_dot4c_i32_i8_e32 v87, v205, v6
	v_mov_b32_e32 v6, 0
	v_dot4c_i32_i8_e32 v6, v207, v0
	v_dot4c_i32_i8_e32 v6, v209, v1
	;; [unrolled: 1-line block ×3, first 2 shown]
	s_waitcnt lgkmcnt(0)
	v_lshrrev_b16_e32 v5, 8, v4
	v_bfe_i32 v212, v4, 0, 8
	v_dot4c_i32_i8_e32 v6, v210, v2
	v_mul_lo_u32 v4, v87, v212
	v_dot4c_i32_i8_e32 v6, v211, v3
	v_bfe_i32 v213, v5, 0, 8
	v_mov_b32_e32 v86, 0
	s_cmp_lt_u32 s21, 22
	v_mad_u64_u32 v[0:1], s[22:23], v6, v213, v[4:5]
	v_cvt_f32_i32_e32 v0, v0
	v_mul_f32_e32 v1, v84, v208
	v_mov_b32_e32 v84, 0
	v_fmac_f32_e32 v106, v1, v0
	ds_read_b128 v[0:3], v168 offset:1024
	ds_read_b128 v[4:7], v168 offset:1040
	s_waitcnt lgkmcnt(1)
	v_dot4c_i32_i8_e32 v84, v170, v0
	v_dot4c_i32_i8_e32 v84, v171, v1
	s_waitcnt lgkmcnt(0)
	v_dot4c_i32_i8_e32 v86, v175, v4
	v_dot4c_i32_i8_e32 v84, v172, v2
	;; [unrolled: 1-line block ×6, first 2 shown]
	s_nop 0
	v_mul_lo_u32 v84, v84, v179
	s_nop 0
	v_mad_u64_u32 v[86:87], s[22:23], v86, v181, v[84:85]
	v_cvt_f32_i32_e32 v86, v86
	v_mul_f32_e32 v84, v174, v85
	v_fmac_f32_e32 v105, v84, v86
	v_mov_b32_e32 v84, 0
	v_dot4c_i32_i8_e32 v84, v180, v0
	v_mov_b32_e32 v86, 0
	v_dot4c_i32_i8_e32 v84, v182, v1
	v_dot4c_i32_i8_e32 v86, v185, v4
	;; [unrolled: 1-line block ×7, first 2 shown]
	s_nop 0
	v_mul_lo_u32 v84, v84, v190
	s_nop 0
	v_mad_u64_u32 v[86:87], s[22:23], v86, v192, v[84:85]
	v_cvt_f32_i32_e32 v86, v86
	v_mul_f32_e32 v84, v186, v85
	v_fmac_f32_e32 v104, v84, v86
	v_mov_b32_e32 v84, 0
	v_dot4c_i32_i8_e32 v84, v191, v0
	v_mov_b32_e32 v86, 0
	v_dot4c_i32_i8_e32 v84, v193, v1
	v_dot4c_i32_i8_e32 v86, v196, v4
	;; [unrolled: 1-line block ×7, first 2 shown]
	s_nop 0
	v_mul_lo_u32 v84, v84, v201
	s_nop 0
	v_mad_u64_u32 v[86:87], s[22:23], v86, v203, v[84:85]
	v_cvt_f32_i32_e32 v86, v86
	v_mul_f32_e32 v84, v197, v85
	v_mov_b32_e32 v87, 0
	v_fmac_f32_e32 v101, v84, v86
	v_mov_b32_e32 v84, 0
	v_dot4c_i32_i8_e32 v84, v202, v0
	v_dot4c_i32_i8_e32 v84, v204, v1
	v_mov_b32_e32 v1, 0
	v_dot4c_i32_i8_e32 v1, v207, v4
	v_dot4c_i32_i8_e32 v84, v205, v2
	;; [unrolled: 1-line block ×6, first 2 shown]
	v_mov_b32_e32 v86, 0
	v_mul_lo_u32 v0, v84, v212
	s_nop 0
	v_mad_u64_u32 v[0:1], s[22:23], v1, v213, v[0:1]
	v_cvt_f32_i32_e32 v0, v0
	v_mul_f32_e32 v1, v208, v85
	v_fmac_f32_e32 v99, v1, v0
	ds_read2_b32 v[84:85], v169 offset0:64 offset1:96
	ds_read_b128 v[0:3], v168 offset:2048
	ds_read_b128 v[4:7], v168 offset:2064
	s_waitcnt lgkmcnt(1)
	v_dot4c_i32_i8_e32 v86, v170, v0
	v_dot4c_i32_i8_e32 v86, v171, v1
	s_waitcnt lgkmcnt(0)
	v_dot4c_i32_i8_e32 v87, v175, v4
	v_dot4c_i32_i8_e32 v86, v172, v2
	;; [unrolled: 1-line block ×6, first 2 shown]
	s_nop 0
	v_mul_lo_u32 v86, v86, v179
	s_nop 0
	v_mad_u64_u32 v[86:87], s[22:23], v87, v181, v[86:87]
	v_cvt_f32_i32_e32 v86, v86
	v_mul_f32_e32 v87, v174, v84
	v_fmac_f32_e32 v98, v87, v86
	v_mov_b32_e32 v86, 0
	v_dot4c_i32_i8_e32 v86, v180, v0
	v_mov_b32_e32 v87, 0
	v_dot4c_i32_i8_e32 v86, v182, v1
	v_dot4c_i32_i8_e32 v87, v185, v4
	;; [unrolled: 1-line block ×7, first 2 shown]
	s_nop 0
	v_mul_lo_u32 v86, v86, v190
	s_nop 0
	v_mad_u64_u32 v[86:87], s[22:23], v87, v192, v[86:87]
	v_cvt_f32_i32_e32 v86, v86
	v_mul_f32_e32 v87, v186, v84
	v_fmac_f32_e32 v97, v87, v86
	v_mov_b32_e32 v86, 0
	v_dot4c_i32_i8_e32 v86, v191, v0
	v_mov_b32_e32 v87, 0
	v_dot4c_i32_i8_e32 v86, v193, v1
	v_dot4c_i32_i8_e32 v87, v196, v4
	;; [unrolled: 1-line block ×7, first 2 shown]
	s_nop 0
	v_mul_lo_u32 v86, v86, v201
	s_nop 0
	v_mad_u64_u32 v[86:87], s[22:23], v87, v203, v[86:87]
	v_cvt_f32_i32_e32 v86, v86
	v_mul_f32_e32 v87, v197, v84
	v_fmac_f32_e32 v96, v87, v86
	v_mov_b32_e32 v86, 0
	v_dot4c_i32_i8_e32 v86, v202, v0
	v_dot4c_i32_i8_e32 v86, v204, v1
	v_mov_b32_e32 v1, 0
	v_dot4c_i32_i8_e32 v1, v207, v4
	v_dot4c_i32_i8_e32 v86, v205, v2
	;; [unrolled: 1-line block ×6, first 2 shown]
	s_nop 0
	v_mul_lo_u32 v0, v86, v212
	v_mov_b32_e32 v86, 0
	v_mad_u64_u32 v[0:1], s[22:23], v1, v213, v[0:1]
	v_cvt_f32_i32_e32 v0, v0
	v_mul_f32_e32 v1, v208, v84
	v_mov_b32_e32 v84, 0
	v_fmac_f32_e32 v83, v1, v0
	ds_read_b128 v[0:3], v168 offset:3072
	ds_read_b128 v[4:7], v168 offset:3088
	s_waitcnt lgkmcnt(1)
	v_dot4c_i32_i8_e32 v84, v170, v0
	v_dot4c_i32_i8_e32 v84, v171, v1
	s_waitcnt lgkmcnt(0)
	v_dot4c_i32_i8_e32 v86, v175, v4
	v_dot4c_i32_i8_e32 v84, v172, v2
	;; [unrolled: 1-line block ×6, first 2 shown]
	s_nop 0
	v_mul_lo_u32 v84, v84, v179
	s_nop 0
	v_mad_u64_u32 v[86:87], s[22:23], v86, v181, v[84:85]
	v_cvt_f32_i32_e32 v86, v86
	v_mul_f32_e32 v84, v174, v85
	v_fmac_f32_e32 v77, v84, v86
	v_mov_b32_e32 v84, 0
	v_dot4c_i32_i8_e32 v84, v180, v0
	v_mov_b32_e32 v86, 0
	v_dot4c_i32_i8_e32 v84, v182, v1
	v_dot4c_i32_i8_e32 v86, v185, v4
	;; [unrolled: 1-line block ×7, first 2 shown]
	s_nop 0
	v_mul_lo_u32 v84, v84, v190
	s_nop 0
	v_mad_u64_u32 v[86:87], s[22:23], v86, v192, v[84:85]
	v_cvt_f32_i32_e32 v86, v86
	v_mul_f32_e32 v84, v186, v85
	v_fmac_f32_e32 v63, v84, v86
	v_mov_b32_e32 v84, 0
	v_dot4c_i32_i8_e32 v84, v191, v0
	v_mov_b32_e32 v86, 0
	v_dot4c_i32_i8_e32 v84, v193, v1
	v_dot4c_i32_i8_e32 v86, v196, v4
	;; [unrolled: 1-line block ×7, first 2 shown]
	s_nop 0
	v_mul_lo_u32 v84, v84, v201
	s_nop 0
	v_mad_u64_u32 v[86:87], s[22:23], v86, v203, v[84:85]
	v_cvt_f32_i32_e32 v86, v86
	v_mul_f32_e32 v84, v197, v85
	v_mov_b32_e32 v87, 0
	v_fmac_f32_e32 v53, v84, v86
	v_mov_b32_e32 v84, 0
	v_dot4c_i32_i8_e32 v84, v202, v0
	v_dot4c_i32_i8_e32 v84, v204, v1
	v_mov_b32_e32 v1, 0
	v_dot4c_i32_i8_e32 v1, v207, v4
	v_dot4c_i32_i8_e32 v84, v205, v2
	;; [unrolled: 1-line block ×6, first 2 shown]
	v_mov_b32_e32 v86, 0
	v_mul_lo_u32 v0, v84, v212
	s_nop 0
	v_mad_u64_u32 v[0:1], s[22:23], v1, v213, v[0:1]
	v_cvt_f32_i32_e32 v0, v0
	v_mul_f32_e32 v1, v208, v85
	v_fmac_f32_e32 v47, v1, v0
	ds_read2_b32 v[84:85], v169 offset0:128 offset1:160
	ds_read_b128 v[0:3], v168 offset:4096
	ds_read_b128 v[4:7], v168 offset:4112
	s_waitcnt lgkmcnt(1)
	v_dot4c_i32_i8_e32 v86, v170, v0
	v_dot4c_i32_i8_e32 v86, v171, v1
	s_waitcnt lgkmcnt(0)
	v_dot4c_i32_i8_e32 v87, v175, v4
	v_dot4c_i32_i8_e32 v86, v172, v2
	;; [unrolled: 1-line block ×6, first 2 shown]
	s_nop 0
	v_mul_lo_u32 v86, v86, v179
	s_nop 0
	v_mad_u64_u32 v[86:87], s[22:23], v87, v181, v[86:87]
	v_cvt_f32_i32_e32 v86, v86
	v_mul_f32_e32 v87, v174, v84
	v_fmac_f32_e32 v45, v87, v86
	v_mov_b32_e32 v86, 0
	v_dot4c_i32_i8_e32 v86, v180, v0
	v_mov_b32_e32 v87, 0
	v_dot4c_i32_i8_e32 v86, v182, v1
	v_dot4c_i32_i8_e32 v87, v185, v4
	v_dot4c_i32_i8_e32 v86, v183, v2
	v_dot4c_i32_i8_e32 v87, v187, v5
	v_dot4c_i32_i8_e32 v86, v184, v3
	v_dot4c_i32_i8_e32 v87, v188, v6
	v_dot4c_i32_i8_e32 v87, v189, v7
	s_nop 0
	v_mul_lo_u32 v86, v86, v190
	s_nop 0
	v_mad_u64_u32 v[86:87], s[22:23], v87, v192, v[86:87]
	v_cvt_f32_i32_e32 v86, v86
	v_mul_f32_e32 v87, v186, v84
	v_fmac_f32_e32 v43, v87, v86
	v_mov_b32_e32 v86, 0
	v_dot4c_i32_i8_e32 v86, v191, v0
	v_mov_b32_e32 v87, 0
	v_dot4c_i32_i8_e32 v86, v193, v1
	v_dot4c_i32_i8_e32 v87, v196, v4
	v_dot4c_i32_i8_e32 v86, v194, v2
	v_dot4c_i32_i8_e32 v87, v198, v5
	v_dot4c_i32_i8_e32 v86, v195, v3
	v_dot4c_i32_i8_e32 v87, v199, v6
	v_dot4c_i32_i8_e32 v87, v200, v7
	s_nop 0
	v_mul_lo_u32 v86, v86, v201
	s_nop 0
	v_mad_u64_u32 v[86:87], s[22:23], v87, v203, v[86:87]
	v_cvt_f32_i32_e32 v86, v86
	v_mul_f32_e32 v87, v197, v84
	v_fmac_f32_e32 v41, v87, v86
	v_mov_b32_e32 v86, 0
	v_dot4c_i32_i8_e32 v86, v202, v0
	v_dot4c_i32_i8_e32 v86, v204, v1
	v_mov_b32_e32 v1, 0
	v_dot4c_i32_i8_e32 v1, v207, v4
	v_dot4c_i32_i8_e32 v86, v205, v2
	;; [unrolled: 1-line block ×6, first 2 shown]
	s_nop 0
	v_mul_lo_u32 v0, v86, v212
	v_mov_b32_e32 v86, 0
	v_mad_u64_u32 v[0:1], s[22:23], v1, v213, v[0:1]
	v_cvt_f32_i32_e32 v0, v0
	v_mul_f32_e32 v1, v208, v84
	v_mov_b32_e32 v84, 0
	v_fmac_f32_e32 v39, v1, v0
	ds_read_b128 v[0:3], v168 offset:5120
	ds_read_b128 v[4:7], v168 offset:5136
	s_waitcnt lgkmcnt(1)
	v_dot4c_i32_i8_e32 v84, v170, v0
	v_dot4c_i32_i8_e32 v84, v171, v1
	s_waitcnt lgkmcnt(0)
	v_dot4c_i32_i8_e32 v86, v175, v4
	v_dot4c_i32_i8_e32 v84, v172, v2
	;; [unrolled: 1-line block ×6, first 2 shown]
	s_nop 0
	v_mul_lo_u32 v84, v84, v179
	s_nop 0
	v_mad_u64_u32 v[86:87], s[22:23], v86, v181, v[84:85]
	v_cvt_f32_i32_e32 v86, v86
	v_mul_f32_e32 v84, v174, v85
	v_fmac_f32_e32 v37, v84, v86
	v_mov_b32_e32 v84, 0
	v_dot4c_i32_i8_e32 v84, v180, v0
	v_mov_b32_e32 v86, 0
	v_dot4c_i32_i8_e32 v84, v182, v1
	v_dot4c_i32_i8_e32 v86, v185, v4
	;; [unrolled: 1-line block ×7, first 2 shown]
	s_nop 0
	v_mul_lo_u32 v84, v84, v190
	s_nop 0
	v_mad_u64_u32 v[86:87], s[22:23], v86, v192, v[84:85]
	v_cvt_f32_i32_e32 v86, v86
	v_mul_f32_e32 v84, v186, v85
	v_fmac_f32_e32 v35, v84, v86
	v_mov_b32_e32 v84, 0
	v_dot4c_i32_i8_e32 v84, v191, v0
	v_mov_b32_e32 v86, 0
	v_dot4c_i32_i8_e32 v84, v193, v1
	v_dot4c_i32_i8_e32 v86, v196, v4
	;; [unrolled: 1-line block ×7, first 2 shown]
	s_nop 0
	v_mul_lo_u32 v84, v84, v201
	s_nop 0
	v_mad_u64_u32 v[86:87], s[22:23], v86, v203, v[84:85]
	v_cvt_f32_i32_e32 v86, v86
	v_mul_f32_e32 v84, v197, v85
	v_mov_b32_e32 v87, 0
	v_fmac_f32_e32 v33, v84, v86
	v_mov_b32_e32 v84, 0
	v_dot4c_i32_i8_e32 v84, v202, v0
	v_dot4c_i32_i8_e32 v84, v204, v1
	v_mov_b32_e32 v1, 0
	v_dot4c_i32_i8_e32 v1, v207, v4
	v_dot4c_i32_i8_e32 v84, v205, v2
	v_dot4c_i32_i8_e32 v1, v209, v5
	v_dot4c_i32_i8_e32 v84, v206, v3
	v_dot4c_i32_i8_e32 v1, v210, v6
	v_dot4c_i32_i8_e32 v1, v211, v7
	v_mov_b32_e32 v86, 0
	v_mul_lo_u32 v0, v84, v212
	s_nop 0
	v_mad_u64_u32 v[0:1], s[22:23], v1, v213, v[0:1]
	v_cvt_f32_i32_e32 v0, v0
	v_mul_f32_e32 v1, v208, v85
	v_fmac_f32_e32 v29, v1, v0
	ds_read2_b32 v[84:85], v169 offset0:192 offset1:224
	ds_read_b128 v[4:7], v168 offset:6144
	ds_read_b128 v[0:3], v168 offset:6160
	v_add_u32_e32 v169, 4, v169
	s_waitcnt lgkmcnt(1)
	v_dot4c_i32_i8_e32 v86, v170, v4
	v_dot4c_i32_i8_e32 v86, v171, v5
	s_waitcnt lgkmcnt(0)
	v_dot4c_i32_i8_e32 v87, v175, v0
	v_dot4c_i32_i8_e32 v86, v172, v6
	v_dot4c_i32_i8_e32 v87, v176, v1
	v_dot4c_i32_i8_e32 v86, v173, v7
	v_dot4c_i32_i8_e32 v87, v177, v2
	v_dot4c_i32_i8_e32 v87, v178, v3
	s_nop 0
	v_mul_lo_u32 v86, v86, v179
	s_nop 0
	v_mad_u64_u32 v[86:87], s[22:23], v87, v181, v[86:87]
	v_cvt_f32_i32_e32 v86, v86
	v_mul_f32_e32 v87, v174, v84
	v_fmac_f32_e32 v25, v87, v86
	v_mov_b32_e32 v86, 0
	v_dot4c_i32_i8_e32 v86, v180, v4
	v_mov_b32_e32 v87, 0
	v_dot4c_i32_i8_e32 v86, v182, v5
	v_dot4c_i32_i8_e32 v87, v185, v0
	;; [unrolled: 1-line block ×7, first 2 shown]
	s_nop 0
	v_mul_lo_u32 v86, v86, v190
	s_nop 0
	v_mad_u64_u32 v[86:87], s[22:23], v87, v192, v[86:87]
	v_cvt_f32_i32_e32 v86, v86
	v_mul_f32_e32 v87, v186, v84
	v_fmac_f32_e32 v23, v87, v86
	v_mov_b32_e32 v86, 0
	v_dot4c_i32_i8_e32 v86, v191, v4
	v_mov_b32_e32 v87, 0
	v_dot4c_i32_i8_e32 v86, v193, v5
	v_dot4c_i32_i8_e32 v87, v196, v0
	;; [unrolled: 1-line block ×7, first 2 shown]
	s_nop 0
	v_mul_lo_u32 v86, v86, v201
	s_nop 0
	v_mad_u64_u32 v[86:87], s[22:23], v87, v203, v[86:87]
	v_cvt_f32_i32_e32 v86, v86
	v_mul_f32_e32 v87, v197, v84
	v_fmac_f32_e32 v21, v87, v86
	v_mov_b32_e32 v86, 0
	v_dot4c_i32_i8_e32 v86, v202, v4
	v_dot4c_i32_i8_e32 v86, v204, v5
	v_mov_b32_e32 v5, 0
	v_dot4c_i32_i8_e32 v5, v207, v0
	v_dot4c_i32_i8_e32 v86, v205, v6
	;; [unrolled: 1-line block ×6, first 2 shown]
	s_nop 0
	v_mul_lo_u32 v4, v86, v212
	v_mov_b32_e32 v86, 0
	v_mad_u64_u32 v[0:1], s[22:23], v5, v213, v[4:5]
	v_cvt_f32_i32_e32 v0, v0
	v_mul_f32_e32 v1, v208, v84
	v_mov_b32_e32 v84, 0
	v_fmac_f32_e32 v19, v1, v0
	ds_read_b128 v[0:3], v168 offset:7168
	ds_read_b128 v[4:7], v168 offset:7184
	v_add_u32_e32 v168, 32, v168
	s_waitcnt lgkmcnt(1)
	v_dot4c_i32_i8_e32 v84, v170, v0
	v_dot4c_i32_i8_e32 v84, v171, v1
	s_waitcnt lgkmcnt(0)
	v_dot4c_i32_i8_e32 v86, v175, v4
	v_dot4c_i32_i8_e32 v84, v172, v2
	;; [unrolled: 1-line block ×6, first 2 shown]
	s_nop 0
	v_mul_lo_u32 v84, v84, v179
	s_nop 0
	v_mad_u64_u32 v[86:87], s[22:23], v86, v181, v[84:85]
	v_cvt_f32_i32_e32 v86, v86
	v_mul_f32_e32 v84, v174, v85
	v_fmac_f32_e32 v17, v84, v86
	v_mov_b32_e32 v84, 0
	v_dot4c_i32_i8_e32 v84, v180, v0
	v_mov_b32_e32 v86, 0
	v_dot4c_i32_i8_e32 v84, v182, v1
	v_dot4c_i32_i8_e32 v86, v185, v4
	;; [unrolled: 1-line block ×7, first 2 shown]
	s_nop 0
	v_mul_lo_u32 v84, v84, v190
	s_nop 0
	v_mad_u64_u32 v[86:87], s[22:23], v86, v192, v[84:85]
	v_cvt_f32_i32_e32 v86, v86
	v_mul_f32_e32 v84, v186, v85
	v_fmac_f32_e32 v15, v84, v86
	v_mov_b32_e32 v84, 0
	v_dot4c_i32_i8_e32 v84, v191, v0
	v_mov_b32_e32 v86, 0
	v_dot4c_i32_i8_e32 v84, v193, v1
	v_dot4c_i32_i8_e32 v86, v196, v4
	;; [unrolled: 1-line block ×7, first 2 shown]
	s_nop 0
	v_mul_lo_u32 v84, v84, v201
	s_nop 0
	v_mad_u64_u32 v[86:87], s[22:23], v86, v203, v[84:85]
	v_cvt_f32_i32_e32 v86, v86
	v_mul_f32_e32 v84, v197, v85
	v_fmac_f32_e32 v13, v84, v86
	v_mov_b32_e32 v84, 0
	v_dot4c_i32_i8_e32 v84, v202, v0
	v_dot4c_i32_i8_e32 v84, v204, v1
	v_mov_b32_e32 v1, 0
	v_dot4c_i32_i8_e32 v1, v207, v4
	v_dot4c_i32_i8_e32 v84, v205, v2
	;; [unrolled: 1-line block ×6, first 2 shown]
	s_nop 0
	v_mul_lo_u32 v0, v84, v212
	s_nop 0
	v_mad_u64_u32 v[0:1], s[22:23], v1, v213, v[0:1]
	v_cvt_f32_i32_e32 v0, v0
	v_mul_f32_e32 v1, v208, v85
	s_mov_b32 s22, s21
	v_fmac_f32_e32 v9, v1, v0
	s_cbranch_scc1 .LBB129_12
; %bb.13:                               ;   in Loop: Header=BB129_6 Depth=1
	v_add_u32_e32 v170, s18, v143
	v_add_u32_e32 v0, v170, v108
	;; [unrolled: 1-line block ×6, first 2 shown]
	v_mad_i64_i32 v[0:1], s[18:19], v0, 36, v[80:81]
	v_mad_i64_i32 v[2:3], s[18:19], v2, 36, v[80:81]
	;; [unrolled: 1-line block ×4, first 2 shown]
	v_add_u32_e32 v84, v170, v119
	v_add_u32_e32 v86, v170, v121
	;; [unrolled: 1-line block ×4, first 2 shown]
	v_mad_u64_u32 v[172:173], s[18:19], v167, 36, s[2:3]
	s_barrier
	v_mad_i64_i32 v[84:85], s[18:19], v84, 36, v[80:81]
	v_mad_i64_i32 v[86:87], s[18:19], v86, 36, v[80:81]
	;; [unrolled: 1-line block ×4, first 2 shown]
	global_load_dword v172, v[172:173], off
	s_nop 0
	global_load_dword v0, v[0:1], off offset:4
	s_nop 0
	global_load_dword v1, v[2:3], off offset:4
	s_nop 0
	global_load_dword v2, v[4:5], off offset:4
	global_load_dword v3, v[6:7], off offset:4
	s_nop 0
	global_load_dword v4, v[84:85], off offset:4
	global_load_dword v5, v[86:87], off offset:4
	;; [unrolled: 1-line block ×4, first 2 shown]
	s_mov_b32 s18, 24
	s_mov_b32 s21, 22
	s_mov_b32 s19, 4
	v_mov_b32_e32 v167, v153
	v_mov_b32_e32 v168, v152
	s_waitcnt vmcnt(8)
	v_cvt_f32_f16_e32 v84, v172
	s_waitcnt vmcnt(7)
	ds_write_b32 v110, v0
	s_waitcnt vmcnt(6)
	ds_write_b32 v113, v1
	;; [unrolled: 2-line block ×8, first 2 shown]
	ds_write_b32 v107, v84
	s_waitcnt lgkmcnt(0)
	s_barrier
.LBB129_14:                             ;   Parent Loop BB129_6 Depth=1
                                        ; =>  This Inner Loop Header: Depth=2
	s_add_i32 s20, s21, 2
	s_lshr_b32 s25, s20, 4
	s_and_b32 s24, s20, 0x3ffffff8
	s_lshl_b32 s23, s25, 3
	s_lshl_b32 s24, s24, 2
	v_add_lshl_u32 v178, v129, s23, 2
	v_add_u32_e32 v87, s24, v130
	v_add_u32_e32 v172, 0x4200, v178
	ds_read2_b32 v[84:85], v168 offset1:32
	ds_read_b128 v[4:7], v167
	ds_read_b128 v[0:3], v167 offset:16
	ds_read2_b32 v[170:171], v87 offset1:1
	ds_read2_b32 v[172:173], v172 offset1:1
	s_and_b32 s22, s18, -16
	v_add_u32_e32 v86, s22, v128
	s_sub_i32 s22, s21, 22
	s_waitcnt lgkmcnt(1)
	v_ashrrev_i32_e32 v169, s22, v170
	s_waitcnt lgkmcnt(0)
	v_ashrrev_i32_e32 v172, s19, v172
	v_lshlrev_b32_e32 v172, 2, v172
	v_and_b32_e32 v170, 0x3030303, v169
	v_bfe_u32 v169, v169, 24, 2
	v_and_b32_e32 v172, 0x4040404, v172
	v_sub_u16_e32 v174, v170, v172
	v_sub_u16_sdwa v175, v170, v172 dst_sel:BYTE_1 dst_unused:UNUSED_PAD src0_sel:BYTE_1 src1_sel:BYTE_1
	v_sub_u16_sdwa v169, v169, v172 dst_sel:BYTE_1 dst_unused:UNUSED_PAD src0_sel:DWORD src1_sel:BYTE_3
	v_sub_u16_sdwa v170, v170, v172 dst_sel:DWORD dst_unused:UNUSED_PAD src0_sel:WORD_1 src1_sel:WORD_1
	v_ashrrev_i32_e32 v172, s19, v173
	v_or_b32_sdwa v169, v170, v169 dst_sel:WORD_1 dst_unused:UNUSED_PAD src0_sel:BYTE_0 src1_sel:DWORD
	v_ashrrev_i32_e32 v170, s22, v171
	v_lshlrev_b32_e32 v172, 2, v172
	v_or_b32_sdwa v174, v174, v175 dst_sel:DWORD dst_unused:UNUSED_PAD src0_sel:BYTE_0 src1_sel:DWORD
	v_and_b32_e32 v171, 0x3030303, v170
	v_bfe_u32 v170, v170, 24, 2
	v_and_b32_e32 v172, 0x4040404, v172
	v_or_b32_sdwa v169, v174, v169 dst_sel:DWORD dst_unused:UNUSED_PAD src0_sel:WORD_0 src1_sel:DWORD
	v_sub_u16_e32 v173, v171, v172
	v_sub_u16_sdwa v174, v171, v172 dst_sel:BYTE_1 dst_unused:UNUSED_PAD src0_sel:BYTE_1 src1_sel:BYTE_1
	v_sub_u16_sdwa v170, v170, v172 dst_sel:BYTE_1 dst_unused:UNUSED_PAD src0_sel:DWORD src1_sel:BYTE_3
	v_sub_u16_sdwa v171, v171, v172 dst_sel:DWORD dst_unused:UNUSED_PAD src0_sel:WORD_1 src1_sel:WORD_1
	v_or_b32_sdwa v173, v173, v174 dst_sel:DWORD dst_unused:UNUSED_PAD src0_sel:BYTE_0 src1_sel:DWORD
	v_or_b32_sdwa v170, v171, v170 dst_sel:WORD_1 dst_unused:UNUSED_PAD src0_sel:BYTE_0 src1_sel:DWORD
	v_add_u32_e32 v174, 0x4208, v178
	v_or_b32_sdwa v170, v173, v170 dst_sel:DWORD dst_unused:UNUSED_PAD src0_sel:WORD_0 src1_sel:DWORD
	ds_read2_b32 v[172:173], v87 offset0:2 offset1:3
	ds_read2_b32 v[174:175], v174 offset1:1
	s_lshl_b32 s25, s25, 2
	v_add_lshl_u32 v200, v135, s23, 2
	v_add_lshl_u32 v190, v132, s23, 2
	s_waitcnt lgkmcnt(1)
	v_ashrrev_i32_e32 v171, s22, v172
	s_waitcnt lgkmcnt(0)
	v_ashrrev_i32_e32 v174, s19, v174
	v_lshlrev_b32_e32 v174, 2, v174
	v_and_b32_e32 v172, 0x3030303, v171
	v_bfe_u32 v171, v171, 24, 2
	v_and_b32_e32 v174, 0x4040404, v174
	v_sub_u16_e32 v176, v172, v174
	v_sub_u16_sdwa v177, v172, v174 dst_sel:BYTE_1 dst_unused:UNUSED_PAD src0_sel:BYTE_1 src1_sel:BYTE_1
	v_sub_u16_sdwa v171, v171, v174 dst_sel:BYTE_1 dst_unused:UNUSED_PAD src0_sel:DWORD src1_sel:BYTE_3
	v_sub_u16_sdwa v172, v172, v174 dst_sel:DWORD dst_unused:UNUSED_PAD src0_sel:WORD_1 src1_sel:WORD_1
	v_ashrrev_i32_e32 v174, s19, v175
	v_or_b32_sdwa v171, v172, v171 dst_sel:WORD_1 dst_unused:UNUSED_PAD src0_sel:BYTE_0 src1_sel:DWORD
	v_ashrrev_i32_e32 v172, s22, v173
	v_lshlrev_b32_e32 v174, 2, v174
	v_or_b32_sdwa v176, v176, v177 dst_sel:DWORD dst_unused:UNUSED_PAD src0_sel:BYTE_0 src1_sel:DWORD
	v_and_b32_e32 v173, 0x3030303, v172
	v_bfe_u32 v172, v172, 24, 2
	v_and_b32_e32 v174, 0x4040404, v174
	v_or_b32_sdwa v171, v176, v171 dst_sel:DWORD dst_unused:UNUSED_PAD src0_sel:WORD_0 src1_sel:DWORD
	v_sub_u16_e32 v175, v173, v174
	v_sub_u16_sdwa v176, v173, v174 dst_sel:BYTE_1 dst_unused:UNUSED_PAD src0_sel:BYTE_1 src1_sel:BYTE_1
	v_sub_u16_sdwa v172, v172, v174 dst_sel:BYTE_1 dst_unused:UNUSED_PAD src0_sel:DWORD src1_sel:BYTE_3
	v_sub_u16_sdwa v173, v173, v174 dst_sel:DWORD dst_unused:UNUSED_PAD src0_sel:WORD_1 src1_sel:WORD_1
	v_or_b32_sdwa v175, v175, v176 dst_sel:DWORD dst_unused:UNUSED_PAD src0_sel:BYTE_0 src1_sel:DWORD
	v_or_b32_sdwa v172, v173, v172 dst_sel:WORD_1 dst_unused:UNUSED_PAD src0_sel:BYTE_0 src1_sel:DWORD
	v_add_u32_e32 v176, 0x4210, v178
	v_or_b32_sdwa v172, v175, v172 dst_sel:DWORD dst_unused:UNUSED_PAD src0_sel:WORD_0 src1_sel:DWORD
	ds_read2_b32 v[174:175], v87 offset0:4 offset1:5
	ds_read2_b32 v[176:177], v176 offset1:1
	v_add_u32_e32 v194, 0x4200, v200
	v_add_lshl_u32 v212, v138, s23, 2
	s_add_i32 s18, s18, 2
	s_waitcnt lgkmcnt(1)
	v_ashrrev_i32_e32 v173, s22, v174
	s_waitcnt lgkmcnt(0)
	v_ashrrev_i32_e32 v176, s19, v176
	v_lshlrev_b32_e32 v176, 2, v176
	v_and_b32_e32 v174, 0x3030303, v173
	v_bfe_u32 v173, v173, 24, 2
	v_and_b32_e32 v176, 0x4040404, v176
	v_sub_u16_e32 v179, v174, v176
	v_sub_u16_sdwa v180, v174, v176 dst_sel:BYTE_1 dst_unused:UNUSED_PAD src0_sel:BYTE_1 src1_sel:BYTE_1
	v_sub_u16_sdwa v173, v173, v176 dst_sel:BYTE_1 dst_unused:UNUSED_PAD src0_sel:DWORD src1_sel:BYTE_3
	v_sub_u16_sdwa v174, v174, v176 dst_sel:DWORD dst_unused:UNUSED_PAD src0_sel:WORD_1 src1_sel:WORD_1
	v_or_b32_sdwa v179, v179, v180 dst_sel:DWORD dst_unused:UNUSED_PAD src0_sel:BYTE_0 src1_sel:DWORD
	v_or_b32_sdwa v173, v174, v173 dst_sel:WORD_1 dst_unused:UNUSED_PAD src0_sel:BYTE_0 src1_sel:DWORD
	v_ashrrev_i32_e32 v176, s19, v177
	v_or_b32_sdwa v174, v179, v173 dst_sel:DWORD dst_unused:UNUSED_PAD src0_sel:WORD_0 src1_sel:DWORD
	v_ashrrev_i32_e32 v173, s22, v175
	v_lshlrev_b32_e32 v176, 2, v176
	v_and_b32_e32 v175, 0x3030303, v173
	v_bfe_u32 v173, v173, 24, 2
	v_and_b32_e32 v176, 0x4040404, v176
	v_sub_u16_e32 v177, v175, v176
	v_sub_u16_sdwa v179, v175, v176 dst_sel:BYTE_1 dst_unused:UNUSED_PAD src0_sel:BYTE_1 src1_sel:BYTE_1
	v_sub_u16_sdwa v173, v173, v176 dst_sel:BYTE_1 dst_unused:UNUSED_PAD src0_sel:DWORD src1_sel:BYTE_3
	v_sub_u16_sdwa v175, v175, v176 dst_sel:DWORD dst_unused:UNUSED_PAD src0_sel:WORD_1 src1_sel:WORD_1
	v_or_b32_sdwa v177, v177, v179 dst_sel:DWORD dst_unused:UNUSED_PAD src0_sel:BYTE_0 src1_sel:DWORD
	v_or_b32_sdwa v173, v175, v173 dst_sel:WORD_1 dst_unused:UNUSED_PAD src0_sel:BYTE_0 src1_sel:DWORD
	ds_read2_b32 v[194:195], v194 offset1:1
	v_or_b32_sdwa v175, v177, v173 dst_sel:DWORD dst_unused:UNUSED_PAD src0_sel:WORD_0 src1_sel:DWORD
	ds_read2_b32 v[176:177], v87 offset0:6 offset1:7
	s_waitcnt lgkmcnt(1)
	v_ashrrev_i32_e32 v194, s19, v194
	v_lshlrev_b32_e32 v194, 2, v194
	s_waitcnt lgkmcnt(0)
	v_ashrrev_i32_e32 v87, s22, v176
	v_add_u32_e32 v176, 0x4218, v178
	ds_read2_b32 v[178:179], v176 offset1:1
	v_and_b32_e32 v173, 0x3030303, v87
	v_bfe_u32 v87, v87, 24, 2
	v_and_b32_e32 v194, 0x4040404, v194
	s_waitcnt lgkmcnt(0)
	v_ashrrev_i32_e32 v176, s19, v178
	v_lshlrev_b32_e32 v176, 2, v176
	v_and_b32_e32 v176, 0x4040404, v176
	v_sub_u16_e32 v178, v173, v176
	v_sub_u16_sdwa v180, v173, v176 dst_sel:BYTE_1 dst_unused:UNUSED_PAD src0_sel:BYTE_1 src1_sel:BYTE_1
	v_sub_u16_sdwa v87, v87, v176 dst_sel:BYTE_1 dst_unused:UNUSED_PAD src0_sel:DWORD src1_sel:BYTE_3
	v_sub_u16_sdwa v173, v173, v176 dst_sel:DWORD dst_unused:UNUSED_PAD src0_sel:WORD_1 src1_sel:WORD_1
	v_or_b32_sdwa v178, v178, v180 dst_sel:DWORD dst_unused:UNUSED_PAD src0_sel:BYTE_0 src1_sel:DWORD
	v_or_b32_sdwa v87, v173, v87 dst_sel:WORD_1 dst_unused:UNUSED_PAD src0_sel:BYTE_0 src1_sel:DWORD
	s_nop 0
	v_or_b32_sdwa v176, v178, v87 dst_sel:DWORD dst_unused:UNUSED_PAD src0_sel:WORD_0 src1_sel:DWORD
	v_ashrrev_i32_e32 v87, s22, v177
	v_ashrrev_i32_e32 v177, s19, v179
	v_lshlrev_b32_e32 v177, 2, v177
	v_and_b32_e32 v173, 0x3030303, v87
	v_bfe_u32 v87, v87, 24, 2
	v_and_b32_e32 v177, 0x4040404, v177
	v_sub_u16_e32 v178, v173, v177
	v_sub_u16_sdwa v179, v173, v177 dst_sel:BYTE_1 dst_unused:UNUSED_PAD src0_sel:BYTE_1 src1_sel:BYTE_1
	v_sub_u16_sdwa v87, v87, v177 dst_sel:BYTE_1 dst_unused:UNUSED_PAD src0_sel:DWORD src1_sel:BYTE_3
	v_sub_u16_sdwa v173, v173, v177 dst_sel:DWORD dst_unused:UNUSED_PAD src0_sel:WORD_1 src1_sel:WORD_1
	v_or_b32_sdwa v178, v178, v179 dst_sel:DWORD dst_unused:UNUSED_PAD src0_sel:BYTE_0 src1_sel:DWORD
	v_or_b32_sdwa v87, v173, v87 dst_sel:WORD_1 dst_unused:UNUSED_PAD src0_sel:BYTE_0 src1_sel:DWORD
	v_add_u32_e32 v173, s25, v131
	v_or_b32_sdwa v177, v178, v87 dst_sel:DWORD dst_unused:UNUSED_PAD src0_sel:WORD_0 src1_sel:DWORD
	v_add3_u32 v87, v144, s21, v86
	ds_read_b32 v173, v173
	ds_read_u16 v87, v87 offset:33522
	v_mov_b32_e32 v179, 0
	v_dot4c_i32_i8_e32 v179, v169, v4
	v_dot4c_i32_i8_e32 v179, v170, v5
	;; [unrolled: 1-line block ×3, first 2 shown]
	s_waitcnt lgkmcnt(0)
	v_lshrrev_b16_e32 v180, 8, v87
	v_bfe_i32 v178, v87, 0, 8
	v_mov_b32_e32 v87, 0
	v_dot4c_i32_i8_e32 v87, v174, v0
	v_dot4c_i32_i8_e32 v87, v175, v1
	;; [unrolled: 1-line block ×5, first 2 shown]
	v_bfe_i32 v180, v180, 0, 8
	v_mul_lo_u32 v182, v179, v178
	s_nop 0
	v_mad_u64_u32 v[182:183], s[26:27], v87, v180, v[182:183]
	v_cvt_f32_i32_e32 v179, v182
	v_mul_f32_e32 v87, v84, v173
	v_fmac_f32_e32 v125, v87, v179
	v_add_u32_e32 v87, s24, v133
	ds_read2_b32 v[182:183], v87 offset1:1
	s_waitcnt lgkmcnt(0)
	v_ashrrev_i32_e32 v179, s22, v182
	v_add_u32_e32 v182, 0x4200, v190
	ds_read2_b32 v[184:185], v182 offset1:1
	v_and_b32_e32 v181, 0x3030303, v179
	v_bfe_u32 v179, v179, 24, 2
	s_waitcnt lgkmcnt(0)
	v_ashrrev_i32_e32 v182, s19, v184
	v_lshlrev_b32_e32 v182, 2, v182
	v_and_b32_e32 v182, 0x4040404, v182
	v_sub_u16_e32 v184, v181, v182
	v_sub_u16_sdwa v186, v181, v182 dst_sel:BYTE_1 dst_unused:UNUSED_PAD src0_sel:BYTE_1 src1_sel:BYTE_1
	v_sub_u16_sdwa v179, v179, v182 dst_sel:BYTE_1 dst_unused:UNUSED_PAD src0_sel:DWORD src1_sel:BYTE_3
	v_sub_u16_sdwa v181, v181, v182 dst_sel:DWORD dst_unused:UNUSED_PAD src0_sel:WORD_1 src1_sel:WORD_1
	v_or_b32_sdwa v179, v181, v179 dst_sel:WORD_1 dst_unused:UNUSED_PAD src0_sel:BYTE_0 src1_sel:DWORD
	v_ashrrev_i32_e32 v181, s22, v183
	v_ashrrev_i32_e32 v183, s19, v185
	v_lshlrev_b32_e32 v183, 2, v183
	v_or_b32_sdwa v184, v184, v186 dst_sel:DWORD dst_unused:UNUSED_PAD src0_sel:BYTE_0 src1_sel:DWORD
	v_and_b32_e32 v182, 0x3030303, v181
	v_bfe_u32 v181, v181, 24, 2
	v_and_b32_e32 v183, 0x4040404, v183
	v_or_b32_sdwa v179, v184, v179 dst_sel:DWORD dst_unused:UNUSED_PAD src0_sel:WORD_0 src1_sel:DWORD
	v_sub_u16_e32 v184, v182, v183
	v_sub_u16_sdwa v185, v182, v183 dst_sel:BYTE_1 dst_unused:UNUSED_PAD src0_sel:BYTE_1 src1_sel:BYTE_1
	v_sub_u16_sdwa v181, v181, v183 dst_sel:BYTE_1 dst_unused:UNUSED_PAD src0_sel:DWORD src1_sel:BYTE_3
	v_sub_u16_sdwa v182, v182, v183 dst_sel:DWORD dst_unused:UNUSED_PAD src0_sel:WORD_1 src1_sel:WORD_1
	v_or_b32_sdwa v184, v184, v185 dst_sel:DWORD dst_unused:UNUSED_PAD src0_sel:BYTE_0 src1_sel:DWORD
	v_or_b32_sdwa v181, v182, v181 dst_sel:WORD_1 dst_unused:UNUSED_PAD src0_sel:BYTE_0 src1_sel:DWORD
	ds_read2_b32 v[182:183], v87 offset0:2 offset1:3
	v_or_b32_sdwa v181, v184, v181 dst_sel:DWORD dst_unused:UNUSED_PAD src0_sel:WORD_0 src1_sel:DWORD
	v_add_u32_e32 v184, 0x4208, v190
	ds_read2_b32 v[184:185], v184 offset1:1
	s_waitcnt lgkmcnt(1)
	v_ashrrev_i32_e32 v182, s22, v182
	v_and_b32_e32 v186, 0x3030303, v182
	v_bfe_u32 v182, v182, 24, 2
	s_waitcnt lgkmcnt(0)
	v_ashrrev_i32_e32 v184, s19, v184
	v_lshlrev_b32_e32 v184, 2, v184
	v_and_b32_e32 v184, 0x4040404, v184
	v_ashrrev_i32_e32 v185, s19, v185
	v_sub_u16_e32 v187, v186, v184
	v_sub_u16_sdwa v188, v186, v184 dst_sel:BYTE_1 dst_unused:UNUSED_PAD src0_sel:BYTE_1 src1_sel:BYTE_1
	v_sub_u16_sdwa v182, v182, v184 dst_sel:BYTE_1 dst_unused:UNUSED_PAD src0_sel:DWORD src1_sel:BYTE_3
	v_sub_u16_sdwa v184, v186, v184 dst_sel:DWORD dst_unused:UNUSED_PAD src0_sel:WORD_1 src1_sel:WORD_1
	v_ashrrev_i32_e32 v183, s22, v183
	v_lshlrev_b32_e32 v185, 2, v185
	v_or_b32_sdwa v187, v187, v188 dst_sel:DWORD dst_unused:UNUSED_PAD src0_sel:BYTE_0 src1_sel:DWORD
	v_or_b32_sdwa v182, v184, v182 dst_sel:WORD_1 dst_unused:UNUSED_PAD src0_sel:BYTE_0 src1_sel:DWORD
	v_and_b32_e32 v184, 0x3030303, v183
	v_bfe_u32 v183, v183, 24, 2
	v_and_b32_e32 v185, 0x4040404, v185
	v_or_b32_sdwa v182, v187, v182 dst_sel:DWORD dst_unused:UNUSED_PAD src0_sel:WORD_0 src1_sel:DWORD
	v_sub_u16_e32 v186, v184, v185
	v_sub_u16_sdwa v187, v184, v185 dst_sel:BYTE_1 dst_unused:UNUSED_PAD src0_sel:BYTE_1 src1_sel:BYTE_1
	v_sub_u16_sdwa v183, v183, v185 dst_sel:BYTE_1 dst_unused:UNUSED_PAD src0_sel:DWORD src1_sel:BYTE_3
	v_sub_u16_sdwa v184, v184, v185 dst_sel:DWORD dst_unused:UNUSED_PAD src0_sel:WORD_1 src1_sel:WORD_1
	v_or_b32_sdwa v186, v186, v187 dst_sel:DWORD dst_unused:UNUSED_PAD src0_sel:BYTE_0 src1_sel:DWORD
	v_or_b32_sdwa v183, v184, v183 dst_sel:WORD_1 dst_unused:UNUSED_PAD src0_sel:BYTE_0 src1_sel:DWORD
	ds_read2_b32 v[184:185], v87 offset0:4 offset1:5
	v_or_b32_sdwa v183, v186, v183 dst_sel:DWORD dst_unused:UNUSED_PAD src0_sel:WORD_0 src1_sel:DWORD
	v_add_u32_e32 v186, 0x4210, v190
	ds_read2_b32 v[186:187], v186 offset1:1
	s_waitcnt lgkmcnt(1)
	v_ashrrev_i32_e32 v184, s22, v184
	v_and_b32_e32 v188, 0x3030303, v184
	v_bfe_u32 v184, v184, 24, 2
	s_waitcnt lgkmcnt(0)
	v_ashrrev_i32_e32 v186, s19, v186
	v_lshlrev_b32_e32 v186, 2, v186
	v_and_b32_e32 v186, 0x4040404, v186
	v_ashrrev_i32_e32 v187, s19, v187
	v_sub_u16_e32 v189, v188, v186
	v_sub_u16_sdwa v191, v188, v186 dst_sel:BYTE_1 dst_unused:UNUSED_PAD src0_sel:BYTE_1 src1_sel:BYTE_1
	v_sub_u16_sdwa v184, v184, v186 dst_sel:BYTE_1 dst_unused:UNUSED_PAD src0_sel:DWORD src1_sel:BYTE_3
	v_sub_u16_sdwa v186, v188, v186 dst_sel:DWORD dst_unused:UNUSED_PAD src0_sel:WORD_1 src1_sel:WORD_1
	v_ashrrev_i32_e32 v185, s22, v185
	v_lshlrev_b32_e32 v187, 2, v187
	v_or_b32_sdwa v189, v189, v191 dst_sel:DWORD dst_unused:UNUSED_PAD src0_sel:BYTE_0 src1_sel:DWORD
	v_or_b32_sdwa v184, v186, v184 dst_sel:WORD_1 dst_unused:UNUSED_PAD src0_sel:BYTE_0 src1_sel:DWORD
	v_and_b32_e32 v186, 0x3030303, v185
	v_bfe_u32 v185, v185, 24, 2
	v_and_b32_e32 v187, 0x4040404, v187
	v_or_b32_sdwa v184, v189, v184 dst_sel:DWORD dst_unused:UNUSED_PAD src0_sel:WORD_0 src1_sel:DWORD
	v_sub_u16_e32 v188, v186, v187
	v_sub_u16_sdwa v189, v186, v187 dst_sel:BYTE_1 dst_unused:UNUSED_PAD src0_sel:BYTE_1 src1_sel:BYTE_1
	v_sub_u16_sdwa v185, v185, v187 dst_sel:BYTE_1 dst_unused:UNUSED_PAD src0_sel:DWORD src1_sel:BYTE_3
	v_sub_u16_sdwa v186, v186, v187 dst_sel:DWORD dst_unused:UNUSED_PAD src0_sel:WORD_1 src1_sel:WORD_1
	v_or_b32_sdwa v188, v188, v189 dst_sel:DWORD dst_unused:UNUSED_PAD src0_sel:BYTE_0 src1_sel:DWORD
	v_or_b32_sdwa v185, v186, v185 dst_sel:WORD_1 dst_unused:UNUSED_PAD src0_sel:BYTE_0 src1_sel:DWORD
	v_add_u32_e32 v187, 0x4218, v190
	v_or_b32_sdwa v186, v188, v185 dst_sel:DWORD dst_unused:UNUSED_PAD src0_sel:WORD_0 src1_sel:DWORD
	ds_read2_b32 v[188:189], v87 offset0:6 offset1:7
	ds_read2_b32 v[190:191], v187 offset1:1
	s_waitcnt lgkmcnt(1)
	v_ashrrev_i32_e32 v87, s22, v188
	s_waitcnt lgkmcnt(0)
	v_ashrrev_i32_e32 v187, s19, v190
	v_lshlrev_b32_e32 v187, 2, v187
	v_and_b32_e32 v185, 0x3030303, v87
	v_bfe_u32 v87, v87, 24, 2
	v_and_b32_e32 v187, 0x4040404, v187
	v_sub_u16_e32 v188, v185, v187
	v_sub_u16_sdwa v190, v185, v187 dst_sel:BYTE_1 dst_unused:UNUSED_PAD src0_sel:BYTE_1 src1_sel:BYTE_1
	v_sub_u16_sdwa v87, v87, v187 dst_sel:BYTE_1 dst_unused:UNUSED_PAD src0_sel:DWORD src1_sel:BYTE_3
	v_sub_u16_sdwa v185, v185, v187 dst_sel:DWORD dst_unused:UNUSED_PAD src0_sel:WORD_1 src1_sel:WORD_1
	v_or_b32_sdwa v188, v188, v190 dst_sel:DWORD dst_unused:UNUSED_PAD src0_sel:BYTE_0 src1_sel:DWORD
	v_or_b32_sdwa v87, v185, v87 dst_sel:WORD_1 dst_unused:UNUSED_PAD src0_sel:BYTE_0 src1_sel:DWORD
	s_nop 0
	v_or_b32_sdwa v187, v188, v87 dst_sel:DWORD dst_unused:UNUSED_PAD src0_sel:WORD_0 src1_sel:DWORD
	v_ashrrev_i32_e32 v188, s19, v191
	v_ashrrev_i32_e32 v87, s22, v189
	v_lshlrev_b32_e32 v188, 2, v188
	v_and_b32_e32 v185, 0x3030303, v87
	v_bfe_u32 v87, v87, 24, 2
	v_and_b32_e32 v188, 0x4040404, v188
	v_sub_u16_e32 v189, v185, v188
	v_sub_u16_sdwa v190, v185, v188 dst_sel:BYTE_1 dst_unused:UNUSED_PAD src0_sel:BYTE_1 src1_sel:BYTE_1
	v_sub_u16_sdwa v87, v87, v188 dst_sel:BYTE_1 dst_unused:UNUSED_PAD src0_sel:DWORD src1_sel:BYTE_3
	v_sub_u16_sdwa v185, v185, v188 dst_sel:DWORD dst_unused:UNUSED_PAD src0_sel:WORD_1 src1_sel:WORD_1
	v_or_b32_sdwa v189, v189, v190 dst_sel:DWORD dst_unused:UNUSED_PAD src0_sel:BYTE_0 src1_sel:DWORD
	v_or_b32_sdwa v87, v185, v87 dst_sel:WORD_1 dst_unused:UNUSED_PAD src0_sel:BYTE_0 src1_sel:DWORD
	v_add_u32_e32 v185, s25, v134
	v_or_b32_sdwa v188, v189, v87 dst_sel:DWORD dst_unused:UNUSED_PAD src0_sel:WORD_0 src1_sel:DWORD
	v_add3_u32 v87, v146, s21, v86
	ds_read_b32 v185, v185
	ds_read_u16 v87, v87 offset:34546
	v_mov_b32_e32 v190, 0
	v_dot4c_i32_i8_e32 v190, v179, v4
	v_dot4c_i32_i8_e32 v190, v181, v5
	;; [unrolled: 1-line block ×3, first 2 shown]
	s_waitcnt lgkmcnt(0)
	v_lshrrev_b16_e32 v191, 8, v87
	v_bfe_i32 v189, v87, 0, 8
	v_mov_b32_e32 v87, 0
	v_dot4c_i32_i8_e32 v87, v184, v0
	v_dot4c_i32_i8_e32 v87, v186, v1
	;; [unrolled: 1-line block ×5, first 2 shown]
	v_bfe_i32 v191, v191, 0, 8
	v_mul_lo_u32 v190, v190, v189
	s_nop 0
	v_mad_u64_u32 v[192:193], s[26:27], v87, v191, v[190:191]
	v_cvt_f32_i32_e32 v190, v192
	v_mul_f32_e32 v87, v84, v185
	v_fmac_f32_e32 v118, v87, v190
	v_add_u32_e32 v87, s24, v136
	ds_read2_b32 v[192:193], v87 offset1:1
	s_waitcnt lgkmcnt(0)
	v_ashrrev_i32_e32 v190, s22, v192
	v_and_b32_e32 v192, 0x3030303, v190
	v_bfe_u32 v190, v190, 24, 2
	v_sub_u16_e32 v196, v192, v194
	v_sub_u16_sdwa v197, v192, v194 dst_sel:BYTE_1 dst_unused:UNUSED_PAD src0_sel:BYTE_1 src1_sel:BYTE_1
	v_sub_u16_sdwa v190, v190, v194 dst_sel:BYTE_1 dst_unused:UNUSED_PAD src0_sel:DWORD src1_sel:BYTE_3
	v_sub_u16_sdwa v192, v192, v194 dst_sel:DWORD dst_unused:UNUSED_PAD src0_sel:WORD_1 src1_sel:WORD_1
	v_ashrrev_i32_e32 v194, s19, v195
	v_or_b32_sdwa v190, v192, v190 dst_sel:WORD_1 dst_unused:UNUSED_PAD src0_sel:BYTE_0 src1_sel:DWORD
	v_ashrrev_i32_e32 v192, s22, v193
	v_lshlrev_b32_e32 v194, 2, v194
	v_or_b32_sdwa v196, v196, v197 dst_sel:DWORD dst_unused:UNUSED_PAD src0_sel:BYTE_0 src1_sel:DWORD
	v_and_b32_e32 v193, 0x3030303, v192
	v_bfe_u32 v192, v192, 24, 2
	v_and_b32_e32 v194, 0x4040404, v194
	v_or_b32_sdwa v190, v196, v190 dst_sel:DWORD dst_unused:UNUSED_PAD src0_sel:WORD_0 src1_sel:DWORD
	v_sub_u16_e32 v195, v193, v194
	v_sub_u16_sdwa v196, v193, v194 dst_sel:BYTE_1 dst_unused:UNUSED_PAD src0_sel:BYTE_1 src1_sel:BYTE_1
	v_sub_u16_sdwa v192, v192, v194 dst_sel:BYTE_1 dst_unused:UNUSED_PAD src0_sel:DWORD src1_sel:BYTE_3
	v_sub_u16_sdwa v193, v193, v194 dst_sel:DWORD dst_unused:UNUSED_PAD src0_sel:WORD_1 src1_sel:WORD_1
	v_or_b32_sdwa v195, v195, v196 dst_sel:DWORD dst_unused:UNUSED_PAD src0_sel:BYTE_0 src1_sel:DWORD
	v_or_b32_sdwa v192, v193, v192 dst_sel:WORD_1 dst_unused:UNUSED_PAD src0_sel:BYTE_0 src1_sel:DWORD
	v_add_u32_e32 v196, 0x4208, v200
	v_or_b32_sdwa v192, v195, v192 dst_sel:DWORD dst_unused:UNUSED_PAD src0_sel:WORD_0 src1_sel:DWORD
	ds_read2_b32 v[194:195], v87 offset0:2 offset1:3
	ds_read2_b32 v[196:197], v196 offset1:1
	s_waitcnt lgkmcnt(1)
	v_ashrrev_i32_e32 v193, s22, v194
	s_waitcnt lgkmcnt(0)
	v_ashrrev_i32_e32 v196, s19, v196
	v_lshlrev_b32_e32 v196, 2, v196
	v_and_b32_e32 v194, 0x3030303, v193
	v_bfe_u32 v193, v193, 24, 2
	v_and_b32_e32 v196, 0x4040404, v196
	v_sub_u16_e32 v198, v194, v196
	v_sub_u16_sdwa v199, v194, v196 dst_sel:BYTE_1 dst_unused:UNUSED_PAD src0_sel:BYTE_1 src1_sel:BYTE_1
	v_sub_u16_sdwa v193, v193, v196 dst_sel:BYTE_1 dst_unused:UNUSED_PAD src0_sel:DWORD src1_sel:BYTE_3
	v_sub_u16_sdwa v194, v194, v196 dst_sel:DWORD dst_unused:UNUSED_PAD src0_sel:WORD_1 src1_sel:WORD_1
	v_ashrrev_i32_e32 v196, s19, v197
	v_or_b32_sdwa v193, v194, v193 dst_sel:WORD_1 dst_unused:UNUSED_PAD src0_sel:BYTE_0 src1_sel:DWORD
	v_ashrrev_i32_e32 v194, s22, v195
	v_lshlrev_b32_e32 v196, 2, v196
	v_or_b32_sdwa v198, v198, v199 dst_sel:DWORD dst_unused:UNUSED_PAD src0_sel:BYTE_0 src1_sel:DWORD
	v_and_b32_e32 v195, 0x3030303, v194
	v_bfe_u32 v194, v194, 24, 2
	v_and_b32_e32 v196, 0x4040404, v196
	v_or_b32_sdwa v193, v198, v193 dst_sel:DWORD dst_unused:UNUSED_PAD src0_sel:WORD_0 src1_sel:DWORD
	v_sub_u16_e32 v197, v195, v196
	v_sub_u16_sdwa v198, v195, v196 dst_sel:BYTE_1 dst_unused:UNUSED_PAD src0_sel:BYTE_1 src1_sel:BYTE_1
	v_sub_u16_sdwa v194, v194, v196 dst_sel:BYTE_1 dst_unused:UNUSED_PAD src0_sel:DWORD src1_sel:BYTE_3
	v_sub_u16_sdwa v195, v195, v196 dst_sel:DWORD dst_unused:UNUSED_PAD src0_sel:WORD_1 src1_sel:WORD_1
	v_or_b32_sdwa v197, v197, v198 dst_sel:DWORD dst_unused:UNUSED_PAD src0_sel:BYTE_0 src1_sel:DWORD
	v_or_b32_sdwa v194, v195, v194 dst_sel:WORD_1 dst_unused:UNUSED_PAD src0_sel:BYTE_0 src1_sel:DWORD
	v_add_u32_e32 v198, 0x4210, v200
	v_or_b32_sdwa v194, v197, v194 dst_sel:DWORD dst_unused:UNUSED_PAD src0_sel:WORD_0 src1_sel:DWORD
	ds_read2_b32 v[196:197], v87 offset0:4 offset1:5
	ds_read2_b32 v[198:199], v198 offset1:1
	s_waitcnt lgkmcnt(1)
	v_ashrrev_i32_e32 v195, s22, v196
	s_waitcnt lgkmcnt(0)
	v_ashrrev_i32_e32 v198, s19, v198
	v_lshlrev_b32_e32 v198, 2, v198
	v_and_b32_e32 v196, 0x3030303, v195
	v_bfe_u32 v195, v195, 24, 2
	v_and_b32_e32 v198, 0x4040404, v198
	v_sub_u16_e32 v201, v196, v198
	v_sub_u16_sdwa v202, v196, v198 dst_sel:BYTE_1 dst_unused:UNUSED_PAD src0_sel:BYTE_1 src1_sel:BYTE_1
	v_sub_u16_sdwa v195, v195, v198 dst_sel:BYTE_1 dst_unused:UNUSED_PAD src0_sel:DWORD src1_sel:BYTE_3
	v_sub_u16_sdwa v196, v196, v198 dst_sel:DWORD dst_unused:UNUSED_PAD src0_sel:WORD_1 src1_sel:WORD_1
	v_ashrrev_i32_e32 v198, s19, v199
	v_or_b32_sdwa v195, v196, v195 dst_sel:WORD_1 dst_unused:UNUSED_PAD src0_sel:BYTE_0 src1_sel:DWORD
	v_ashrrev_i32_e32 v196, s22, v197
	v_lshlrev_b32_e32 v198, 2, v198
	v_or_b32_sdwa v201, v201, v202 dst_sel:DWORD dst_unused:UNUSED_PAD src0_sel:BYTE_0 src1_sel:DWORD
	v_and_b32_e32 v197, 0x3030303, v196
	v_bfe_u32 v196, v196, 24, 2
	v_and_b32_e32 v198, 0x4040404, v198
	v_or_b32_sdwa v195, v201, v195 dst_sel:DWORD dst_unused:UNUSED_PAD src0_sel:WORD_0 src1_sel:DWORD
	v_sub_u16_e32 v199, v197, v198
	v_sub_u16_sdwa v201, v197, v198 dst_sel:BYTE_1 dst_unused:UNUSED_PAD src0_sel:BYTE_1 src1_sel:BYTE_1
	v_sub_u16_sdwa v196, v196, v198 dst_sel:BYTE_1 dst_unused:UNUSED_PAD src0_sel:DWORD src1_sel:BYTE_3
	v_sub_u16_sdwa v197, v197, v198 dst_sel:DWORD dst_unused:UNUSED_PAD src0_sel:WORD_1 src1_sel:WORD_1
	v_or_b32_sdwa v199, v199, v201 dst_sel:DWORD dst_unused:UNUSED_PAD src0_sel:BYTE_0 src1_sel:DWORD
	v_or_b32_sdwa v196, v197, v196 dst_sel:WORD_1 dst_unused:UNUSED_PAD src0_sel:BYTE_0 src1_sel:DWORD
	s_nop 0
	v_or_b32_sdwa v197, v199, v196 dst_sel:DWORD dst_unused:UNUSED_PAD src0_sel:WORD_0 src1_sel:DWORD
	ds_read2_b32 v[198:199], v87 offset0:6 offset1:7
	s_waitcnt lgkmcnt(0)
	v_ashrrev_i32_e32 v87, s22, v198
	v_add_u32_e32 v198, 0x4218, v200
	ds_read2_b32 v[200:201], v198 offset1:1
	v_and_b32_e32 v196, 0x3030303, v87
	v_bfe_u32 v87, v87, 24, 2
	s_waitcnt lgkmcnt(0)
	v_ashrrev_i32_e32 v198, s19, v200
	v_lshlrev_b32_e32 v198, 2, v198
	v_and_b32_e32 v198, 0x4040404, v198
	v_sub_u16_e32 v200, v196, v198
	v_sub_u16_sdwa v202, v196, v198 dst_sel:BYTE_1 dst_unused:UNUSED_PAD src0_sel:BYTE_1 src1_sel:BYTE_1
	v_sub_u16_sdwa v87, v87, v198 dst_sel:BYTE_1 dst_unused:UNUSED_PAD src0_sel:DWORD src1_sel:BYTE_3
	v_sub_u16_sdwa v196, v196, v198 dst_sel:DWORD dst_unused:UNUSED_PAD src0_sel:WORD_1 src1_sel:WORD_1
	v_or_b32_sdwa v200, v200, v202 dst_sel:DWORD dst_unused:UNUSED_PAD src0_sel:BYTE_0 src1_sel:DWORD
	v_or_b32_sdwa v87, v196, v87 dst_sel:WORD_1 dst_unused:UNUSED_PAD src0_sel:BYTE_0 src1_sel:DWORD
	s_nop 0
	v_or_b32_sdwa v198, v200, v87 dst_sel:DWORD dst_unused:UNUSED_PAD src0_sel:WORD_0 src1_sel:DWORD
	v_ashrrev_i32_e32 v87, s22, v199
	v_ashrrev_i32_e32 v199, s19, v201
	v_lshlrev_b32_e32 v199, 2, v199
	v_and_b32_e32 v196, 0x3030303, v87
	v_bfe_u32 v87, v87, 24, 2
	v_and_b32_e32 v199, 0x4040404, v199
	v_sub_u16_e32 v200, v196, v199
	v_sub_u16_sdwa v201, v196, v199 dst_sel:BYTE_1 dst_unused:UNUSED_PAD src0_sel:BYTE_1 src1_sel:BYTE_1
	v_sub_u16_sdwa v87, v87, v199 dst_sel:BYTE_1 dst_unused:UNUSED_PAD src0_sel:DWORD src1_sel:BYTE_3
	v_sub_u16_sdwa v196, v196, v199 dst_sel:DWORD dst_unused:UNUSED_PAD src0_sel:WORD_1 src1_sel:WORD_1
	v_or_b32_sdwa v200, v200, v201 dst_sel:DWORD dst_unused:UNUSED_PAD src0_sel:BYTE_0 src1_sel:DWORD
	v_or_b32_sdwa v87, v196, v87 dst_sel:WORD_1 dst_unused:UNUSED_PAD src0_sel:BYTE_0 src1_sel:DWORD
	v_add_u32_e32 v196, s25, v137
	v_or_b32_sdwa v199, v200, v87 dst_sel:DWORD dst_unused:UNUSED_PAD src0_sel:WORD_0 src1_sel:DWORD
	v_add3_u32 v87, v148, s21, v86
	ds_read_b32 v196, v196
	ds_read_u16 v87, v87 offset:35570
	v_mov_b32_e32 v201, 0
	v_dot4c_i32_i8_e32 v201, v190, v4
	v_dot4c_i32_i8_e32 v201, v192, v5
	;; [unrolled: 1-line block ×3, first 2 shown]
	s_waitcnt lgkmcnt(0)
	v_lshrrev_b16_e32 v202, 8, v87
	v_bfe_i32 v200, v87, 0, 8
	v_mov_b32_e32 v87, 0
	v_dot4c_i32_i8_e32 v87, v195, v0
	v_dot4c_i32_i8_e32 v87, v197, v1
	v_dot4c_i32_i8_e32 v201, v194, v7
	v_dot4c_i32_i8_e32 v87, v198, v2
	v_dot4c_i32_i8_e32 v87, v199, v3
	v_bfe_i32 v202, v202, 0, 8
	v_mul_lo_u32 v204, v201, v200
	v_add3_u32 v86, v150, s21, v86
	v_mad_u64_u32 v[204:205], s[26:27], v87, v202, v[204:205]
	v_cvt_f32_i32_e32 v201, v204
	v_mul_f32_e32 v87, v84, v196
	s_mov_b32 s21, s20
	v_fmac_f32_e32 v111, v87, v201
	v_add_u32_e32 v87, s24, v139
	ds_read2_b32 v[204:205], v87 offset1:1
	s_waitcnt lgkmcnt(0)
	v_ashrrev_i32_e32 v201, s22, v204
	v_add_u32_e32 v204, 0x4200, v212
	ds_read2_b32 v[206:207], v204 offset1:1
	v_and_b32_e32 v203, 0x3030303, v201
	v_bfe_u32 v201, v201, 24, 2
	s_waitcnt lgkmcnt(0)
	v_ashrrev_i32_e32 v204, s19, v206
	v_lshlrev_b32_e32 v204, 2, v204
	v_and_b32_e32 v204, 0x4040404, v204
	v_sub_u16_e32 v206, v203, v204
	v_sub_u16_sdwa v208, v203, v204 dst_sel:BYTE_1 dst_unused:UNUSED_PAD src0_sel:BYTE_1 src1_sel:BYTE_1
	v_sub_u16_sdwa v201, v201, v204 dst_sel:BYTE_1 dst_unused:UNUSED_PAD src0_sel:DWORD src1_sel:BYTE_3
	v_sub_u16_sdwa v203, v203, v204 dst_sel:DWORD dst_unused:UNUSED_PAD src0_sel:WORD_1 src1_sel:WORD_1
	v_or_b32_sdwa v201, v203, v201 dst_sel:WORD_1 dst_unused:UNUSED_PAD src0_sel:BYTE_0 src1_sel:DWORD
	v_ashrrev_i32_e32 v203, s22, v205
	v_ashrrev_i32_e32 v205, s19, v207
	v_lshlrev_b32_e32 v205, 2, v205
	v_or_b32_sdwa v206, v206, v208 dst_sel:DWORD dst_unused:UNUSED_PAD src0_sel:BYTE_0 src1_sel:DWORD
	v_and_b32_e32 v204, 0x3030303, v203
	v_bfe_u32 v203, v203, 24, 2
	v_and_b32_e32 v205, 0x4040404, v205
	v_or_b32_sdwa v201, v206, v201 dst_sel:DWORD dst_unused:UNUSED_PAD src0_sel:WORD_0 src1_sel:DWORD
	v_sub_u16_e32 v206, v204, v205
	v_sub_u16_sdwa v207, v204, v205 dst_sel:BYTE_1 dst_unused:UNUSED_PAD src0_sel:BYTE_1 src1_sel:BYTE_1
	v_sub_u16_sdwa v203, v203, v205 dst_sel:BYTE_1 dst_unused:UNUSED_PAD src0_sel:DWORD src1_sel:BYTE_3
	v_sub_u16_sdwa v204, v204, v205 dst_sel:DWORD dst_unused:UNUSED_PAD src0_sel:WORD_1 src1_sel:WORD_1
	v_or_b32_sdwa v206, v206, v207 dst_sel:DWORD dst_unused:UNUSED_PAD src0_sel:BYTE_0 src1_sel:DWORD
	v_or_b32_sdwa v203, v204, v203 dst_sel:WORD_1 dst_unused:UNUSED_PAD src0_sel:BYTE_0 src1_sel:DWORD
	ds_read2_b32 v[204:205], v87 offset0:2 offset1:3
	v_or_b32_sdwa v203, v206, v203 dst_sel:DWORD dst_unused:UNUSED_PAD src0_sel:WORD_0 src1_sel:DWORD
	v_add_u32_e32 v206, 0x4208, v212
	ds_read2_b32 v[206:207], v206 offset1:1
	s_waitcnt lgkmcnt(1)
	v_ashrrev_i32_e32 v204, s22, v204
	v_and_b32_e32 v208, 0x3030303, v204
	v_bfe_u32 v204, v204, 24, 2
	s_waitcnt lgkmcnt(0)
	v_ashrrev_i32_e32 v206, s19, v206
	v_lshlrev_b32_e32 v206, 2, v206
	v_and_b32_e32 v206, 0x4040404, v206
	v_ashrrev_i32_e32 v207, s19, v207
	v_sub_u16_e32 v209, v208, v206
	v_sub_u16_sdwa v210, v208, v206 dst_sel:BYTE_1 dst_unused:UNUSED_PAD src0_sel:BYTE_1 src1_sel:BYTE_1
	v_sub_u16_sdwa v204, v204, v206 dst_sel:BYTE_1 dst_unused:UNUSED_PAD src0_sel:DWORD src1_sel:BYTE_3
	v_sub_u16_sdwa v206, v208, v206 dst_sel:DWORD dst_unused:UNUSED_PAD src0_sel:WORD_1 src1_sel:WORD_1
	v_ashrrev_i32_e32 v205, s22, v205
	v_lshlrev_b32_e32 v207, 2, v207
	v_or_b32_sdwa v209, v209, v210 dst_sel:DWORD dst_unused:UNUSED_PAD src0_sel:BYTE_0 src1_sel:DWORD
	v_or_b32_sdwa v204, v206, v204 dst_sel:WORD_1 dst_unused:UNUSED_PAD src0_sel:BYTE_0 src1_sel:DWORD
	v_and_b32_e32 v206, 0x3030303, v205
	v_bfe_u32 v205, v205, 24, 2
	v_and_b32_e32 v207, 0x4040404, v207
	v_or_b32_sdwa v204, v209, v204 dst_sel:DWORD dst_unused:UNUSED_PAD src0_sel:WORD_0 src1_sel:DWORD
	v_sub_u16_e32 v208, v206, v207
	v_sub_u16_sdwa v209, v206, v207 dst_sel:BYTE_1 dst_unused:UNUSED_PAD src0_sel:BYTE_1 src1_sel:BYTE_1
	v_sub_u16_sdwa v205, v205, v207 dst_sel:BYTE_1 dst_unused:UNUSED_PAD src0_sel:DWORD src1_sel:BYTE_3
	v_sub_u16_sdwa v206, v206, v207 dst_sel:DWORD dst_unused:UNUSED_PAD src0_sel:WORD_1 src1_sel:WORD_1
	v_or_b32_sdwa v208, v208, v209 dst_sel:DWORD dst_unused:UNUSED_PAD src0_sel:BYTE_0 src1_sel:DWORD
	v_or_b32_sdwa v205, v206, v205 dst_sel:WORD_1 dst_unused:UNUSED_PAD src0_sel:BYTE_0 src1_sel:DWORD
	ds_read2_b32 v[206:207], v87 offset0:4 offset1:5
	v_or_b32_sdwa v205, v208, v205 dst_sel:DWORD dst_unused:UNUSED_PAD src0_sel:WORD_0 src1_sel:DWORD
	v_add_u32_e32 v208, 0x4210, v212
	ds_read2_b32 v[208:209], v208 offset1:1
	s_waitcnt lgkmcnt(1)
	v_ashrrev_i32_e32 v206, s22, v206
	v_and_b32_e32 v210, 0x3030303, v206
	v_bfe_u32 v206, v206, 24, 2
	s_waitcnt lgkmcnt(0)
	v_ashrrev_i32_e32 v208, s19, v208
	v_lshlrev_b32_e32 v208, 2, v208
	v_and_b32_e32 v208, 0x4040404, v208
	v_ashrrev_i32_e32 v209, s19, v209
	v_sub_u16_e32 v211, v210, v208
	v_sub_u16_sdwa v213, v210, v208 dst_sel:BYTE_1 dst_unused:UNUSED_PAD src0_sel:BYTE_1 src1_sel:BYTE_1
	v_sub_u16_sdwa v206, v206, v208 dst_sel:BYTE_1 dst_unused:UNUSED_PAD src0_sel:DWORD src1_sel:BYTE_3
	v_sub_u16_sdwa v208, v210, v208 dst_sel:DWORD dst_unused:UNUSED_PAD src0_sel:WORD_1 src1_sel:WORD_1
	v_ashrrev_i32_e32 v207, s22, v207
	v_lshlrev_b32_e32 v209, 2, v209
	v_or_b32_sdwa v211, v211, v213 dst_sel:DWORD dst_unused:UNUSED_PAD src0_sel:BYTE_0 src1_sel:DWORD
	v_or_b32_sdwa v206, v208, v206 dst_sel:WORD_1 dst_unused:UNUSED_PAD src0_sel:BYTE_0 src1_sel:DWORD
	v_and_b32_e32 v208, 0x3030303, v207
	v_bfe_u32 v207, v207, 24, 2
	v_and_b32_e32 v209, 0x4040404, v209
	v_or_b32_sdwa v206, v211, v206 dst_sel:DWORD dst_unused:UNUSED_PAD src0_sel:WORD_0 src1_sel:DWORD
	v_sub_u16_e32 v210, v208, v209
	v_sub_u16_sdwa v211, v208, v209 dst_sel:BYTE_1 dst_unused:UNUSED_PAD src0_sel:BYTE_1 src1_sel:BYTE_1
	v_sub_u16_sdwa v207, v207, v209 dst_sel:BYTE_1 dst_unused:UNUSED_PAD src0_sel:DWORD src1_sel:BYTE_3
	v_sub_u16_sdwa v208, v208, v209 dst_sel:DWORD dst_unused:UNUSED_PAD src0_sel:WORD_1 src1_sel:WORD_1
	v_or_b32_sdwa v210, v210, v211 dst_sel:DWORD dst_unused:UNUSED_PAD src0_sel:BYTE_0 src1_sel:DWORD
	v_or_b32_sdwa v207, v208, v207 dst_sel:WORD_1 dst_unused:UNUSED_PAD src0_sel:BYTE_0 src1_sel:DWORD
	v_add_u32_e32 v209, 0x4218, v212
	v_or_b32_sdwa v208, v210, v207 dst_sel:DWORD dst_unused:UNUSED_PAD src0_sel:WORD_0 src1_sel:DWORD
	ds_read2_b32 v[210:211], v87 offset0:6 offset1:7
	ds_read2_b32 v[212:213], v209 offset1:1
	s_waitcnt lgkmcnt(1)
	v_ashrrev_i32_e32 v87, s22, v210
	s_waitcnt lgkmcnt(0)
	v_ashrrev_i32_e32 v209, s19, v212
	v_lshlrev_b32_e32 v209, 2, v209
	v_and_b32_e32 v207, 0x3030303, v87
	v_bfe_u32 v87, v87, 24, 2
	v_and_b32_e32 v209, 0x4040404, v209
	v_sub_u16_e32 v210, v207, v209
	v_sub_u16_sdwa v212, v207, v209 dst_sel:BYTE_1 dst_unused:UNUSED_PAD src0_sel:BYTE_1 src1_sel:BYTE_1
	v_sub_u16_sdwa v87, v87, v209 dst_sel:BYTE_1 dst_unused:UNUSED_PAD src0_sel:DWORD src1_sel:BYTE_3
	v_sub_u16_sdwa v207, v207, v209 dst_sel:DWORD dst_unused:UNUSED_PAD src0_sel:WORD_1 src1_sel:WORD_1
	v_or_b32_sdwa v210, v210, v212 dst_sel:DWORD dst_unused:UNUSED_PAD src0_sel:BYTE_0 src1_sel:DWORD
	v_or_b32_sdwa v87, v207, v87 dst_sel:WORD_1 dst_unused:UNUSED_PAD src0_sel:BYTE_0 src1_sel:DWORD
	s_nop 0
	v_or_b32_sdwa v209, v210, v87 dst_sel:DWORD dst_unused:UNUSED_PAD src0_sel:WORD_0 src1_sel:DWORD
	v_ashrrev_i32_e32 v210, s19, v213
	v_ashrrev_i32_e32 v87, s22, v211
	v_lshlrev_b32_e32 v210, 2, v210
	v_and_b32_e32 v207, 0x3030303, v87
	v_bfe_u32 v87, v87, 24, 2
	v_and_b32_e32 v210, 0x4040404, v210
	v_sub_u16_e32 v211, v207, v210
	v_sub_u16_sdwa v212, v207, v210 dst_sel:BYTE_1 dst_unused:UNUSED_PAD src0_sel:BYTE_1 src1_sel:BYTE_1
	v_sub_u16_sdwa v87, v87, v210 dst_sel:BYTE_1 dst_unused:UNUSED_PAD src0_sel:DWORD src1_sel:BYTE_3
	v_sub_u16_sdwa v207, v207, v210 dst_sel:DWORD dst_unused:UNUSED_PAD src0_sel:WORD_1 src1_sel:WORD_1
	v_or_b32_sdwa v211, v211, v212 dst_sel:DWORD dst_unused:UNUSED_PAD src0_sel:BYTE_0 src1_sel:DWORD
	v_or_b32_sdwa v87, v207, v87 dst_sel:WORD_1 dst_unused:UNUSED_PAD src0_sel:BYTE_0 src1_sel:DWORD
	s_add_i32 s19, s19, 1
	v_or_b32_sdwa v210, v211, v87 dst_sel:DWORD dst_unused:UNUSED_PAD src0_sel:WORD_0 src1_sel:DWORD
	v_add_u32_e32 v87, s25, v140
	ds_read_b32 v207, v87
	v_mov_b32_e32 v87, 0
	v_dot4c_i32_i8_e32 v87, v201, v4
	ds_read_u16 v4, v86 offset:36594
	v_dot4c_i32_i8_e32 v87, v203, v5
	v_dot4c_i32_i8_e32 v87, v204, v6
	v_mov_b32_e32 v6, 0
	v_dot4c_i32_i8_e32 v6, v206, v0
	v_dot4c_i32_i8_e32 v6, v208, v1
	;; [unrolled: 1-line block ×3, first 2 shown]
	s_waitcnt lgkmcnt(0)
	v_lshrrev_b16_e32 v5, 8, v4
	v_bfe_i32 v211, v4, 0, 8
	v_dot4c_i32_i8_e32 v6, v209, v2
	v_mul_lo_u32 v4, v87, v211
	v_dot4c_i32_i8_e32 v6, v210, v3
	v_bfe_i32 v212, v5, 0, 8
	v_mov_b32_e32 v86, 0
	s_cmp_lt_u32 s20, 30
	v_mad_u64_u32 v[0:1], s[22:23], v6, v212, v[4:5]
	v_cvt_f32_i32_e32 v0, v0
	v_mul_f32_e32 v1, v84, v207
	v_mov_b32_e32 v84, 0
	v_fmac_f32_e32 v106, v1, v0
	ds_read_b128 v[0:3], v167 offset:1024
	ds_read_b128 v[4:7], v167 offset:1040
	s_waitcnt lgkmcnt(1)
	v_dot4c_i32_i8_e32 v84, v169, v0
	v_dot4c_i32_i8_e32 v84, v170, v1
	s_waitcnt lgkmcnt(0)
	v_dot4c_i32_i8_e32 v86, v174, v4
	v_dot4c_i32_i8_e32 v84, v171, v2
	;; [unrolled: 1-line block ×6, first 2 shown]
	s_nop 0
	v_mul_lo_u32 v84, v84, v178
	s_nop 0
	v_mad_u64_u32 v[86:87], s[22:23], v86, v180, v[84:85]
	v_cvt_f32_i32_e32 v86, v86
	v_mul_f32_e32 v84, v173, v85
	v_fmac_f32_e32 v105, v84, v86
	v_mov_b32_e32 v84, 0
	v_dot4c_i32_i8_e32 v84, v179, v0
	v_mov_b32_e32 v86, 0
	v_dot4c_i32_i8_e32 v84, v181, v1
	v_dot4c_i32_i8_e32 v86, v184, v4
	;; [unrolled: 1-line block ×7, first 2 shown]
	s_nop 0
	v_mul_lo_u32 v84, v84, v189
	s_nop 0
	v_mad_u64_u32 v[86:87], s[22:23], v86, v191, v[84:85]
	v_cvt_f32_i32_e32 v86, v86
	v_mul_f32_e32 v84, v185, v85
	v_fmac_f32_e32 v104, v84, v86
	v_mov_b32_e32 v84, 0
	v_dot4c_i32_i8_e32 v84, v190, v0
	v_mov_b32_e32 v86, 0
	v_dot4c_i32_i8_e32 v84, v192, v1
	v_dot4c_i32_i8_e32 v86, v195, v4
	;; [unrolled: 1-line block ×7, first 2 shown]
	s_nop 0
	v_mul_lo_u32 v84, v84, v200
	s_nop 0
	v_mad_u64_u32 v[86:87], s[22:23], v86, v202, v[84:85]
	v_cvt_f32_i32_e32 v86, v86
	v_mul_f32_e32 v84, v196, v85
	v_mov_b32_e32 v87, 0
	v_fmac_f32_e32 v101, v84, v86
	v_mov_b32_e32 v84, 0
	v_dot4c_i32_i8_e32 v84, v201, v0
	v_dot4c_i32_i8_e32 v84, v203, v1
	v_mov_b32_e32 v1, 0
	v_dot4c_i32_i8_e32 v1, v206, v4
	v_dot4c_i32_i8_e32 v84, v204, v2
	;; [unrolled: 1-line block ×6, first 2 shown]
	v_mov_b32_e32 v86, 0
	v_mul_lo_u32 v0, v84, v211
	s_nop 0
	v_mad_u64_u32 v[0:1], s[22:23], v1, v212, v[0:1]
	v_cvt_f32_i32_e32 v0, v0
	v_mul_f32_e32 v1, v207, v85
	v_fmac_f32_e32 v99, v1, v0
	ds_read2_b32 v[84:85], v168 offset0:64 offset1:96
	ds_read_b128 v[0:3], v167 offset:2048
	ds_read_b128 v[4:7], v167 offset:2064
	s_waitcnt lgkmcnt(1)
	v_dot4c_i32_i8_e32 v86, v169, v0
	v_dot4c_i32_i8_e32 v86, v170, v1
	s_waitcnt lgkmcnt(0)
	v_dot4c_i32_i8_e32 v87, v174, v4
	v_dot4c_i32_i8_e32 v86, v171, v2
	;; [unrolled: 1-line block ×6, first 2 shown]
	s_nop 0
	v_mul_lo_u32 v86, v86, v178
	s_nop 0
	v_mad_u64_u32 v[86:87], s[22:23], v87, v180, v[86:87]
	v_cvt_f32_i32_e32 v86, v86
	v_mul_f32_e32 v87, v173, v84
	v_fmac_f32_e32 v98, v87, v86
	v_mov_b32_e32 v86, 0
	v_dot4c_i32_i8_e32 v86, v179, v0
	v_mov_b32_e32 v87, 0
	v_dot4c_i32_i8_e32 v86, v181, v1
	v_dot4c_i32_i8_e32 v87, v184, v4
	;; [unrolled: 1-line block ×7, first 2 shown]
	s_nop 0
	v_mul_lo_u32 v86, v86, v189
	s_nop 0
	v_mad_u64_u32 v[86:87], s[22:23], v87, v191, v[86:87]
	v_cvt_f32_i32_e32 v86, v86
	v_mul_f32_e32 v87, v185, v84
	v_fmac_f32_e32 v97, v87, v86
	v_mov_b32_e32 v86, 0
	v_dot4c_i32_i8_e32 v86, v190, v0
	v_mov_b32_e32 v87, 0
	v_dot4c_i32_i8_e32 v86, v192, v1
	v_dot4c_i32_i8_e32 v87, v195, v4
	v_dot4c_i32_i8_e32 v86, v193, v2
	v_dot4c_i32_i8_e32 v87, v197, v5
	v_dot4c_i32_i8_e32 v86, v194, v3
	v_dot4c_i32_i8_e32 v87, v198, v6
	v_dot4c_i32_i8_e32 v87, v199, v7
	s_nop 0
	v_mul_lo_u32 v86, v86, v200
	s_nop 0
	v_mad_u64_u32 v[86:87], s[22:23], v87, v202, v[86:87]
	v_cvt_f32_i32_e32 v86, v86
	v_mul_f32_e32 v87, v196, v84
	v_fmac_f32_e32 v96, v87, v86
	v_mov_b32_e32 v86, 0
	v_dot4c_i32_i8_e32 v86, v201, v0
	v_dot4c_i32_i8_e32 v86, v203, v1
	v_mov_b32_e32 v1, 0
	v_dot4c_i32_i8_e32 v1, v206, v4
	v_dot4c_i32_i8_e32 v86, v204, v2
	;; [unrolled: 1-line block ×6, first 2 shown]
	s_nop 0
	v_mul_lo_u32 v0, v86, v211
	v_mov_b32_e32 v86, 0
	v_mad_u64_u32 v[0:1], s[22:23], v1, v212, v[0:1]
	v_cvt_f32_i32_e32 v0, v0
	v_mul_f32_e32 v1, v207, v84
	v_mov_b32_e32 v84, 0
	v_fmac_f32_e32 v83, v1, v0
	ds_read_b128 v[0:3], v167 offset:3072
	ds_read_b128 v[4:7], v167 offset:3088
	s_waitcnt lgkmcnt(1)
	v_dot4c_i32_i8_e32 v84, v169, v0
	v_dot4c_i32_i8_e32 v84, v170, v1
	s_waitcnt lgkmcnt(0)
	v_dot4c_i32_i8_e32 v86, v174, v4
	v_dot4c_i32_i8_e32 v84, v171, v2
	v_dot4c_i32_i8_e32 v86, v175, v5
	v_dot4c_i32_i8_e32 v84, v172, v3
	v_dot4c_i32_i8_e32 v86, v176, v6
	v_dot4c_i32_i8_e32 v86, v177, v7
	s_nop 0
	v_mul_lo_u32 v84, v84, v178
	s_nop 0
	v_mad_u64_u32 v[86:87], s[22:23], v86, v180, v[84:85]
	v_cvt_f32_i32_e32 v86, v86
	v_mul_f32_e32 v84, v173, v85
	v_fmac_f32_e32 v77, v84, v86
	v_mov_b32_e32 v84, 0
	v_dot4c_i32_i8_e32 v84, v179, v0
	v_mov_b32_e32 v86, 0
	v_dot4c_i32_i8_e32 v84, v181, v1
	v_dot4c_i32_i8_e32 v86, v184, v4
	;; [unrolled: 1-line block ×7, first 2 shown]
	s_nop 0
	v_mul_lo_u32 v84, v84, v189
	s_nop 0
	v_mad_u64_u32 v[86:87], s[22:23], v86, v191, v[84:85]
	v_cvt_f32_i32_e32 v86, v86
	v_mul_f32_e32 v84, v185, v85
	v_fmac_f32_e32 v63, v84, v86
	v_mov_b32_e32 v84, 0
	v_dot4c_i32_i8_e32 v84, v190, v0
	v_mov_b32_e32 v86, 0
	v_dot4c_i32_i8_e32 v84, v192, v1
	v_dot4c_i32_i8_e32 v86, v195, v4
	;; [unrolled: 1-line block ×7, first 2 shown]
	s_nop 0
	v_mul_lo_u32 v84, v84, v200
	s_nop 0
	v_mad_u64_u32 v[86:87], s[22:23], v86, v202, v[84:85]
	v_cvt_f32_i32_e32 v86, v86
	v_mul_f32_e32 v84, v196, v85
	v_mov_b32_e32 v87, 0
	v_fmac_f32_e32 v53, v84, v86
	v_mov_b32_e32 v84, 0
	v_dot4c_i32_i8_e32 v84, v201, v0
	v_dot4c_i32_i8_e32 v84, v203, v1
	v_mov_b32_e32 v1, 0
	v_dot4c_i32_i8_e32 v1, v206, v4
	v_dot4c_i32_i8_e32 v84, v204, v2
	;; [unrolled: 1-line block ×6, first 2 shown]
	v_mov_b32_e32 v86, 0
	v_mul_lo_u32 v0, v84, v211
	s_nop 0
	v_mad_u64_u32 v[0:1], s[22:23], v1, v212, v[0:1]
	v_cvt_f32_i32_e32 v0, v0
	v_mul_f32_e32 v1, v207, v85
	v_fmac_f32_e32 v47, v1, v0
	ds_read2_b32 v[84:85], v168 offset0:128 offset1:160
	ds_read_b128 v[0:3], v167 offset:4096
	ds_read_b128 v[4:7], v167 offset:4112
	s_waitcnt lgkmcnt(1)
	v_dot4c_i32_i8_e32 v86, v169, v0
	v_dot4c_i32_i8_e32 v86, v170, v1
	s_waitcnt lgkmcnt(0)
	v_dot4c_i32_i8_e32 v87, v174, v4
	v_dot4c_i32_i8_e32 v86, v171, v2
	;; [unrolled: 1-line block ×6, first 2 shown]
	s_nop 0
	v_mul_lo_u32 v86, v86, v178
	s_nop 0
	v_mad_u64_u32 v[86:87], s[22:23], v87, v180, v[86:87]
	v_cvt_f32_i32_e32 v86, v86
	v_mul_f32_e32 v87, v173, v84
	v_fmac_f32_e32 v45, v87, v86
	v_mov_b32_e32 v86, 0
	v_dot4c_i32_i8_e32 v86, v179, v0
	v_mov_b32_e32 v87, 0
	v_dot4c_i32_i8_e32 v86, v181, v1
	v_dot4c_i32_i8_e32 v87, v184, v4
	;; [unrolled: 1-line block ×7, first 2 shown]
	s_nop 0
	v_mul_lo_u32 v86, v86, v189
	s_nop 0
	v_mad_u64_u32 v[86:87], s[22:23], v87, v191, v[86:87]
	v_cvt_f32_i32_e32 v86, v86
	v_mul_f32_e32 v87, v185, v84
	v_fmac_f32_e32 v43, v87, v86
	v_mov_b32_e32 v86, 0
	v_dot4c_i32_i8_e32 v86, v190, v0
	v_mov_b32_e32 v87, 0
	v_dot4c_i32_i8_e32 v86, v192, v1
	v_dot4c_i32_i8_e32 v87, v195, v4
	;; [unrolled: 1-line block ×7, first 2 shown]
	s_nop 0
	v_mul_lo_u32 v86, v86, v200
	s_nop 0
	v_mad_u64_u32 v[86:87], s[22:23], v87, v202, v[86:87]
	v_cvt_f32_i32_e32 v86, v86
	v_mul_f32_e32 v87, v196, v84
	v_fmac_f32_e32 v41, v87, v86
	v_mov_b32_e32 v86, 0
	v_dot4c_i32_i8_e32 v86, v201, v0
	v_dot4c_i32_i8_e32 v86, v203, v1
	v_mov_b32_e32 v1, 0
	v_dot4c_i32_i8_e32 v1, v206, v4
	v_dot4c_i32_i8_e32 v86, v204, v2
	;; [unrolled: 1-line block ×6, first 2 shown]
	s_nop 0
	v_mul_lo_u32 v0, v86, v211
	v_mov_b32_e32 v86, 0
	v_mad_u64_u32 v[0:1], s[22:23], v1, v212, v[0:1]
	v_cvt_f32_i32_e32 v0, v0
	v_mul_f32_e32 v1, v207, v84
	v_mov_b32_e32 v84, 0
	v_fmac_f32_e32 v39, v1, v0
	ds_read_b128 v[0:3], v167 offset:5120
	ds_read_b128 v[4:7], v167 offset:5136
	s_waitcnt lgkmcnt(1)
	v_dot4c_i32_i8_e32 v84, v169, v0
	v_dot4c_i32_i8_e32 v84, v170, v1
	s_waitcnt lgkmcnt(0)
	v_dot4c_i32_i8_e32 v86, v174, v4
	v_dot4c_i32_i8_e32 v84, v171, v2
	;; [unrolled: 1-line block ×6, first 2 shown]
	s_nop 0
	v_mul_lo_u32 v84, v84, v178
	s_nop 0
	v_mad_u64_u32 v[86:87], s[22:23], v86, v180, v[84:85]
	v_cvt_f32_i32_e32 v86, v86
	v_mul_f32_e32 v84, v173, v85
	v_fmac_f32_e32 v37, v84, v86
	v_mov_b32_e32 v84, 0
	v_dot4c_i32_i8_e32 v84, v179, v0
	v_mov_b32_e32 v86, 0
	v_dot4c_i32_i8_e32 v84, v181, v1
	v_dot4c_i32_i8_e32 v86, v184, v4
	;; [unrolled: 1-line block ×7, first 2 shown]
	s_nop 0
	v_mul_lo_u32 v84, v84, v189
	s_nop 0
	v_mad_u64_u32 v[86:87], s[22:23], v86, v191, v[84:85]
	v_cvt_f32_i32_e32 v86, v86
	v_mul_f32_e32 v84, v185, v85
	v_fmac_f32_e32 v35, v84, v86
	v_mov_b32_e32 v84, 0
	v_dot4c_i32_i8_e32 v84, v190, v0
	v_mov_b32_e32 v86, 0
	v_dot4c_i32_i8_e32 v84, v192, v1
	v_dot4c_i32_i8_e32 v86, v195, v4
	v_dot4c_i32_i8_e32 v84, v193, v2
	v_dot4c_i32_i8_e32 v86, v197, v5
	v_dot4c_i32_i8_e32 v84, v194, v3
	v_dot4c_i32_i8_e32 v86, v198, v6
	v_dot4c_i32_i8_e32 v86, v199, v7
	s_nop 0
	v_mul_lo_u32 v84, v84, v200
	s_nop 0
	v_mad_u64_u32 v[86:87], s[22:23], v86, v202, v[84:85]
	v_cvt_f32_i32_e32 v86, v86
	v_mul_f32_e32 v84, v196, v85
	v_mov_b32_e32 v87, 0
	v_fmac_f32_e32 v33, v84, v86
	v_mov_b32_e32 v84, 0
	v_dot4c_i32_i8_e32 v84, v201, v0
	v_dot4c_i32_i8_e32 v84, v203, v1
	v_mov_b32_e32 v1, 0
	v_dot4c_i32_i8_e32 v1, v206, v4
	v_dot4c_i32_i8_e32 v84, v204, v2
	;; [unrolled: 1-line block ×6, first 2 shown]
	v_mov_b32_e32 v86, 0
	v_mul_lo_u32 v0, v84, v211
	s_nop 0
	v_mad_u64_u32 v[0:1], s[22:23], v1, v212, v[0:1]
	v_cvt_f32_i32_e32 v0, v0
	v_mul_f32_e32 v1, v207, v85
	v_fmac_f32_e32 v29, v1, v0
	ds_read2_b32 v[84:85], v168 offset0:192 offset1:224
	ds_read_b128 v[4:7], v167 offset:6144
	ds_read_b128 v[0:3], v167 offset:6160
	v_add_u32_e32 v168, 4, v168
	s_waitcnt lgkmcnt(1)
	v_dot4c_i32_i8_e32 v86, v169, v4
	v_dot4c_i32_i8_e32 v86, v170, v5
	s_waitcnt lgkmcnt(0)
	v_dot4c_i32_i8_e32 v87, v174, v0
	v_dot4c_i32_i8_e32 v86, v171, v6
	;; [unrolled: 1-line block ×6, first 2 shown]
	s_nop 0
	v_mul_lo_u32 v86, v86, v178
	s_nop 0
	v_mad_u64_u32 v[86:87], s[22:23], v87, v180, v[86:87]
	v_cvt_f32_i32_e32 v86, v86
	v_mul_f32_e32 v87, v173, v84
	v_fmac_f32_e32 v25, v87, v86
	v_mov_b32_e32 v86, 0
	v_dot4c_i32_i8_e32 v86, v179, v4
	v_mov_b32_e32 v87, 0
	v_dot4c_i32_i8_e32 v86, v181, v5
	v_dot4c_i32_i8_e32 v87, v184, v0
	;; [unrolled: 1-line block ×7, first 2 shown]
	s_nop 0
	v_mul_lo_u32 v86, v86, v189
	s_nop 0
	v_mad_u64_u32 v[86:87], s[22:23], v87, v191, v[86:87]
	v_cvt_f32_i32_e32 v86, v86
	v_mul_f32_e32 v87, v185, v84
	v_fmac_f32_e32 v23, v87, v86
	v_mov_b32_e32 v86, 0
	v_dot4c_i32_i8_e32 v86, v190, v4
	v_mov_b32_e32 v87, 0
	v_dot4c_i32_i8_e32 v86, v192, v5
	v_dot4c_i32_i8_e32 v87, v195, v0
	;; [unrolled: 1-line block ×7, first 2 shown]
	s_nop 0
	v_mul_lo_u32 v86, v86, v200
	s_nop 0
	v_mad_u64_u32 v[86:87], s[22:23], v87, v202, v[86:87]
	v_cvt_f32_i32_e32 v86, v86
	v_mul_f32_e32 v87, v196, v84
	v_fmac_f32_e32 v21, v87, v86
	v_mov_b32_e32 v86, 0
	v_dot4c_i32_i8_e32 v86, v201, v4
	v_dot4c_i32_i8_e32 v86, v203, v5
	v_mov_b32_e32 v5, 0
	v_dot4c_i32_i8_e32 v5, v206, v0
	v_dot4c_i32_i8_e32 v86, v204, v6
	;; [unrolled: 1-line block ×6, first 2 shown]
	s_nop 0
	v_mul_lo_u32 v4, v86, v211
	v_mov_b32_e32 v86, 0
	v_mad_u64_u32 v[0:1], s[22:23], v5, v212, v[4:5]
	v_cvt_f32_i32_e32 v0, v0
	v_mul_f32_e32 v1, v207, v84
	v_mov_b32_e32 v84, 0
	v_fmac_f32_e32 v19, v1, v0
	ds_read_b128 v[0:3], v167 offset:7168
	ds_read_b128 v[4:7], v167 offset:7184
	v_add_u32_e32 v167, 32, v167
	s_waitcnt lgkmcnt(1)
	v_dot4c_i32_i8_e32 v84, v169, v0
	v_dot4c_i32_i8_e32 v84, v170, v1
	s_waitcnt lgkmcnt(0)
	v_dot4c_i32_i8_e32 v86, v174, v4
	v_dot4c_i32_i8_e32 v84, v171, v2
	;; [unrolled: 1-line block ×6, first 2 shown]
	s_nop 0
	v_mul_lo_u32 v84, v84, v178
	s_nop 0
	v_mad_u64_u32 v[86:87], s[22:23], v86, v180, v[84:85]
	v_cvt_f32_i32_e32 v86, v86
	v_mul_f32_e32 v84, v173, v85
	v_fmac_f32_e32 v17, v84, v86
	v_mov_b32_e32 v84, 0
	v_dot4c_i32_i8_e32 v84, v179, v0
	v_mov_b32_e32 v86, 0
	v_dot4c_i32_i8_e32 v84, v181, v1
	v_dot4c_i32_i8_e32 v86, v184, v4
	;; [unrolled: 1-line block ×7, first 2 shown]
	s_nop 0
	v_mul_lo_u32 v84, v84, v189
	s_nop 0
	v_mad_u64_u32 v[86:87], s[22:23], v86, v191, v[84:85]
	v_cvt_f32_i32_e32 v86, v86
	v_mul_f32_e32 v84, v185, v85
	v_fmac_f32_e32 v15, v84, v86
	v_mov_b32_e32 v84, 0
	v_dot4c_i32_i8_e32 v84, v190, v0
	v_mov_b32_e32 v86, 0
	v_dot4c_i32_i8_e32 v84, v192, v1
	v_dot4c_i32_i8_e32 v86, v195, v4
	v_dot4c_i32_i8_e32 v84, v193, v2
	v_dot4c_i32_i8_e32 v86, v197, v5
	v_dot4c_i32_i8_e32 v84, v194, v3
	v_dot4c_i32_i8_e32 v86, v198, v6
	v_dot4c_i32_i8_e32 v86, v199, v7
	s_nop 0
	v_mul_lo_u32 v84, v84, v200
	s_nop 0
	v_mad_u64_u32 v[86:87], s[22:23], v86, v202, v[84:85]
	v_cvt_f32_i32_e32 v86, v86
	v_mul_f32_e32 v84, v196, v85
	v_fmac_f32_e32 v13, v84, v86
	v_mov_b32_e32 v84, 0
	v_dot4c_i32_i8_e32 v84, v201, v0
	v_dot4c_i32_i8_e32 v84, v203, v1
	v_mov_b32_e32 v1, 0
	v_dot4c_i32_i8_e32 v1, v206, v4
	v_dot4c_i32_i8_e32 v84, v204, v2
	v_dot4c_i32_i8_e32 v1, v208, v5
	v_dot4c_i32_i8_e32 v84, v205, v3
	v_dot4c_i32_i8_e32 v1, v209, v6
	v_dot4c_i32_i8_e32 v1, v210, v7
	s_nop 0
	v_mul_lo_u32 v0, v84, v211
	s_nop 0
	v_mad_u64_u32 v[0:1], s[22:23], v1, v212, v[0:1]
	v_cvt_f32_i32_e32 v0, v0
	v_mul_f32_e32 v1, v207, v85
	v_fmac_f32_e32 v9, v1, v0
	s_cbranch_scc1 .LBB129_14
; %bb.15:                               ;   in Loop: Header=BB129_6 Depth=1
	s_barrier
	s_branch .LBB129_5
.LBB129_16:
	v_mov_b32_e32 v1, v31
.LBB129_17:
	v_cmp_gt_u32_e32 vcc, s8, v79
	s_and_saveexec_b64 s[0:1], vcc
	s_cbranch_execz .LBB129_68
; %bb.18:
	v_add_u32_e32 v0, s6, v27
	v_mul_lo_u32 v5, v79, s10
	v_cmp_gt_u32_e32 vcc, s10, v0
	s_and_saveexec_b64 s[0:1], vcc
	s_cbranch_execz .LBB129_20
; %bb.19:
	v_add_u32_e32 v2, v0, v5
	v_mov_b32_e32 v3, 0
	s_waitcnt lgkmcnt(0)
	v_lshl_add_u64 v[2:3], v[2:3], 2, s[12:13]
	global_store_dword v[2:3], v125, off
.LBB129_20:
	s_or_b64 exec, exec, s[0:1]
	v_add_u32_e32 v2, 32, v0
	v_cmp_gt_u32_e64 s[0:1], s10, v2
	s_and_saveexec_b64 s[2:3], s[0:1]
	s_cbranch_execz .LBB129_22
; %bb.21:
	v_add_u32_e32 v6, v2, v5
	v_mov_b32_e32 v7, 0
	s_waitcnt lgkmcnt(0)
	v_lshl_add_u64 v[6:7], v[6:7], 2, s[12:13]
	global_store_dword v[6:7], v118, off
.LBB129_22:
	s_or_b64 exec, exec, s[2:3]
	v_add_u32_e32 v3, 64, v0
	v_cmp_gt_u32_e64 s[2:3], s10, v3
	s_and_saveexec_b64 s[4:5], s[2:3]
	;; [unrolled: 12-line block ×3, first 2 shown]
	s_cbranch_execz .LBB129_26
; %bb.25:
	v_add_u32_e32 v6, v4, v5
	v_mov_b32_e32 v7, 0
	s_waitcnt lgkmcnt(0)
	v_lshl_add_u64 v[6:7], v[6:7], 2, s[12:13]
	global_store_dword v[6:7], v106, off
.LBB129_26:
	s_or_b64 exec, exec, s[6:7]
	v_add3_u32 v5, v1, s11, 8
	v_cmp_gt_u32_e64 s[6:7], s8, v5
	s_and_b64 exec, exec, s[6:7]
	s_cbranch_execz .LBB129_68
; %bb.27:
	v_mul_lo_u32 v5, v5, s10
	s_and_saveexec_b64 s[6:7], vcc
	s_cbranch_execnz .LBB129_69
; %bb.28:
	s_or_b64 exec, exec, s[6:7]
	s_and_saveexec_b64 s[6:7], s[0:1]
	s_cbranch_execnz .LBB129_70
.LBB129_29:
	s_or_b64 exec, exec, s[6:7]
	s_and_saveexec_b64 s[6:7], s[2:3]
	s_cbranch_execnz .LBB129_71
.LBB129_30:
	s_or_b64 exec, exec, s[6:7]
	s_and_saveexec_b64 s[6:7], s[4:5]
	s_cbranch_execz .LBB129_32
.LBB129_31:
	v_add_u32_e32 v6, v5, v4
	v_mov_b32_e32 v7, 0
	s_waitcnt lgkmcnt(0)
	v_lshl_add_u64 v[6:7], v[6:7], 2, s[12:13]
	global_store_dword v[6:7], v99, off
.LBB129_32:
	s_or_b64 exec, exec, s[6:7]
	v_add3_u32 v5, v1, s11, 16
	v_cmp_gt_u32_e64 s[6:7], s8, v5
	s_and_b64 exec, exec, s[6:7]
	s_cbranch_execz .LBB129_68
; %bb.33:
	v_mul_lo_u32 v5, v5, s10
	s_and_saveexec_b64 s[6:7], vcc
	s_cbranch_execnz .LBB129_72
; %bb.34:
	s_or_b64 exec, exec, s[6:7]
	s_and_saveexec_b64 s[6:7], s[0:1]
	s_cbranch_execnz .LBB129_73
.LBB129_35:
	s_or_b64 exec, exec, s[6:7]
	s_and_saveexec_b64 s[6:7], s[2:3]
	s_cbranch_execnz .LBB129_74
.LBB129_36:
	s_or_b64 exec, exec, s[6:7]
	s_and_saveexec_b64 s[6:7], s[4:5]
	s_cbranch_execz .LBB129_38
.LBB129_37:
	v_add_u32_e32 v6, v5, v4
	v_mov_b32_e32 v7, 0
	s_waitcnt lgkmcnt(0)
	v_lshl_add_u64 v[6:7], v[6:7], 2, s[12:13]
	global_store_dword v[6:7], v83, off
.LBB129_38:
	s_or_b64 exec, exec, s[6:7]
	v_add3_u32 v5, v1, s11, 24
	v_cmp_gt_u32_e64 s[6:7], s8, v5
	s_and_b64 exec, exec, s[6:7]
	s_cbranch_execz .LBB129_68
; %bb.39:
	v_mul_lo_u32 v5, v5, s10
	s_and_saveexec_b64 s[6:7], vcc
	s_cbranch_execnz .LBB129_75
; %bb.40:
	s_or_b64 exec, exec, s[6:7]
	s_and_saveexec_b64 s[6:7], s[0:1]
	s_cbranch_execnz .LBB129_76
.LBB129_41:
	s_or_b64 exec, exec, s[6:7]
	s_and_saveexec_b64 s[6:7], s[2:3]
	s_cbranch_execnz .LBB129_77
.LBB129_42:
	s_or_b64 exec, exec, s[6:7]
	s_and_saveexec_b64 s[6:7], s[4:5]
	s_cbranch_execz .LBB129_44
.LBB129_43:
	v_add_u32_e32 v6, v5, v4
	v_mov_b32_e32 v7, 0
	s_waitcnt lgkmcnt(0)
	v_lshl_add_u64 v[6:7], v[6:7], 2, s[12:13]
	global_store_dword v[6:7], v47, off
.LBB129_44:
	s_or_b64 exec, exec, s[6:7]
	v_add3_u32 v5, v1, s11, 32
	v_cmp_gt_u32_e64 s[6:7], s8, v5
	s_and_b64 exec, exec, s[6:7]
	s_cbranch_execz .LBB129_68
; %bb.45:
	v_mul_lo_u32 v5, v5, s10
	s_and_saveexec_b64 s[6:7], vcc
	s_cbranch_execnz .LBB129_78
; %bb.46:
	s_or_b64 exec, exec, s[6:7]
	s_and_saveexec_b64 s[6:7], s[0:1]
	s_cbranch_execnz .LBB129_79
.LBB129_47:
	s_or_b64 exec, exec, s[6:7]
	s_and_saveexec_b64 s[6:7], s[2:3]
	s_cbranch_execnz .LBB129_80
.LBB129_48:
	s_or_b64 exec, exec, s[6:7]
	s_and_saveexec_b64 s[6:7], s[4:5]
	s_cbranch_execz .LBB129_50
.LBB129_49:
	v_add_u32_e32 v6, v5, v4
	v_mov_b32_e32 v7, 0
	s_waitcnt lgkmcnt(0)
	v_lshl_add_u64 v[6:7], v[6:7], 2, s[12:13]
	global_store_dword v[6:7], v39, off
.LBB129_50:
	s_or_b64 exec, exec, s[6:7]
	v_add3_u32 v5, v1, s11, 40
	v_cmp_gt_u32_e64 s[6:7], s8, v5
	s_and_b64 exec, exec, s[6:7]
	s_cbranch_execz .LBB129_68
; %bb.51:
	v_mul_lo_u32 v5, v5, s10
	s_and_saveexec_b64 s[6:7], vcc
	s_cbranch_execnz .LBB129_81
; %bb.52:
	s_or_b64 exec, exec, s[6:7]
	s_and_saveexec_b64 s[6:7], s[0:1]
	s_cbranch_execnz .LBB129_82
.LBB129_53:
	s_or_b64 exec, exec, s[6:7]
	s_and_saveexec_b64 s[6:7], s[2:3]
	s_cbranch_execnz .LBB129_83
.LBB129_54:
	s_or_b64 exec, exec, s[6:7]
	s_and_saveexec_b64 s[6:7], s[4:5]
	s_cbranch_execz .LBB129_56
.LBB129_55:
	v_add_u32_e32 v6, v5, v4
	v_mov_b32_e32 v7, 0
	s_waitcnt lgkmcnt(0)
	v_lshl_add_u64 v[6:7], v[6:7], 2, s[12:13]
	global_store_dword v[6:7], v29, off
.LBB129_56:
	s_or_b64 exec, exec, s[6:7]
	v_add3_u32 v5, v1, s11, 48
	v_cmp_gt_u32_e64 s[6:7], s8, v5
	s_and_b64 exec, exec, s[6:7]
	s_cbranch_execz .LBB129_68
; %bb.57:
	v_mul_lo_u32 v5, v5, s10
	s_and_saveexec_b64 s[6:7], vcc
	s_cbranch_execnz .LBB129_84
; %bb.58:
	s_or_b64 exec, exec, s[6:7]
	s_and_saveexec_b64 s[6:7], s[0:1]
	s_cbranch_execnz .LBB129_85
.LBB129_59:
	s_or_b64 exec, exec, s[6:7]
	s_and_saveexec_b64 s[6:7], s[2:3]
	s_cbranch_execnz .LBB129_86
.LBB129_60:
	s_or_b64 exec, exec, s[6:7]
	s_and_saveexec_b64 s[6:7], s[4:5]
	s_cbranch_execz .LBB129_62
.LBB129_61:
	v_add_u32_e32 v6, v5, v4
	v_mov_b32_e32 v7, 0
	s_waitcnt lgkmcnt(0)
	v_lshl_add_u64 v[6:7], v[6:7], 2, s[12:13]
	global_store_dword v[6:7], v19, off
.LBB129_62:
	s_or_b64 exec, exec, s[6:7]
	v_add3_u32 v1, v1, s11, 56
	v_cmp_gt_u32_e64 s[6:7], s8, v1
	s_and_b64 exec, exec, s[6:7]
	s_cbranch_execz .LBB129_68
; %bb.63:
	v_mul_lo_u32 v1, v1, s10
	s_and_saveexec_b64 s[6:7], vcc
	s_cbranch_execnz .LBB129_87
; %bb.64:
	s_or_b64 exec, exec, s[6:7]
	s_and_saveexec_b64 s[6:7], s[0:1]
	s_cbranch_execnz .LBB129_88
.LBB129_65:
	s_or_b64 exec, exec, s[6:7]
	s_and_saveexec_b64 s[0:1], s[2:3]
	s_cbranch_execnz .LBB129_89
.LBB129_66:
	s_or_b64 exec, exec, s[0:1]
	s_and_b64 exec, exec, s[4:5]
	s_cbranch_execz .LBB129_68
.LBB129_67:
	v_add_u32_e32 v0, v1, v4
	v_mov_b32_e32 v1, 0
	s_waitcnt lgkmcnt(0)
	v_lshl_add_u64 v[0:1], v[0:1], 2, s[12:13]
	global_store_dword v[0:1], v9, off
.LBB129_68:
	s_endpgm
.LBB129_69:
	v_add_u32_e32 v6, v5, v0
	v_mov_b32_e32 v7, 0
	s_waitcnt lgkmcnt(0)
	v_lshl_add_u64 v[6:7], v[6:7], 2, s[12:13]
	global_store_dword v[6:7], v105, off
	s_or_b64 exec, exec, s[6:7]
	s_and_saveexec_b64 s[6:7], s[0:1]
	s_cbranch_execz .LBB129_29
.LBB129_70:
	v_add_u32_e32 v6, v5, v2
	v_mov_b32_e32 v7, 0
	s_waitcnt lgkmcnt(0)
	v_lshl_add_u64 v[6:7], v[6:7], 2, s[12:13]
	global_store_dword v[6:7], v104, off
	s_or_b64 exec, exec, s[6:7]
	s_and_saveexec_b64 s[6:7], s[2:3]
	s_cbranch_execz .LBB129_30
.LBB129_71:
	v_add_u32_e32 v6, v5, v3
	v_mov_b32_e32 v7, 0
	s_waitcnt lgkmcnt(0)
	v_lshl_add_u64 v[6:7], v[6:7], 2, s[12:13]
	global_store_dword v[6:7], v101, off
	s_or_b64 exec, exec, s[6:7]
	s_and_saveexec_b64 s[6:7], s[4:5]
	s_cbranch_execnz .LBB129_31
	s_branch .LBB129_32
.LBB129_72:
	v_add_u32_e32 v6, v5, v0
	v_mov_b32_e32 v7, 0
	s_waitcnt lgkmcnt(0)
	v_lshl_add_u64 v[6:7], v[6:7], 2, s[12:13]
	global_store_dword v[6:7], v98, off
	s_or_b64 exec, exec, s[6:7]
	s_and_saveexec_b64 s[6:7], s[0:1]
	s_cbranch_execz .LBB129_35
.LBB129_73:
	v_add_u32_e32 v6, v5, v2
	v_mov_b32_e32 v7, 0
	s_waitcnt lgkmcnt(0)
	v_lshl_add_u64 v[6:7], v[6:7], 2, s[12:13]
	global_store_dword v[6:7], v97, off
	s_or_b64 exec, exec, s[6:7]
	s_and_saveexec_b64 s[6:7], s[2:3]
	s_cbranch_execz .LBB129_36
.LBB129_74:
	v_add_u32_e32 v6, v5, v3
	v_mov_b32_e32 v7, 0
	s_waitcnt lgkmcnt(0)
	v_lshl_add_u64 v[6:7], v[6:7], 2, s[12:13]
	global_store_dword v[6:7], v96, off
	s_or_b64 exec, exec, s[6:7]
	s_and_saveexec_b64 s[6:7], s[4:5]
	s_cbranch_execnz .LBB129_37
	s_branch .LBB129_38
.LBB129_75:
	v_add_u32_e32 v6, v5, v0
	v_mov_b32_e32 v7, 0
	s_waitcnt lgkmcnt(0)
	v_lshl_add_u64 v[6:7], v[6:7], 2, s[12:13]
	global_store_dword v[6:7], v77, off
	s_or_b64 exec, exec, s[6:7]
	s_and_saveexec_b64 s[6:7], s[0:1]
	s_cbranch_execz .LBB129_41
.LBB129_76:
	v_add_u32_e32 v6, v5, v2
	v_mov_b32_e32 v7, 0
	s_waitcnt lgkmcnt(0)
	v_lshl_add_u64 v[6:7], v[6:7], 2, s[12:13]
	global_store_dword v[6:7], v63, off
	s_or_b64 exec, exec, s[6:7]
	s_and_saveexec_b64 s[6:7], s[2:3]
	s_cbranch_execz .LBB129_42
.LBB129_77:
	v_add_u32_e32 v6, v5, v3
	v_mov_b32_e32 v7, 0
	s_waitcnt lgkmcnt(0)
	v_lshl_add_u64 v[6:7], v[6:7], 2, s[12:13]
	global_store_dword v[6:7], v53, off
	s_or_b64 exec, exec, s[6:7]
	s_and_saveexec_b64 s[6:7], s[4:5]
	s_cbranch_execnz .LBB129_43
	s_branch .LBB129_44
.LBB129_78:
	v_add_u32_e32 v6, v5, v0
	v_mov_b32_e32 v7, 0
	s_waitcnt lgkmcnt(0)
	v_lshl_add_u64 v[6:7], v[6:7], 2, s[12:13]
	global_store_dword v[6:7], v45, off
	s_or_b64 exec, exec, s[6:7]
	s_and_saveexec_b64 s[6:7], s[0:1]
	s_cbranch_execz .LBB129_47
.LBB129_79:
	v_add_u32_e32 v6, v5, v2
	v_mov_b32_e32 v7, 0
	s_waitcnt lgkmcnt(0)
	v_lshl_add_u64 v[6:7], v[6:7], 2, s[12:13]
	global_store_dword v[6:7], v43, off
	s_or_b64 exec, exec, s[6:7]
	s_and_saveexec_b64 s[6:7], s[2:3]
	s_cbranch_execz .LBB129_48
.LBB129_80:
	v_add_u32_e32 v6, v5, v3
	v_mov_b32_e32 v7, 0
	s_waitcnt lgkmcnt(0)
	v_lshl_add_u64 v[6:7], v[6:7], 2, s[12:13]
	global_store_dword v[6:7], v41, off
	s_or_b64 exec, exec, s[6:7]
	s_and_saveexec_b64 s[6:7], s[4:5]
	s_cbranch_execnz .LBB129_49
	s_branch .LBB129_50
.LBB129_81:
	v_add_u32_e32 v6, v5, v0
	v_mov_b32_e32 v7, 0
	s_waitcnt lgkmcnt(0)
	v_lshl_add_u64 v[6:7], v[6:7], 2, s[12:13]
	global_store_dword v[6:7], v37, off
	s_or_b64 exec, exec, s[6:7]
	s_and_saveexec_b64 s[6:7], s[0:1]
	s_cbranch_execz .LBB129_53
.LBB129_82:
	v_add_u32_e32 v6, v5, v2
	v_mov_b32_e32 v7, 0
	s_waitcnt lgkmcnt(0)
	v_lshl_add_u64 v[6:7], v[6:7], 2, s[12:13]
	global_store_dword v[6:7], v35, off
	s_or_b64 exec, exec, s[6:7]
	s_and_saveexec_b64 s[6:7], s[2:3]
	s_cbranch_execz .LBB129_54
.LBB129_83:
	v_add_u32_e32 v6, v5, v3
	v_mov_b32_e32 v7, 0
	s_waitcnt lgkmcnt(0)
	v_lshl_add_u64 v[6:7], v[6:7], 2, s[12:13]
	global_store_dword v[6:7], v33, off
	s_or_b64 exec, exec, s[6:7]
	s_and_saveexec_b64 s[6:7], s[4:5]
	s_cbranch_execnz .LBB129_55
	s_branch .LBB129_56
.LBB129_84:
	v_add_u32_e32 v6, v5, v0
	v_mov_b32_e32 v7, 0
	s_waitcnt lgkmcnt(0)
	v_lshl_add_u64 v[6:7], v[6:7], 2, s[12:13]
	global_store_dword v[6:7], v25, off
	s_or_b64 exec, exec, s[6:7]
	s_and_saveexec_b64 s[6:7], s[0:1]
	s_cbranch_execz .LBB129_59
.LBB129_85:
	v_add_u32_e32 v6, v5, v2
	v_mov_b32_e32 v7, 0
	s_waitcnt lgkmcnt(0)
	v_lshl_add_u64 v[6:7], v[6:7], 2, s[12:13]
	global_store_dword v[6:7], v23, off
	s_or_b64 exec, exec, s[6:7]
	s_and_saveexec_b64 s[6:7], s[2:3]
	s_cbranch_execz .LBB129_60
.LBB129_86:
	v_add_u32_e32 v6, v5, v3
	v_mov_b32_e32 v7, 0
	s_waitcnt lgkmcnt(0)
	v_lshl_add_u64 v[6:7], v[6:7], 2, s[12:13]
	global_store_dword v[6:7], v21, off
	s_or_b64 exec, exec, s[6:7]
	s_and_saveexec_b64 s[6:7], s[4:5]
	s_cbranch_execnz .LBB129_61
	s_branch .LBB129_62
.LBB129_87:
	v_add_u32_e32 v6, v1, v0
	v_mov_b32_e32 v7, 0
	s_waitcnt lgkmcnt(0)
	v_lshl_add_u64 v[6:7], v[6:7], 2, s[12:13]
	global_store_dword v[6:7], v17, off
	s_or_b64 exec, exec, s[6:7]
	s_and_saveexec_b64 s[6:7], s[0:1]
	s_cbranch_execz .LBB129_65
.LBB129_88:
	v_add_u32_e32 v6, v1, v2
	v_mov_b32_e32 v7, 0
	s_waitcnt lgkmcnt(0)
	v_lshl_add_u64 v[6:7], v[6:7], 2, s[12:13]
	global_store_dword v[6:7], v15, off
	s_or_b64 exec, exec, s[6:7]
	s_and_saveexec_b64 s[0:1], s[2:3]
	s_cbranch_execz .LBB129_66
.LBB129_89:
	v_add_u32_e32 v2, v1, v3
	v_mov_b32_e32 v3, 0
	s_waitcnt lgkmcnt(0)
	v_lshl_add_u64 v[2:3], v[2:3], 2, s[12:13]
	global_store_dword v[2:3], v13, off
	s_or_b64 exec, exec, s[0:1]
	s_and_b64 exec, exec, s[4:5]
	s_cbranch_execnz .LBB129_67
	s_branch .LBB129_68
	.section	.rodata,"a",@progbits
	.p2align	6, 0x0
	.amdhsa_kernel _ZL12mul_mat_q3_KIfLb0EEvPKvS1_PT_iiiii
		.amdhsa_group_segment_fixed_size 39840
		.amdhsa_private_segment_fixed_size 0
		.amdhsa_kernarg_size 44
		.amdhsa_user_sgpr_count 2
		.amdhsa_user_sgpr_dispatch_ptr 0
		.amdhsa_user_sgpr_queue_ptr 0
		.amdhsa_user_sgpr_kernarg_segment_ptr 1
		.amdhsa_user_sgpr_dispatch_id 0
		.amdhsa_user_sgpr_kernarg_preload_length 0
		.amdhsa_user_sgpr_kernarg_preload_offset 0
		.amdhsa_user_sgpr_private_segment_size 0
		.amdhsa_uses_dynamic_stack 0
		.amdhsa_enable_private_segment 0
		.amdhsa_system_sgpr_workgroup_id_x 1
		.amdhsa_system_sgpr_workgroup_id_y 1
		.amdhsa_system_sgpr_workgroup_id_z 0
		.amdhsa_system_sgpr_workgroup_info 0
		.amdhsa_system_vgpr_workitem_id 1
		.amdhsa_next_free_vgpr 216
		.amdhsa_next_free_sgpr 30
		.amdhsa_accum_offset 216
		.amdhsa_reserve_vcc 1
		.amdhsa_float_round_mode_32 0
		.amdhsa_float_round_mode_16_64 0
		.amdhsa_float_denorm_mode_32 3
		.amdhsa_float_denorm_mode_16_64 3
		.amdhsa_dx10_clamp 1
		.amdhsa_ieee_mode 1
		.amdhsa_fp16_overflow 0
		.amdhsa_tg_split 0
		.amdhsa_exception_fp_ieee_invalid_op 0
		.amdhsa_exception_fp_denorm_src 0
		.amdhsa_exception_fp_ieee_div_zero 0
		.amdhsa_exception_fp_ieee_overflow 0
		.amdhsa_exception_fp_ieee_underflow 0
		.amdhsa_exception_fp_ieee_inexact 0
		.amdhsa_exception_int_div_zero 0
	.end_amdhsa_kernel
	.section	.text._ZL12mul_mat_q3_KIfLb0EEvPKvS1_PT_iiiii,"axG",@progbits,_ZL12mul_mat_q3_KIfLb0EEvPKvS1_PT_iiiii,comdat
.Lfunc_end129:
	.size	_ZL12mul_mat_q3_KIfLb0EEvPKvS1_PT_iiiii, .Lfunc_end129-_ZL12mul_mat_q3_KIfLb0EEvPKvS1_PT_iiiii
                                        ; -- End function
	.section	.AMDGPU.csdata,"",@progbits
; Kernel info:
; codeLenInByte = 31868
; NumSgprs: 36
; NumVgprs: 216
; NumAgprs: 0
; TotalNumVgprs: 216
; ScratchSize: 0
; MemoryBound: 0
; FloatMode: 240
; IeeeMode: 1
; LDSByteSize: 39840 bytes/workgroup (compile time only)
; SGPRBlocks: 4
; VGPRBlocks: 26
; NumSGPRsForWavesPerEU: 36
; NumVGPRsForWavesPerEU: 216
; AccumOffset: 216
; Occupancy: 1
; WaveLimiterHint : 0
; COMPUTE_PGM_RSRC2:SCRATCH_EN: 0
; COMPUTE_PGM_RSRC2:USER_SGPR: 2
; COMPUTE_PGM_RSRC2:TRAP_HANDLER: 0
; COMPUTE_PGM_RSRC2:TGID_X_EN: 1
; COMPUTE_PGM_RSRC2:TGID_Y_EN: 1
; COMPUTE_PGM_RSRC2:TGID_Z_EN: 0
; COMPUTE_PGM_RSRC2:TIDIG_COMP_CNT: 1
; COMPUTE_PGM_RSRC3_GFX90A:ACCUM_OFFSET: 53
; COMPUTE_PGM_RSRC3_GFX90A:TG_SPLIT: 0
	.section	.text._ZL12mul_mat_q3_KIfLb1EEvPKvS1_PT_iiiii,"axG",@progbits,_ZL12mul_mat_q3_KIfLb1EEvPKvS1_PT_iiiii,comdat
	.globl	_ZL12mul_mat_q3_KIfLb1EEvPKvS1_PT_iiiii ; -- Begin function _ZL12mul_mat_q3_KIfLb1EEvPKvS1_PT_iiiii
	.p2align	8
	.type	_ZL12mul_mat_q3_KIfLb1EEvPKvS1_PT_iiiii,@function
_ZL12mul_mat_q3_KIfLb1EEvPKvS1_PT_iiiii: ; @_ZL12mul_mat_q3_KIfLb1EEvPKvS1_PT_iiiii
; %bb.0:
	s_load_dwordx4 s[8:11], s[0:1], 0x18
	s_load_dword s14, s[0:1], 0x28
	s_lshl_b32 s15, s3, 6
	v_bfe_u32 v29, v0, 10, 10
	s_waitcnt lgkmcnt(0)
	s_cmpk_gt_i32 s8, 0xff
	s_cbranch_scc1 .LBB130_2
; %bb.1:
	v_bfe_u32 v1, v0, 10, 10
	v_and_b32_e32 v25, 0x3ff, v0
	v_add_u32_e32 v59, s15, v1
	s_mov_b64 s[4:5], 0
	s_mov_b32 s3, 0
	s_branch .LBB130_3
.LBB130_2:
	s_mov_b64 s[4:5], -1
                                        ; implicit-def: $sgpr3
                                        ; implicit-def: $vgpr1
                                        ; implicit-def: $vgpr25
                                        ; implicit-def: $vgpr59
.LBB130_3:
	s_load_dwordx2 s[12:13], s[0:1], 0x10
	s_lshl_b32 s6, s2, 7
	s_andn2_b64 vcc, exec, s[4:5]
	v_mov_b32_e32 v9, s3
	v_mov_b32_e32 v19, s3
	;; [unrolled: 1-line block ×32, first 2 shown]
	s_cbranch_vccnz .LBB130_17
; %bb.4:
	s_ashr_i32 s4, s8, 31
	s_load_dwordx4 s[0:3], s[0:1], 0x0
	s_lshr_b32 s4, s4, 24
	s_add_i32 s4, s8, s4
	s_ashr_i32 s5, s11, 31
	s_ashr_i32 s4, s4, 8
	s_lshr_b32 s5, s5, 27
	s_add_i32 s5, s11, s5
	s_mul_i32 s7, s4, s6
	s_ashr_i32 s11, s5, 5
	s_mul_hi_i32 s8, s7, 0x6e
	s_mulk_i32 s7, 0x6e
	s_waitcnt lgkmcnt(0)
	s_add_u32 s7, s0, s7
	s_addc_u32 s8, s1, s8
	s_not_b32 s16, s6
	s_add_i32 s16, s16, s9
	v_and_b32_e32 v25, 0x3ff, v0
	v_and_b32_e32 v1, 15, v25
	v_min_i32_e32 v2, s16, v29
	v_lshlrev_b32_e32 v0, 2, v25
	s_movk_i32 s0, 0x84
	v_add_u32_e32 v3, 8, v29
	v_mul_lo_u32 v12, v2, s4
	v_mad_u64_u32 v[14:15], s[18:19], v2, s0, v[0:1]
	v_min_i32_e32 v2, s16, v3
	v_add_u32_e32 v6, 16, v29
	v_mul_lo_u32 v16, v2, s4
	v_mad_u64_u32 v[18:19], s[18:19], v2, s0, v[0:1]
	v_min_i32_e32 v2, s16, v6
	;; [unrolled: 4-line block ×7, first 2 shown]
	v_mul_lo_u32 v40, v2, s4
	v_mad_u64_u32 v[42:43], s[18:19], v2, s0, v[0:1]
	v_add_u32_e32 v2, 64, v29
	v_min_i32_e32 v2, s16, v2
	v_mul_lo_u32 v44, v2, s4
	v_mad_u64_u32 v[46:47], s[18:19], v2, s0, v[0:1]
	v_add_u32_e32 v2, 0x48, v29
	v_min_i32_e32 v2, s16, v2
	;; [unrolled: 4-line block ×8, first 2 shown]
	v_lshlrev_b32_e32 v55, 4, v29
	v_lshrrev_b32_e32 v19, 1, v25
	v_mul_lo_u32 v72, v2, s4
	v_mad_u64_u32 v[74:75], s[18:19], v2, s0, v[0:1]
	v_add_u32_e32 v2, v19, v55
	v_and_b32_e32 v2, 0x7f, v2
	v_min_i32_e32 v2, s16, v2
	v_ashrrev_i32_e32 v4, 31, v2
	v_lshrrev_b32_e32 v4, 28, v4
	v_add_u32_e32 v4, v2, v4
	v_lshrrev_b32_e32 v8, 4, v25
	v_and_b32_e32 v76, 1, v25
	v_ashrrev_i32_e32 v4, 4, v4
	v_mul_lo_u32 v78, v2, s4
	v_lshlrev_b32_e32 v4, 2, v4
	v_lshlrev_b32_e32 v5, 2, v76
	s_mov_b32 s1, 0x9380
	v_lshlrev_b32_e32 v23, 3, v2
	v_lshl_add_u32 v2, v29, 1, v8
	v_add3_u32 v21, v4, v5, s1
	v_min_i32_e32 v4, s16, v2
	v_lshrrev_b32_e32 v5, 31, v4
	v_mul_lo_u32 v84, v4, s4
	v_add_lshl_u32 v5, v4, v5, 1
	v_lshlrev_b32_e32 v31, 6, v4
	v_add_u32_e32 v4, 16, v2
	v_lshlrev_b32_e32 v10, 2, v1
	v_and_b32_e32 v5, -4, v5
	s_movk_i32 s17, 0x4200
	v_min_i32_e32 v4, s16, v4
	v_add3_u32 v27, v5, v10, s17
	v_lshrrev_b32_e32 v5, 31, v4
	v_mul_lo_u32 v86, v4, s4
	v_add_lshl_u32 v5, v4, v5, 1
	v_lshlrev_b32_e32 v35, 6, v4
	v_add_u32_e32 v4, 32, v2
	v_and_b32_e32 v5, -4, v5
	v_min_i32_e32 v4, s16, v4
	v_add3_u32 v33, v5, v10, s17
	v_lshrrev_b32_e32 v5, 31, v4
	v_mul_lo_u32 v88, v4, s4
	v_add_lshl_u32 v5, v4, v5, 1
	v_lshlrev_b32_e32 v39, 6, v4
	v_add_u32_e32 v4, 48, v2
	v_and_b32_e32 v5, -4, v5
	;; [unrolled: 8-line block ×5, first 2 shown]
	v_min_i32_e32 v4, s16, v4
	v_add_u32_e32 v2, 0x70, v2
	v_add3_u32 v49, v5, v10, s17
	v_lshrrev_b32_e32 v5, 31, v4
	v_min_i32_e32 v2, s16, v2
	v_cmp_lt_u32_e32 vcc, 7, v1
	v_and_b32_e32 v1, 7, v25
	v_mul_lo_u32 v96, v4, s4
	v_add_lshl_u32 v5, v4, v5, 1
	v_lshlrev_b32_e32 v57, 6, v4
	v_lshrrev_b32_e32 v4, 31, v2
	v_cndmask_b32_e64 v80, 0, 1, vcc
	v_mul_lo_u32 v98, v2, s4
	v_add_lshl_u32 v4, v2, v4, 1
	v_lshlrev_b32_e32 v63, 6, v2
	v_cmp_lt_u32_e32 vcc, 3, v1
	v_and_b32_e32 v2, 3, v25
	v_lshlrev_b32_e32 v82, 2, v1
	v_cndmask_b32_e64 v100, 0, 1, vcc
	v_add_u16_e32 v1, -2, v2
	v_cmp_gt_u32_e32 vcc, 2, v2
	v_and_b32_e32 v5, -4, v5
	v_add3_u32 v53, v5, v10, s17
	v_cndmask_b32_e32 v1, v1, v2, vcc
	v_cmp_lt_u32_e32 vcc, 1, v2
	v_and_b32_e32 v4, -4, v4
	v_lshrrev_b32_e32 v71, 3, v25
	v_cndmask_b32_e64 v5, 0, 1, vcc
	v_add3_u32 v61, v4, v10, s17
	v_lshl_add_u32 v4, v29, 2, v71
	v_lshlrev_b32_e32 v75, 2, v5
	v_mov_b32_e32 v5, 2
	v_lshlrev_b32_sdwa v102, v5, v1 dst_sel:DWORD dst_unused:UNUSED_PAD src0_sel:DWORD src1_sel:BYTE_0
	v_min_i32_e32 v1, s16, v4
	v_ashrrev_i32_e32 v5, 31, v1
	v_lshrrev_b32_e32 v5, 30, v5
	v_mul_lo_u32 v104, v1, s4
	v_add_u32_e32 v5, v1, v5
	v_lshlrev_b32_e32 v67, 5, v1
	v_add_u32_e32 v1, 32, v4
	v_and_b32_e32 v5, -4, v5
	s_mov_b32 s17, 0x8300
	v_min_i32_e32 v1, s16, v1
	v_add3_u32 v65, v5, v82, s17
	v_ashrrev_i32_e32 v5, 31, v1
	v_lshrrev_b32_e32 v5, 30, v5
	v_mul_lo_u32 v106, v1, s4
	v_add_u32_e32 v5, v1, v5
	v_lshlrev_b32_e32 v73, 5, v1
	v_add_u32_e32 v1, 64, v4
	v_and_b32_e32 v5, -4, v5
	v_min_i32_e32 v1, s16, v1
	v_add3_u32 v69, v5, v82, s17
	v_ashrrev_i32_e32 v5, 31, v1
	v_lshrrev_b32_e32 v5, 30, v5
	v_mul_lo_u32 v108, v1, s4
	v_add_u32_e32 v5, v1, v5
	v_lshlrev_b32_e32 v81, 5, v1
	v_add_u32_e32 v1, 0x60, v4
	v_min_i32_e32 v1, s16, v1
	v_ashrrev_i32_e32 v4, 31, v1
	v_mov_b32_e32 v11, 0
	v_lshrrev_b32_e32 v4, 30, v4
	v_mul_lo_u32 v110, v1, s4
	v_add_u32_e32 v4, v1, v4
	v_lshlrev_b32_e32 v89, 5, v1
	v_and_b32_e32 v0, 28, v0
	v_mov_b32_e32 v1, v11
	v_lshl_add_u64 v[112:113], s[2:3], 0, v[0:1]
	v_lshrrev_b32_e32 v0, 2, v25
	v_lshl_add_u32 v0, v29, 3, v0
	v_and_b32_e32 v0, 63, v0
	s_add_i32 s16, s10, -1
	v_or_b32_e32 v1, s15, v0
	v_and_b32_e32 v5, -4, v5
	v_and_b32_e32 v4, -4, v4
	v_min_i32_e32 v1, s16, v1
	v_add3_u32 v79, v5, v82, s17
	v_add3_u32 v85, v4, v82, s17
	v_cvt_f64_i32_e32 v[4:5], s16
	v_mad_u64_u32 v[114:115], s[16:17], v1, s11, v[2:3]
	v_lshlrev_b32_e32 v1, 2, v2
	v_add_u32_e32 v59, s15, v29
	v_lshl_or_b32 v0, v0, 4, v1
	v_add_u32_e32 v87, 0x97a0, v0
	v_cvt_f64_u32_e32 v[0:1], v59
	v_and_b32_e32 v93, 31, v25
	v_min_f64 v[0:1], v[0:1], v[4:5]
	v_lshlrev_b32_e32 v77, 1, v2
	v_cvt_i32_f64_e32 v0, v[0:1]
	v_lshlrev_b32_e32 v2, 2, v93
	v_lshlrev_b32_e32 v93, 7, v29
	v_mul_lo_u32 v91, s11, v0
	v_or_b32_e32 v0, v93, v2
	v_add_u32_e32 v95, 0x6300, v0
	v_add_u32_e32 v0, 8, v59
	v_cvt_f64_u32_e32 v[0:1], v0
	v_min_f64 v[0:1], v[0:1], v[4:5]
	v_cvt_i32_f64_e32 v0, v[0:1]
	v_mul_lo_u32 v97, s11, v0
	v_lshl_or_b32 v0, v3, 7, v2
	v_add_u32_e32 v99, 0x6300, v0
	v_add_u32_e32 v0, 16, v59
	v_cvt_f64_u32_e32 v[0:1], v0
	v_min_f64 v[0:1], v[0:1], v[4:5]
	v_cvt_i32_f64_e32 v0, v[0:1]
	v_mul_lo_u32 v101, s11, v0
	v_lshl_or_b32 v0, v6, 7, v2
	;; [unrolled: 7-line block ×7, first 2 shown]
	v_add_u32_e32 v126, 0x6300, v0
	v_add_u32_e32 v0, 32, v25
	v_lshrrev_b32_e32 v1, 1, v0
	v_lshl_add_u32 v131, v0, 4, v1
	v_mov_b32_e32 v1, 0x1080
	v_lshlrev_b32_e32 v6, 2, v8
	v_lshlrev_b32_e32 v7, 3, v25
	v_mad_u32_u24 v132, v25, s0, v1
	v_lshrrev_b32_e32 v1, 2, v0
	v_add3_u32 v130, v6, v7, s1
	v_and_b32_e32 v1, 0x7c, v1
	v_lshlrev_b32_e32 v6, 3, v0
	v_add_u32_e32 v2, 64, v25
	v_add3_u32 v133, v6, v1, s1
	v_mov_b32_e32 v1, 0x2100
	v_lshrrev_b32_e32 v3, 1, v2
	v_mad_u32_u24 v135, v25, s0, v1
	v_lshrrev_b32_e32 v1, 2, v2
	v_lshl_add_u32 v134, v2, 4, v3
	v_and_b32_e32 v1, 0x7c, v1
	v_lshlrev_b32_e32 v3, 3, v2
	v_add_u32_e32 v4, 0x60, v25
	v_add3_u32 v136, v3, v1, s1
	v_mov_b32_e32 v1, 0x3180
	v_mad_u32_u24 v138, v25, s0, v1
	v_lshrrev_b32_e32 v1, 2, v4
	v_lshrrev_b32_e32 v5, 1, v4
	v_and_b32_e32 v1, 0x7c, v1
	v_lshlrev_b32_e32 v3, 3, v4
	v_and_b32_e32 v143, 0xfc, v25
	v_and_b32_e32 v145, 0x1fc, v0
	;; [unrolled: 1-line block ×4, first 2 shown]
	s_movk_i32 s5, 0x6e
	s_mov_b32 s9, 0
	v_mov_b32_e32 v83, v11
	v_mov_b32_e32 v103, v11
	v_lshlrev_b32_e32 v127, 5, v25
	v_lshl_add_u32 v128, v25, 4, v19
	v_mul_u32_u24_e32 v129, 0x84, v25
	v_lshl_add_u32 v137, v4, 4, v5
	v_add3_u32 v139, v3, v1, s1
	v_lshrrev_b32_e32 v140, 3, v0
	v_lshrrev_b32_e32 v141, 3, v2
	;; [unrolled: 1-line block ×3, first 2 shown]
	v_or_b32_e32 v144, 0x6300, v143
	v_add_u32_e32 v146, 0x6300, v145
	v_add_u32_e32 v148, 0x6300, v147
	;; [unrolled: 1-line block ×14, first 2 shown]
	s_mov_b64 s[0:1], 0x60
	s_mov_b32 s11, 0x30303030
	s_movk_i32 s16, 0x3f00
	s_movk_i32 s17, 0xe000
	v_add_u32_e32 v162, v65, v67
	v_add_u32_e32 v163, v69, v73
	;; [unrolled: 1-line block ×4, first 2 shown]
	v_mov_b32_e32 v166, 8
	v_mov_b32_e32 v105, v11
	;; [unrolled: 1-line block ×33, first 2 shown]
	s_branch .LBB130_6
.LBB130_5:                              ;   in Loop: Header=BB130_6 Depth=1
	s_add_i32 s9, s9, 2
	s_cmp_ge_i32 s9, s4
	s_cbranch_scc1 .LBB130_16
.LBB130_6:                              ; =>This Loop Header: Depth=1
                                        ;     Child Loop BB130_7 Depth 2
                                        ;     Child Loop BB130_9 Depth 2
	;; [unrolled: 1-line block ×4, first 2 shown]
	s_mul_i32 s18, s9, 0x6e
	s_mul_hi_u32 s19, s9, 0x6e
	s_add_u32 s18, s7, s18
	s_addc_u32 s19, s8, s19
	v_mov_b64_e32 v[0:1], s[18:19]
	v_mad_u64_u32 v[2:3], s[18:19], v8, s5, v[0:1]
	v_lshl_add_u64 v[2:3], v[2:3], 0, v[10:11]
	v_lshl_add_u64 v[2:3], v[2:3], 0, 32
	v_mad_i64_i32 v[4:5], s[18:19], v12, s5, v[2:3]
	v_mad_i64_i32 v[6:7], s[18:19], v16, s5, v[2:3]
	;; [unrolled: 1-line block ×8, first 2 shown]
	global_load_dword v167, v[4:5], off
	global_load_dword v176, v[6:7], off
	;; [unrolled: 1-line block ×7, first 2 shown]
	s_nop 0
	global_load_dword v174, v[174:175], off
	v_mad_i64_i32 v[4:5], s[18:19], v44, s5, v[2:3]
	v_mad_i64_i32 v[6:7], s[18:19], v48, s5, v[2:3]
	;; [unrolled: 1-line block ×8, first 2 shown]
	global_load_dword v175, v[4:5], off
	global_load_dword v182, v[6:7], off
	;; [unrolled: 1-line block ×4, first 2 shown]
	s_nop 0
	global_load_dword v168, v[168:169], off
	s_nop 0
	global_load_dword v169, v[170:171], off
	;; [unrolled: 2-line block ×3, first 2 shown]
	global_load_dword v171, v[2:3], off
	v_mad_i64_i32 v[2:3], s[18:19], v78, s5, v[0:1]
	v_mad_u64_u32 v[2:3], s[18:19], v76, s5, v[2:3]
	global_load_ushort v172, v[2:3], off offset:108
	v_mad_u64_u32 v[4:5], s[18:19], v80, s5, v[0:1]
	v_lshl_add_u64 v[4:5], v[4:5], 0, v[82:83]
	v_mad_i64_i32 v[6:7], s[18:19], v84, s5, v[4:5]
	v_mad_i64_i32 v[116:117], s[18:19], v86, s5, v[4:5]
	global_load_dword v173, v[6:7], off
	global_load_dword v185, v[116:117], off
	v_mad_i64_i32 v[2:3], s[18:19], v88, s5, v[4:5]
	v_mad_i64_i32 v[118:119], s[18:19], v90, s5, v[4:5]
	global_load_dword v186, v[2:3], off
	s_nop 0
	global_load_dword v118, v[118:119], off
	v_mad_i64_i32 v[6:7], s[18:19], v92, s5, v[4:5]
	v_mad_i64_i32 v[2:3], s[18:19], v94, s5, v[4:5]
	global_load_dword v119, v[6:7], off
	global_load_dword v187, v[2:3], off
	v_mad_i64_i32 v[2:3], s[18:19], v96, s5, v[4:5]
	v_mad_u64_u32 v[0:1], s[18:19], v100, s5, v[0:1]
	global_load_dword v188, v[2:3], off
	v_mad_i64_i32 v[2:3], s[18:19], v98, s5, v[4:5]
	v_lshl_add_u64 v[0:1], v[0:1], 0, s[0:1]
	global_load_dword v189, v[2:3], off
	v_mad_i64_i32 v[2:3], s[18:19], v104, s5, v[0:1]
	v_mad_i64_i32 v[6:7], s[18:19], v106, s5, v[0:1]
	v_mad_i64_i32 v[116:117], s[18:19], v108, s5, v[0:1]
	v_mad_i64_i32 v[0:1], s[18:19], v110, s5, v[0:1]
	v_lshl_add_u64 v[4:5], v[2:3], 0, v[102:103]
	global_load_dword v190, v[0:1], off offset:8
	global_load_dword v191, v[116:117], off offset:8
	;; [unrolled: 1-line block ×3, first 2 shown]
	global_load_dword v193, v[4:5], off
	global_load_dword v194, v[2:3], off offset:8
	v_lshl_add_u64 v[2:3], v[6:7], 0, v[102:103]
	global_load_dword v195, v[2:3], off
	v_lshl_add_u64 v[2:3], v[116:117], 0, v[102:103]
	global_load_dword v196, v[2:3], off
	s_waitcnt vmcnt(31)
	ds_write_b32 v14, v167
	s_waitcnt vmcnt(30)
	ds_write_b32 v18, v176
	;; [unrolled: 2-line block ×13, first 2 shown]
	v_lshl_add_u64 v[0:1], v[0:1], 0, v[102:103]
	s_lshl_b32 s18, s9, 3
	v_add_u32_e32 v167, s18, v114
	s_mov_b32 s19, 0
	s_mov_b32 s22, -2
	s_waitcnt vmcnt(15)
	v_cvt_f32_f16_e32 v2, v172
	ds_write_b32 v66, v169
	ds_write_b32 v70, v170
	;; [unrolled: 1-line block ×4, first 2 shown]
	global_load_dword v175, v[0:1], off
	v_add_u32_e32 v170, s18, v71
	v_add_u32_e32 v0, v170, v91
	;; [unrolled: 1-line block ×4, first 2 shown]
	s_waitcnt vmcnt(15)
	v_not_b32_e32 v2, v173
	ds_write_b32 v154, v2
	s_waitcnt vmcnt(14)
	v_not_b32_e32 v2, v185
	ds_write_b32 v155, v2
	v_add_u32_e32 v116, v170, v115
	s_waitcnt vmcnt(13)
	v_not_b32_e32 v2, v186
	ds_write_b32 v156, v2
	s_waitcnt vmcnt(12)
	v_not_b32_e32 v2, v118
	ds_write_b32 v157, v2
	v_mad_i64_i32 v[0:1], s[20:21], v0, 36, v[112:113]
	s_waitcnt vmcnt(11)
	v_not_b32_e32 v2, v119
	ds_write_b32 v158, v2
	s_waitcnt vmcnt(10)
	v_not_b32_e32 v2, v187
	ds_write_b32 v159, v2
	v_add_u32_e32 v2, v170, v97
	v_mad_i64_i32 v[2:3], s[20:21], v2, 36, v[112:113]
	v_mad_i64_i32 v[4:5], s[20:21], v4, 36, v[112:113]
	;; [unrolled: 1-line block ×4, first 2 shown]
	v_add_u32_e32 v118, v170, v121
	v_add_u32_e32 v168, v170, v123
	;; [unrolled: 1-line block ×3, first 2 shown]
	v_mad_i64_i32 v[118:119], s[20:21], v118, 36, v[112:113]
	v_mad_i64_i32 v[168:169], s[20:21], v168, 36, v[112:113]
	;; [unrolled: 1-line block ×3, first 2 shown]
	v_mad_u64_u32 v[172:173], s[20:21], v167, 36, s[2:3]
	global_load_dword v0, v[0:1], off offset:4
	s_nop 0
	global_load_dword v1, v[2:3], off offset:4
	s_nop 0
	global_load_dword v2, v[4:5], off offset:4
	global_load_dword v3, v[6:7], off offset:4
	s_nop 0
	global_load_dword v4, v[116:117], off offset:4
	global_load_dword v5, v[172:173], off
	global_load_dword v6, v[118:119], off offset:4
	global_load_dword v7, v[168:169], off offset:4
	s_nop 0
	global_load_dword v116, v[170:171], off offset:4
	s_waitcnt vmcnt(18)
	v_not_b32_e32 v174, v188
	s_waitcnt vmcnt(17)
	v_not_b32_e32 v117, v189
	ds_write_b32 v160, v174
	ds_write_b32 v161, v117
	s_waitcnt vmcnt(13)
	v_ashrrev_i32_e32 v117, v75, v193
	s_waitcnt vmcnt(12)
	v_ashrrev_i32_e32 v118, v77, v194
	v_and_b32_e32 v117, 0xf0f0f0f, v117
	v_lshlrev_b32_e32 v118, 4, v118
	v_and_or_b32 v117, v118, s11, v117
	v_lshlrev_b16_e32 v119, 8, v117
	v_and_b32_e32 v118, 0x3f00, v117
	v_add_u16_e32 v119, 0xe000, v119
	v_or_b32_sdwa v118, v118, v119 dst_sel:DWORD dst_unused:UNUSED_PAD src0_sel:DWORD src1_sel:BYTE_1
	v_and_b32_sdwa v119, v117, s16 dst_sel:DWORD dst_unused:UNUSED_PAD src0_sel:WORD_1 src1_sel:DWORD
	v_lshlrev_b16_sdwa v117, v166, v117 dst_sel:DWORD dst_unused:UNUSED_PAD src0_sel:DWORD src1_sel:WORD_1
	v_add_u16_e32 v117, 0xe000, v117
	v_or_b32_sdwa v117, v119, v117 dst_sel:DWORD dst_unused:UNUSED_PAD src0_sel:DWORD src1_sel:BYTE_1
	v_add_u16_e32 v118, 0xe000, v118
	v_add_u16_sdwa v117, v117, s17 dst_sel:WORD_1 dst_unused:UNUSED_PAD src0_sel:DWORD src1_sel:DWORD
	v_mov_b32_e32 v168, v93
	v_or_b32_e32 v117, v118, v117
	ds_write_b32 v162, v117
	s_waitcnt vmcnt(11)
	v_ashrrev_i32_e32 v117, v75, v195
	v_ashrrev_i32_e32 v118, v77, v192
	v_and_b32_e32 v117, 0xf0f0f0f, v117
	v_lshlrev_b32_e32 v118, 4, v118
	v_and_or_b32 v117, v118, s11, v117
	v_lshlrev_b16_e32 v119, 8, v117
	v_and_b32_e32 v118, 0x3f00, v117
	v_add_u16_e32 v119, 0xe000, v119
	v_or_b32_sdwa v118, v118, v119 dst_sel:DWORD dst_unused:UNUSED_PAD src0_sel:DWORD src1_sel:BYTE_1
	v_and_b32_sdwa v119, v117, s16 dst_sel:DWORD dst_unused:UNUSED_PAD src0_sel:WORD_1 src1_sel:DWORD
	v_lshlrev_b16_sdwa v117, v166, v117 dst_sel:DWORD dst_unused:UNUSED_PAD src0_sel:DWORD src1_sel:WORD_1
	v_add_u16_e32 v117, 0xe000, v117
	v_or_b32_sdwa v117, v119, v117 dst_sel:DWORD dst_unused:UNUSED_PAD src0_sel:DWORD src1_sel:BYTE_1
	v_add_u16_e32 v118, 0xe000, v118
	v_add_u16_sdwa v117, v117, s17 dst_sel:WORD_1 dst_unused:UNUSED_PAD src0_sel:DWORD src1_sel:DWORD
	v_mov_b32_e32 v169, v55
	v_or_b32_e32 v117, v118, v117
	ds_write_b32 v163, v117
	s_waitcnt vmcnt(10)
	v_ashrrev_i32_e32 v117, v75, v196
	v_ashrrev_i32_e32 v118, v77, v191
	v_and_b32_e32 v117, 0xf0f0f0f, v117
	v_lshlrev_b32_e32 v118, 4, v118
	v_and_or_b32 v117, v118, s11, v117
	v_lshlrev_b16_e32 v119, 8, v117
	v_and_b32_e32 v118, 0x3f00, v117
	v_add_u16_e32 v119, 0xe000, v119
	v_or_b32_sdwa v118, v118, v119 dst_sel:DWORD dst_unused:UNUSED_PAD src0_sel:DWORD src1_sel:BYTE_1
	v_and_b32_sdwa v119, v117, s16 dst_sel:DWORD dst_unused:UNUSED_PAD src0_sel:WORD_1 src1_sel:DWORD
	v_lshlrev_b16_sdwa v117, v166, v117 dst_sel:DWORD dst_unused:UNUSED_PAD src0_sel:DWORD src1_sel:WORD_1
	v_add_u16_e32 v117, 0xe000, v117
	v_or_b32_sdwa v117, v119, v117 dst_sel:DWORD dst_unused:UNUSED_PAD src0_sel:DWORD src1_sel:BYTE_1
	v_add_u16_e32 v118, 0xe000, v118
	v_add_u16_sdwa v117, v117, s17 dst_sel:WORD_1 dst_unused:UNUSED_PAD src0_sel:DWORD src1_sel:DWORD
	s_mov_b32 s20, 0
	v_or_b32_e32 v117, v118, v117
	ds_write_b32 v164, v117
	s_waitcnt vmcnt(9)
	v_ashrrev_i32_e32 v117, v75, v175
	v_ashrrev_i32_e32 v118, v77, v190
	v_and_b32_e32 v117, 0xf0f0f0f, v117
	v_lshlrev_b32_e32 v118, 4, v118
	v_and_or_b32 v117, v118, s11, v117
	v_lshlrev_b16_e32 v119, 8, v117
	v_and_b32_e32 v118, 0x3f00, v117
	v_add_u16_e32 v119, 0xe000, v119
	v_or_b32_sdwa v118, v118, v119 dst_sel:DWORD dst_unused:UNUSED_PAD src0_sel:DWORD src1_sel:BYTE_1
	v_and_b32_sdwa v119, v117, s16 dst_sel:DWORD dst_unused:UNUSED_PAD src0_sel:WORD_1 src1_sel:DWORD
	v_lshlrev_b16_sdwa v117, v166, v117 dst_sel:DWORD dst_unused:UNUSED_PAD src0_sel:DWORD src1_sel:WORD_1
	v_add_u16_e32 v117, 0xe000, v117
	v_or_b32_sdwa v117, v119, v117 dst_sel:DWORD dst_unused:UNUSED_PAD src0_sel:DWORD src1_sel:BYTE_1
	v_add_u16_e32 v118, 0xe000, v118
	v_add_u16_sdwa v117, v117, s17 dst_sel:WORD_1 dst_unused:UNUSED_PAD src0_sel:DWORD src1_sel:DWORD
	s_nop 0
	v_or_b32_e32 v117, v118, v117
	ds_write_b32 v165, v117
	s_waitcnt vmcnt(8)
	ds_write_b32 v95, v0
	s_waitcnt vmcnt(7)
	;; [unrolled: 2-line block ×6, first 2 shown]
	v_cvt_f32_f16_e32 v0, v5
	s_waitcnt vmcnt(2)
	ds_write_b32 v122, v6
	s_waitcnt vmcnt(1)
	ds_write_b32 v124, v7
	;; [unrolled: 2-line block ×3, first 2 shown]
	ds_write_b32 v87, v0
	s_waitcnt lgkmcnt(0)
	s_barrier
.LBB130_7:                              ;   Parent Loop BB130_6 Depth=1
                                        ; =>  This Inner Loop Header: Depth=2
	s_add_i32 s21, s22, 2
	s_and_b32 s23, s20, -16
	s_lshr_b32 s25, s21, 4
	v_add_u32_e32 v118, s23, v127
	s_and_b32 s24, s21, 0x3ffffff8
	s_lshl_b32 s23, s25, 3
	s_lshl_b32 s24, s24, 2
	v_add_lshl_u32 v180, v128, s23, 2
	v_add_u32_e32 v0, 0x9600, v169
	v_add_u32_e32 v119, s24, v129
	;; [unrolled: 1-line block ×3, first 2 shown]
	ds_read2_b32 v[116:117], v0 offset0:104 offset1:136
	ds_read_b128 v[4:7], v168 offset:25344
	ds_read_b128 v[0:3], v168 offset:25360
	ds_read2_b32 v[170:171], v119 offset1:1
	ds_read2_b32 v[172:173], v172 offset1:1
	s_lshl_b32 s25, s25, 2
	v_add_lshl_u32 v190, v131, s23, 2
	v_add_u32_e32 v184, 0x4200, v190
	s_waitcnt lgkmcnt(1)
	v_ashrrev_i32_e32 v170, s21, v170
	s_waitcnt lgkmcnt(0)
	v_ashrrev_i32_e32 v172, s19, v172
	v_lshlrev_b32_e32 v172, 2, v172
	v_and_b32_e32 v174, 0x3030303, v170
	v_bfe_u32 v170, v170, 24, 2
	v_and_b32_e32 v172, 0x4040404, v172
	v_ashrrev_i32_e32 v173, s19, v173
	v_sub_u16_e32 v175, v174, v172
	v_sub_u16_sdwa v176, v174, v172 dst_sel:BYTE_1 dst_unused:UNUSED_PAD src0_sel:BYTE_1 src1_sel:BYTE_1
	v_sub_u16_sdwa v170, v170, v172 dst_sel:BYTE_1 dst_unused:UNUSED_PAD src0_sel:DWORD src1_sel:BYTE_3
	v_sub_u16_sdwa v172, v174, v172 dst_sel:DWORD dst_unused:UNUSED_PAD src0_sel:WORD_1 src1_sel:WORD_1
	v_ashrrev_i32_e32 v171, s21, v171
	v_lshlrev_b32_e32 v173, 2, v173
	v_or_b32_sdwa v175, v175, v176 dst_sel:DWORD dst_unused:UNUSED_PAD src0_sel:BYTE_0 src1_sel:DWORD
	v_or_b32_sdwa v170, v172, v170 dst_sel:WORD_1 dst_unused:UNUSED_PAD src0_sel:BYTE_0 src1_sel:DWORD
	v_and_b32_e32 v172, 0x3030303, v171
	v_bfe_u32 v171, v171, 24, 2
	v_and_b32_e32 v173, 0x4040404, v173
	v_or_b32_sdwa v170, v175, v170 dst_sel:DWORD dst_unused:UNUSED_PAD src0_sel:WORD_0 src1_sel:DWORD
	v_sub_u16_e32 v174, v172, v173
	v_sub_u16_sdwa v175, v172, v173 dst_sel:BYTE_1 dst_unused:UNUSED_PAD src0_sel:BYTE_1 src1_sel:BYTE_1
	v_sub_u16_sdwa v171, v171, v173 dst_sel:BYTE_1 dst_unused:UNUSED_PAD src0_sel:DWORD src1_sel:BYTE_3
	v_sub_u16_sdwa v172, v172, v173 dst_sel:DWORD dst_unused:UNUSED_PAD src0_sel:WORD_1 src1_sel:WORD_1
	v_or_b32_sdwa v174, v174, v175 dst_sel:DWORD dst_unused:UNUSED_PAD src0_sel:BYTE_0 src1_sel:DWORD
	v_or_b32_sdwa v171, v172, v171 dst_sel:WORD_1 dst_unused:UNUSED_PAD src0_sel:BYTE_0 src1_sel:DWORD
	ds_read2_b32 v[172:173], v119 offset0:2 offset1:3
	v_or_b32_sdwa v171, v174, v171 dst_sel:DWORD dst_unused:UNUSED_PAD src0_sel:WORD_0 src1_sel:DWORD
	v_add_u32_e32 v174, 0x4208, v180
	ds_read2_b32 v[174:175], v174 offset1:1
	v_add_lshl_u32 v212, v137, s23, 2
	s_waitcnt lgkmcnt(1)
	v_ashrrev_i32_e32 v172, s21, v172
	v_and_b32_e32 v176, 0x3030303, v172
	v_bfe_u32 v172, v172, 24, 2
	s_waitcnt lgkmcnt(0)
	v_ashrrev_i32_e32 v174, s19, v174
	v_lshlrev_b32_e32 v174, 2, v174
	v_and_b32_e32 v174, 0x4040404, v174
	v_ashrrev_i32_e32 v175, s19, v175
	v_sub_u16_e32 v177, v176, v174
	v_sub_u16_sdwa v178, v176, v174 dst_sel:BYTE_1 dst_unused:UNUSED_PAD src0_sel:BYTE_1 src1_sel:BYTE_1
	v_sub_u16_sdwa v172, v172, v174 dst_sel:BYTE_1 dst_unused:UNUSED_PAD src0_sel:DWORD src1_sel:BYTE_3
	v_sub_u16_sdwa v174, v176, v174 dst_sel:DWORD dst_unused:UNUSED_PAD src0_sel:WORD_1 src1_sel:WORD_1
	v_ashrrev_i32_e32 v173, s21, v173
	v_lshlrev_b32_e32 v175, 2, v175
	v_or_b32_sdwa v177, v177, v178 dst_sel:DWORD dst_unused:UNUSED_PAD src0_sel:BYTE_0 src1_sel:DWORD
	v_or_b32_sdwa v172, v174, v172 dst_sel:WORD_1 dst_unused:UNUSED_PAD src0_sel:BYTE_0 src1_sel:DWORD
	v_and_b32_e32 v174, 0x3030303, v173
	v_bfe_u32 v173, v173, 24, 2
	v_and_b32_e32 v175, 0x4040404, v175
	v_or_b32_sdwa v172, v177, v172 dst_sel:DWORD dst_unused:UNUSED_PAD src0_sel:WORD_0 src1_sel:DWORD
	v_sub_u16_e32 v176, v174, v175
	v_sub_u16_sdwa v177, v174, v175 dst_sel:BYTE_1 dst_unused:UNUSED_PAD src0_sel:BYTE_1 src1_sel:BYTE_1
	v_sub_u16_sdwa v173, v173, v175 dst_sel:BYTE_1 dst_unused:UNUSED_PAD src0_sel:DWORD src1_sel:BYTE_3
	v_sub_u16_sdwa v174, v174, v175 dst_sel:DWORD dst_unused:UNUSED_PAD src0_sel:WORD_1 src1_sel:WORD_1
	v_or_b32_sdwa v176, v176, v177 dst_sel:DWORD dst_unused:UNUSED_PAD src0_sel:BYTE_0 src1_sel:DWORD
	v_or_b32_sdwa v173, v174, v173 dst_sel:WORD_1 dst_unused:UNUSED_PAD src0_sel:BYTE_0 src1_sel:DWORD
	v_add_lshl_u32 v202, v134, s23, 2
	v_or_b32_sdwa v173, v176, v173 dst_sel:DWORD dst_unused:UNUSED_PAD src0_sel:WORD_0 src1_sel:DWORD
	ds_read2_b32 v[176:177], v119 offset0:4 offset1:5
	v_add_u32_e32 v206, 0x4200, v212
                                        ; kill: def $vgpr215 killed $sgpr0 killed $exec
	s_add_i32 s20, s20, 2
	ds_read2_b32 v[184:185], v184 offset1:1
	ds_read2_b32 v[206:207], v206 offset1:1
	s_waitcnt lgkmcnt(2)
	v_ashrrev_i32_e32 v174, s21, v176
	v_add_u32_e32 v176, 0x4210, v180
	ds_read2_b32 v[178:179], v176 offset1:1
	v_and_b32_e32 v175, 0x3030303, v174
	v_bfe_u32 v174, v174, 24, 2
	s_waitcnt lgkmcnt(2)
	v_ashrrev_i32_e32 v184, s19, v184
	v_lshlrev_b32_e32 v184, 2, v184
	s_waitcnt lgkmcnt(0)
	v_ashrrev_i32_e32 v176, s19, v178
	v_lshlrev_b32_e32 v176, 2, v176
	v_and_b32_e32 v176, 0x4040404, v176
	v_sub_u16_e32 v178, v175, v176
	v_sub_u16_sdwa v181, v175, v176 dst_sel:BYTE_1 dst_unused:UNUSED_PAD src0_sel:BYTE_1 src1_sel:BYTE_1
	v_sub_u16_sdwa v174, v174, v176 dst_sel:BYTE_1 dst_unused:UNUSED_PAD src0_sel:DWORD src1_sel:BYTE_3
	v_sub_u16_sdwa v175, v175, v176 dst_sel:DWORD dst_unused:UNUSED_PAD src0_sel:WORD_1 src1_sel:WORD_1
	v_or_b32_sdwa v178, v178, v181 dst_sel:DWORD dst_unused:UNUSED_PAD src0_sel:BYTE_0 src1_sel:DWORD
	v_or_b32_sdwa v174, v175, v174 dst_sel:WORD_1 dst_unused:UNUSED_PAD src0_sel:BYTE_0 src1_sel:DWORD
	v_and_b32_e32 v184, 0x4040404, v184
	v_or_b32_sdwa v175, v178, v174 dst_sel:DWORD dst_unused:UNUSED_PAD src0_sel:WORD_0 src1_sel:DWORD
	v_ashrrev_i32_e32 v174, s21, v177
	v_ashrrev_i32_e32 v177, s19, v179
	v_lshlrev_b32_e32 v177, 2, v177
	v_and_b32_e32 v176, 0x3030303, v174
	v_bfe_u32 v174, v174, 24, 2
	v_and_b32_e32 v177, 0x4040404, v177
	v_sub_u16_e32 v178, v176, v177
	v_sub_u16_sdwa v179, v176, v177 dst_sel:BYTE_1 dst_unused:UNUSED_PAD src0_sel:BYTE_1 src1_sel:BYTE_1
	v_sub_u16_sdwa v174, v174, v177 dst_sel:BYTE_1 dst_unused:UNUSED_PAD src0_sel:DWORD src1_sel:BYTE_3
	v_sub_u16_sdwa v176, v176, v177 dst_sel:DWORD dst_unused:UNUSED_PAD src0_sel:WORD_1 src1_sel:WORD_1
	v_or_b32_sdwa v178, v178, v179 dst_sel:DWORD dst_unused:UNUSED_PAD src0_sel:BYTE_0 src1_sel:DWORD
	v_or_b32_sdwa v174, v176, v174 dst_sel:WORD_1 dst_unused:UNUSED_PAD src0_sel:BYTE_0 src1_sel:DWORD
	v_add_u32_e32 v177, 0x4218, v180
	v_or_b32_sdwa v176, v178, v174 dst_sel:DWORD dst_unused:UNUSED_PAD src0_sel:WORD_0 src1_sel:DWORD
	ds_read2_b32 v[178:179], v119 offset0:6 offset1:7
	ds_read2_b32 v[180:181], v177 offset1:1
	v_ashrrev_i32_e32 v206, s19, v206
	v_lshlrev_b32_e32 v206, 2, v206
	v_and_b32_e32 v206, 0x4040404, v206
	s_waitcnt lgkmcnt(1)
	v_ashrrev_i32_e32 v119, s21, v178
	s_waitcnt lgkmcnt(0)
	v_ashrrev_i32_e32 v177, s19, v180
	v_lshlrev_b32_e32 v177, 2, v177
	v_and_b32_e32 v174, 0x3030303, v119
	v_bfe_u32 v119, v119, 24, 2
	v_and_b32_e32 v177, 0x4040404, v177
	v_sub_u16_e32 v178, v174, v177
	v_sub_u16_sdwa v180, v174, v177 dst_sel:BYTE_1 dst_unused:UNUSED_PAD src0_sel:BYTE_1 src1_sel:BYTE_1
	v_sub_u16_sdwa v119, v119, v177 dst_sel:BYTE_1 dst_unused:UNUSED_PAD src0_sel:DWORD src1_sel:BYTE_3
	v_sub_u16_sdwa v174, v174, v177 dst_sel:DWORD dst_unused:UNUSED_PAD src0_sel:WORD_1 src1_sel:WORD_1
	v_or_b32_sdwa v178, v178, v180 dst_sel:DWORD dst_unused:UNUSED_PAD src0_sel:BYTE_0 src1_sel:DWORD
	v_or_b32_sdwa v119, v174, v119 dst_sel:WORD_1 dst_unused:UNUSED_PAD src0_sel:BYTE_0 src1_sel:DWORD
	s_nop 0
	v_or_b32_sdwa v177, v178, v119 dst_sel:DWORD dst_unused:UNUSED_PAD src0_sel:WORD_0 src1_sel:DWORD
	v_ashrrev_i32_e32 v178, s19, v181
	v_ashrrev_i32_e32 v119, s21, v179
	v_lshlrev_b32_e32 v178, 2, v178
	v_and_b32_e32 v174, 0x3030303, v119
	v_bfe_u32 v119, v119, 24, 2
	v_and_b32_e32 v178, 0x4040404, v178
	v_sub_u16_e32 v179, v174, v178
	v_sub_u16_sdwa v180, v174, v178 dst_sel:BYTE_1 dst_unused:UNUSED_PAD src0_sel:BYTE_1 src1_sel:BYTE_1
	v_sub_u16_sdwa v119, v119, v178 dst_sel:BYTE_1 dst_unused:UNUSED_PAD src0_sel:DWORD src1_sel:BYTE_3
	v_sub_u16_sdwa v174, v174, v178 dst_sel:DWORD dst_unused:UNUSED_PAD src0_sel:WORD_1 src1_sel:WORD_1
	v_or_b32_sdwa v179, v179, v180 dst_sel:DWORD dst_unused:UNUSED_PAD src0_sel:BYTE_0 src1_sel:DWORD
	v_or_b32_sdwa v119, v174, v119 dst_sel:WORD_1 dst_unused:UNUSED_PAD src0_sel:BYTE_0 src1_sel:DWORD
	v_add_u32_e32 v174, s25, v130
	v_or_b32_sdwa v178, v179, v119 dst_sel:DWORD dst_unused:UNUSED_PAD src0_sel:WORD_0 src1_sel:DWORD
	v_add3_u32 v119, v144, s22, v118
	ds_read_b32 v174, v174
	ds_read_u16 v119, v119 offset:8194
	v_mov_b32_e32 v180, 0
	v_dot4c_i32_i8_e32 v180, v170, v4
	v_dot4c_i32_i8_e32 v180, v171, v5
	;; [unrolled: 1-line block ×3, first 2 shown]
	s_waitcnt lgkmcnt(0)
	v_lshrrev_b16_e32 v181, 8, v119
	v_bfe_i32 v179, v119, 0, 8
	v_mov_b32_e32 v119, 0
	v_dot4c_i32_i8_e32 v119, v175, v0
	v_dot4c_i32_i8_e32 v119, v176, v1
	;; [unrolled: 1-line block ×5, first 2 shown]
	v_bfe_i32 v181, v181, 0, 8
	v_mul_lo_u32 v180, v180, v179
	s_nop 0
	v_mad_u64_u32 v[182:183], s[26:27], v119, v181, v[180:181]
	v_cvt_f32_i32_e32 v180, v182
	v_mul_f32_e32 v119, v116, v174
	v_fmac_f32_e32 v105, v119, v180
	v_add_u32_e32 v119, s24, v132
	ds_read2_b32 v[182:183], v119 offset1:1
	s_waitcnt lgkmcnt(0)
	v_ashrrev_i32_e32 v180, s21, v182
	v_and_b32_e32 v182, 0x3030303, v180
	v_bfe_u32 v180, v180, 24, 2
	v_sub_u16_e32 v186, v182, v184
	v_sub_u16_sdwa v187, v182, v184 dst_sel:BYTE_1 dst_unused:UNUSED_PAD src0_sel:BYTE_1 src1_sel:BYTE_1
	v_sub_u16_sdwa v180, v180, v184 dst_sel:BYTE_1 dst_unused:UNUSED_PAD src0_sel:DWORD src1_sel:BYTE_3
	v_sub_u16_sdwa v182, v182, v184 dst_sel:DWORD dst_unused:UNUSED_PAD src0_sel:WORD_1 src1_sel:WORD_1
	v_ashrrev_i32_e32 v184, s19, v185
	v_or_b32_sdwa v180, v182, v180 dst_sel:WORD_1 dst_unused:UNUSED_PAD src0_sel:BYTE_0 src1_sel:DWORD
	v_ashrrev_i32_e32 v182, s21, v183
	v_lshlrev_b32_e32 v184, 2, v184
	v_or_b32_sdwa v186, v186, v187 dst_sel:DWORD dst_unused:UNUSED_PAD src0_sel:BYTE_0 src1_sel:DWORD
	v_and_b32_e32 v183, 0x3030303, v182
	v_bfe_u32 v182, v182, 24, 2
	v_and_b32_e32 v184, 0x4040404, v184
	v_or_b32_sdwa v180, v186, v180 dst_sel:DWORD dst_unused:UNUSED_PAD src0_sel:WORD_0 src1_sel:DWORD
	v_sub_u16_e32 v185, v183, v184
	v_sub_u16_sdwa v186, v183, v184 dst_sel:BYTE_1 dst_unused:UNUSED_PAD src0_sel:BYTE_1 src1_sel:BYTE_1
	v_sub_u16_sdwa v182, v182, v184 dst_sel:BYTE_1 dst_unused:UNUSED_PAD src0_sel:DWORD src1_sel:BYTE_3
	v_sub_u16_sdwa v183, v183, v184 dst_sel:DWORD dst_unused:UNUSED_PAD src0_sel:WORD_1 src1_sel:WORD_1
	v_or_b32_sdwa v185, v185, v186 dst_sel:DWORD dst_unused:UNUSED_PAD src0_sel:BYTE_0 src1_sel:DWORD
	v_or_b32_sdwa v182, v183, v182 dst_sel:WORD_1 dst_unused:UNUSED_PAD src0_sel:BYTE_0 src1_sel:DWORD
	v_add_u32_e32 v186, 0x4208, v190
	v_or_b32_sdwa v182, v185, v182 dst_sel:DWORD dst_unused:UNUSED_PAD src0_sel:WORD_0 src1_sel:DWORD
	ds_read2_b32 v[184:185], v119 offset0:2 offset1:3
	ds_read2_b32 v[186:187], v186 offset1:1
	s_waitcnt lgkmcnt(1)
	v_ashrrev_i32_e32 v183, s21, v184
	s_waitcnt lgkmcnt(0)
	v_ashrrev_i32_e32 v186, s19, v186
	v_lshlrev_b32_e32 v186, 2, v186
	v_and_b32_e32 v184, 0x3030303, v183
	v_bfe_u32 v183, v183, 24, 2
	v_and_b32_e32 v186, 0x4040404, v186
	v_sub_u16_e32 v188, v184, v186
	v_sub_u16_sdwa v189, v184, v186 dst_sel:BYTE_1 dst_unused:UNUSED_PAD src0_sel:BYTE_1 src1_sel:BYTE_1
	v_sub_u16_sdwa v183, v183, v186 dst_sel:BYTE_1 dst_unused:UNUSED_PAD src0_sel:DWORD src1_sel:BYTE_3
	v_sub_u16_sdwa v184, v184, v186 dst_sel:DWORD dst_unused:UNUSED_PAD src0_sel:WORD_1 src1_sel:WORD_1
	v_ashrrev_i32_e32 v186, s19, v187
	v_or_b32_sdwa v183, v184, v183 dst_sel:WORD_1 dst_unused:UNUSED_PAD src0_sel:BYTE_0 src1_sel:DWORD
	v_ashrrev_i32_e32 v184, s21, v185
	v_lshlrev_b32_e32 v186, 2, v186
	v_or_b32_sdwa v188, v188, v189 dst_sel:DWORD dst_unused:UNUSED_PAD src0_sel:BYTE_0 src1_sel:DWORD
	v_and_b32_e32 v185, 0x3030303, v184
	v_bfe_u32 v184, v184, 24, 2
	v_and_b32_e32 v186, 0x4040404, v186
	v_or_b32_sdwa v183, v188, v183 dst_sel:DWORD dst_unused:UNUSED_PAD src0_sel:WORD_0 src1_sel:DWORD
	v_sub_u16_e32 v187, v185, v186
	v_sub_u16_sdwa v188, v185, v186 dst_sel:BYTE_1 dst_unused:UNUSED_PAD src0_sel:BYTE_1 src1_sel:BYTE_1
	v_sub_u16_sdwa v184, v184, v186 dst_sel:BYTE_1 dst_unused:UNUSED_PAD src0_sel:DWORD src1_sel:BYTE_3
	v_sub_u16_sdwa v185, v185, v186 dst_sel:DWORD dst_unused:UNUSED_PAD src0_sel:WORD_1 src1_sel:WORD_1
	v_or_b32_sdwa v187, v187, v188 dst_sel:DWORD dst_unused:UNUSED_PAD src0_sel:BYTE_0 src1_sel:DWORD
	v_or_b32_sdwa v184, v185, v184 dst_sel:WORD_1 dst_unused:UNUSED_PAD src0_sel:BYTE_0 src1_sel:DWORD
	v_add_u32_e32 v188, 0x4210, v190
	v_or_b32_sdwa v184, v187, v184 dst_sel:DWORD dst_unused:UNUSED_PAD src0_sel:WORD_0 src1_sel:DWORD
	ds_read2_b32 v[186:187], v119 offset0:4 offset1:5
	ds_read2_b32 v[188:189], v188 offset1:1
	s_waitcnt lgkmcnt(1)
	v_ashrrev_i32_e32 v185, s21, v186
	s_waitcnt lgkmcnt(0)
	v_ashrrev_i32_e32 v188, s19, v188
	v_lshlrev_b32_e32 v188, 2, v188
	v_and_b32_e32 v186, 0x3030303, v185
	v_bfe_u32 v185, v185, 24, 2
	v_and_b32_e32 v188, 0x4040404, v188
	v_sub_u16_e32 v191, v186, v188
	v_sub_u16_sdwa v192, v186, v188 dst_sel:BYTE_1 dst_unused:UNUSED_PAD src0_sel:BYTE_1 src1_sel:BYTE_1
	v_sub_u16_sdwa v185, v185, v188 dst_sel:BYTE_1 dst_unused:UNUSED_PAD src0_sel:DWORD src1_sel:BYTE_3
	v_sub_u16_sdwa v186, v186, v188 dst_sel:DWORD dst_unused:UNUSED_PAD src0_sel:WORD_1 src1_sel:WORD_1
	v_ashrrev_i32_e32 v188, s19, v189
	v_or_b32_sdwa v185, v186, v185 dst_sel:WORD_1 dst_unused:UNUSED_PAD src0_sel:BYTE_0 src1_sel:DWORD
	v_ashrrev_i32_e32 v186, s21, v187
	v_lshlrev_b32_e32 v188, 2, v188
	v_or_b32_sdwa v191, v191, v192 dst_sel:DWORD dst_unused:UNUSED_PAD src0_sel:BYTE_0 src1_sel:DWORD
	v_and_b32_e32 v187, 0x3030303, v186
	v_bfe_u32 v186, v186, 24, 2
	v_and_b32_e32 v188, 0x4040404, v188
	v_or_b32_sdwa v185, v191, v185 dst_sel:DWORD dst_unused:UNUSED_PAD src0_sel:WORD_0 src1_sel:DWORD
	v_sub_u16_e32 v189, v187, v188
	v_sub_u16_sdwa v191, v187, v188 dst_sel:BYTE_1 dst_unused:UNUSED_PAD src0_sel:BYTE_1 src1_sel:BYTE_1
	v_sub_u16_sdwa v186, v186, v188 dst_sel:BYTE_1 dst_unused:UNUSED_PAD src0_sel:DWORD src1_sel:BYTE_3
	v_sub_u16_sdwa v187, v187, v188 dst_sel:DWORD dst_unused:UNUSED_PAD src0_sel:WORD_1 src1_sel:WORD_1
	v_or_b32_sdwa v189, v189, v191 dst_sel:DWORD dst_unused:UNUSED_PAD src0_sel:BYTE_0 src1_sel:DWORD
	v_or_b32_sdwa v186, v187, v186 dst_sel:WORD_1 dst_unused:UNUSED_PAD src0_sel:BYTE_0 src1_sel:DWORD
	s_nop 0
	v_or_b32_sdwa v187, v189, v186 dst_sel:DWORD dst_unused:UNUSED_PAD src0_sel:WORD_0 src1_sel:DWORD
	ds_read2_b32 v[188:189], v119 offset0:6 offset1:7
	s_waitcnt lgkmcnt(0)
	v_ashrrev_i32_e32 v119, s21, v188
	v_add_u32_e32 v188, 0x4218, v190
	ds_read2_b32 v[190:191], v188 offset1:1
	v_and_b32_e32 v186, 0x3030303, v119
	v_bfe_u32 v119, v119, 24, 2
	s_waitcnt lgkmcnt(0)
	v_ashrrev_i32_e32 v188, s19, v190
	v_lshlrev_b32_e32 v188, 2, v188
	v_and_b32_e32 v188, 0x4040404, v188
	v_sub_u16_e32 v190, v186, v188
	v_sub_u16_sdwa v192, v186, v188 dst_sel:BYTE_1 dst_unused:UNUSED_PAD src0_sel:BYTE_1 src1_sel:BYTE_1
	v_sub_u16_sdwa v119, v119, v188 dst_sel:BYTE_1 dst_unused:UNUSED_PAD src0_sel:DWORD src1_sel:BYTE_3
	v_sub_u16_sdwa v186, v186, v188 dst_sel:DWORD dst_unused:UNUSED_PAD src0_sel:WORD_1 src1_sel:WORD_1
	v_or_b32_sdwa v190, v190, v192 dst_sel:DWORD dst_unused:UNUSED_PAD src0_sel:BYTE_0 src1_sel:DWORD
	v_or_b32_sdwa v119, v186, v119 dst_sel:WORD_1 dst_unused:UNUSED_PAD src0_sel:BYTE_0 src1_sel:DWORD
	s_nop 0
	v_or_b32_sdwa v188, v190, v119 dst_sel:DWORD dst_unused:UNUSED_PAD src0_sel:WORD_0 src1_sel:DWORD
	v_ashrrev_i32_e32 v119, s21, v189
	v_ashrrev_i32_e32 v189, s19, v191
	v_lshlrev_b32_e32 v189, 2, v189
	v_and_b32_e32 v186, 0x3030303, v119
	v_bfe_u32 v119, v119, 24, 2
	v_and_b32_e32 v189, 0x4040404, v189
	v_sub_u16_e32 v190, v186, v189
	v_sub_u16_sdwa v191, v186, v189 dst_sel:BYTE_1 dst_unused:UNUSED_PAD src0_sel:BYTE_1 src1_sel:BYTE_1
	v_sub_u16_sdwa v119, v119, v189 dst_sel:BYTE_1 dst_unused:UNUSED_PAD src0_sel:DWORD src1_sel:BYTE_3
	v_sub_u16_sdwa v186, v186, v189 dst_sel:DWORD dst_unused:UNUSED_PAD src0_sel:WORD_1 src1_sel:WORD_1
	v_or_b32_sdwa v190, v190, v191 dst_sel:DWORD dst_unused:UNUSED_PAD src0_sel:BYTE_0 src1_sel:DWORD
	v_or_b32_sdwa v119, v186, v119 dst_sel:WORD_1 dst_unused:UNUSED_PAD src0_sel:BYTE_0 src1_sel:DWORD
	v_add_u32_e32 v186, s25, v133
	v_or_b32_sdwa v189, v190, v119 dst_sel:DWORD dst_unused:UNUSED_PAD src0_sel:WORD_0 src1_sel:DWORD
	v_add3_u32 v119, v146, s22, v118
	ds_read_b32 v186, v186
	ds_read_u16 v119, v119 offset:9218
	v_mov_b32_e32 v191, 0
	v_dot4c_i32_i8_e32 v191, v180, v4
	v_dot4c_i32_i8_e32 v191, v182, v5
	;; [unrolled: 1-line block ×3, first 2 shown]
	s_waitcnt lgkmcnt(0)
	v_lshrrev_b16_e32 v192, 8, v119
	v_bfe_i32 v190, v119, 0, 8
	v_mov_b32_e32 v119, 0
	v_dot4c_i32_i8_e32 v119, v185, v0
	v_dot4c_i32_i8_e32 v119, v187, v1
	;; [unrolled: 1-line block ×5, first 2 shown]
	v_bfe_i32 v192, v192, 0, 8
	v_mul_lo_u32 v194, v191, v190
	s_nop 0
	v_mad_u64_u32 v[194:195], s[26:27], v119, v192, v[194:195]
	v_cvt_f32_i32_e32 v191, v194
	v_mul_f32_e32 v119, v116, v186
	v_fmac_f32_e32 v89, v119, v191
	v_add_u32_e32 v119, s24, v135
	ds_read2_b32 v[194:195], v119 offset1:1
	s_waitcnt lgkmcnt(0)
	v_ashrrev_i32_e32 v191, s21, v194
	v_add_u32_e32 v194, 0x4200, v202
	ds_read2_b32 v[196:197], v194 offset1:1
	v_and_b32_e32 v193, 0x3030303, v191
	v_bfe_u32 v191, v191, 24, 2
	s_waitcnt lgkmcnt(0)
	v_ashrrev_i32_e32 v194, s19, v196
	v_lshlrev_b32_e32 v194, 2, v194
	v_and_b32_e32 v194, 0x4040404, v194
	v_sub_u16_e32 v196, v193, v194
	v_sub_u16_sdwa v198, v193, v194 dst_sel:BYTE_1 dst_unused:UNUSED_PAD src0_sel:BYTE_1 src1_sel:BYTE_1
	v_sub_u16_sdwa v191, v191, v194 dst_sel:BYTE_1 dst_unused:UNUSED_PAD src0_sel:DWORD src1_sel:BYTE_3
	v_sub_u16_sdwa v193, v193, v194 dst_sel:DWORD dst_unused:UNUSED_PAD src0_sel:WORD_1 src1_sel:WORD_1
	v_or_b32_sdwa v191, v193, v191 dst_sel:WORD_1 dst_unused:UNUSED_PAD src0_sel:BYTE_0 src1_sel:DWORD
	v_ashrrev_i32_e32 v193, s21, v195
	v_ashrrev_i32_e32 v195, s19, v197
	v_lshlrev_b32_e32 v195, 2, v195
	v_or_b32_sdwa v196, v196, v198 dst_sel:DWORD dst_unused:UNUSED_PAD src0_sel:BYTE_0 src1_sel:DWORD
	v_and_b32_e32 v194, 0x3030303, v193
	v_bfe_u32 v193, v193, 24, 2
	v_and_b32_e32 v195, 0x4040404, v195
	v_or_b32_sdwa v191, v196, v191 dst_sel:DWORD dst_unused:UNUSED_PAD src0_sel:WORD_0 src1_sel:DWORD
	v_sub_u16_e32 v196, v194, v195
	v_sub_u16_sdwa v197, v194, v195 dst_sel:BYTE_1 dst_unused:UNUSED_PAD src0_sel:BYTE_1 src1_sel:BYTE_1
	v_sub_u16_sdwa v193, v193, v195 dst_sel:BYTE_1 dst_unused:UNUSED_PAD src0_sel:DWORD src1_sel:BYTE_3
	v_sub_u16_sdwa v194, v194, v195 dst_sel:DWORD dst_unused:UNUSED_PAD src0_sel:WORD_1 src1_sel:WORD_1
	v_or_b32_sdwa v196, v196, v197 dst_sel:DWORD dst_unused:UNUSED_PAD src0_sel:BYTE_0 src1_sel:DWORD
	v_or_b32_sdwa v193, v194, v193 dst_sel:WORD_1 dst_unused:UNUSED_PAD src0_sel:BYTE_0 src1_sel:DWORD
	ds_read2_b32 v[194:195], v119 offset0:2 offset1:3
	v_or_b32_sdwa v193, v196, v193 dst_sel:DWORD dst_unused:UNUSED_PAD src0_sel:WORD_0 src1_sel:DWORD
	v_add_u32_e32 v196, 0x4208, v202
	ds_read2_b32 v[196:197], v196 offset1:1
	s_waitcnt lgkmcnt(1)
	v_ashrrev_i32_e32 v194, s21, v194
	v_and_b32_e32 v198, 0x3030303, v194
	v_bfe_u32 v194, v194, 24, 2
	s_waitcnt lgkmcnt(0)
	v_ashrrev_i32_e32 v196, s19, v196
	v_lshlrev_b32_e32 v196, 2, v196
	v_and_b32_e32 v196, 0x4040404, v196
	v_ashrrev_i32_e32 v197, s19, v197
	v_sub_u16_e32 v199, v198, v196
	v_sub_u16_sdwa v200, v198, v196 dst_sel:BYTE_1 dst_unused:UNUSED_PAD src0_sel:BYTE_1 src1_sel:BYTE_1
	v_sub_u16_sdwa v194, v194, v196 dst_sel:BYTE_1 dst_unused:UNUSED_PAD src0_sel:DWORD src1_sel:BYTE_3
	v_sub_u16_sdwa v196, v198, v196 dst_sel:DWORD dst_unused:UNUSED_PAD src0_sel:WORD_1 src1_sel:WORD_1
	v_ashrrev_i32_e32 v195, s21, v195
	v_lshlrev_b32_e32 v197, 2, v197
	v_or_b32_sdwa v199, v199, v200 dst_sel:DWORD dst_unused:UNUSED_PAD src0_sel:BYTE_0 src1_sel:DWORD
	v_or_b32_sdwa v194, v196, v194 dst_sel:WORD_1 dst_unused:UNUSED_PAD src0_sel:BYTE_0 src1_sel:DWORD
	v_and_b32_e32 v196, 0x3030303, v195
	v_bfe_u32 v195, v195, 24, 2
	v_and_b32_e32 v197, 0x4040404, v197
	v_or_b32_sdwa v194, v199, v194 dst_sel:DWORD dst_unused:UNUSED_PAD src0_sel:WORD_0 src1_sel:DWORD
	v_sub_u16_e32 v198, v196, v197
	v_sub_u16_sdwa v199, v196, v197 dst_sel:BYTE_1 dst_unused:UNUSED_PAD src0_sel:BYTE_1 src1_sel:BYTE_1
	v_sub_u16_sdwa v195, v195, v197 dst_sel:BYTE_1 dst_unused:UNUSED_PAD src0_sel:DWORD src1_sel:BYTE_3
	v_sub_u16_sdwa v196, v196, v197 dst_sel:DWORD dst_unused:UNUSED_PAD src0_sel:WORD_1 src1_sel:WORD_1
	v_or_b32_sdwa v198, v198, v199 dst_sel:DWORD dst_unused:UNUSED_PAD src0_sel:BYTE_0 src1_sel:DWORD
	v_or_b32_sdwa v195, v196, v195 dst_sel:WORD_1 dst_unused:UNUSED_PAD src0_sel:BYTE_0 src1_sel:DWORD
	ds_read2_b32 v[196:197], v119 offset0:4 offset1:5
	v_or_b32_sdwa v195, v198, v195 dst_sel:DWORD dst_unused:UNUSED_PAD src0_sel:WORD_0 src1_sel:DWORD
	v_add_u32_e32 v198, 0x4210, v202
	ds_read2_b32 v[198:199], v198 offset1:1
	s_waitcnt lgkmcnt(1)
	v_ashrrev_i32_e32 v196, s21, v196
	v_and_b32_e32 v200, 0x3030303, v196
	v_bfe_u32 v196, v196, 24, 2
	s_waitcnt lgkmcnt(0)
	v_ashrrev_i32_e32 v198, s19, v198
	v_lshlrev_b32_e32 v198, 2, v198
	v_and_b32_e32 v198, 0x4040404, v198
	v_ashrrev_i32_e32 v199, s19, v199
	v_sub_u16_e32 v201, v200, v198
	v_sub_u16_sdwa v203, v200, v198 dst_sel:BYTE_1 dst_unused:UNUSED_PAD src0_sel:BYTE_1 src1_sel:BYTE_1
	v_sub_u16_sdwa v196, v196, v198 dst_sel:BYTE_1 dst_unused:UNUSED_PAD src0_sel:DWORD src1_sel:BYTE_3
	v_sub_u16_sdwa v198, v200, v198 dst_sel:DWORD dst_unused:UNUSED_PAD src0_sel:WORD_1 src1_sel:WORD_1
	v_ashrrev_i32_e32 v197, s21, v197
	v_lshlrev_b32_e32 v199, 2, v199
	v_or_b32_sdwa v201, v201, v203 dst_sel:DWORD dst_unused:UNUSED_PAD src0_sel:BYTE_0 src1_sel:DWORD
	v_or_b32_sdwa v196, v198, v196 dst_sel:WORD_1 dst_unused:UNUSED_PAD src0_sel:BYTE_0 src1_sel:DWORD
	v_and_b32_e32 v198, 0x3030303, v197
	v_bfe_u32 v197, v197, 24, 2
	v_and_b32_e32 v199, 0x4040404, v199
	v_or_b32_sdwa v196, v201, v196 dst_sel:DWORD dst_unused:UNUSED_PAD src0_sel:WORD_0 src1_sel:DWORD
	v_sub_u16_e32 v200, v198, v199
	v_sub_u16_sdwa v201, v198, v199 dst_sel:BYTE_1 dst_unused:UNUSED_PAD src0_sel:BYTE_1 src1_sel:BYTE_1
	v_sub_u16_sdwa v197, v197, v199 dst_sel:BYTE_1 dst_unused:UNUSED_PAD src0_sel:DWORD src1_sel:BYTE_3
	v_sub_u16_sdwa v198, v198, v199 dst_sel:DWORD dst_unused:UNUSED_PAD src0_sel:WORD_1 src1_sel:WORD_1
	v_or_b32_sdwa v200, v200, v201 dst_sel:DWORD dst_unused:UNUSED_PAD src0_sel:BYTE_0 src1_sel:DWORD
	v_or_b32_sdwa v197, v198, v197 dst_sel:WORD_1 dst_unused:UNUSED_PAD src0_sel:BYTE_0 src1_sel:DWORD
	v_add_u32_e32 v199, 0x4218, v202
	v_or_b32_sdwa v198, v200, v197 dst_sel:DWORD dst_unused:UNUSED_PAD src0_sel:WORD_0 src1_sel:DWORD
	ds_read2_b32 v[200:201], v119 offset0:6 offset1:7
	ds_read2_b32 v[202:203], v199 offset1:1
	s_waitcnt lgkmcnt(1)
	v_ashrrev_i32_e32 v119, s21, v200
	s_waitcnt lgkmcnt(0)
	v_ashrrev_i32_e32 v199, s19, v202
	v_lshlrev_b32_e32 v199, 2, v199
	v_and_b32_e32 v197, 0x3030303, v119
	v_bfe_u32 v119, v119, 24, 2
	v_and_b32_e32 v199, 0x4040404, v199
	v_sub_u16_e32 v200, v197, v199
	v_sub_u16_sdwa v202, v197, v199 dst_sel:BYTE_1 dst_unused:UNUSED_PAD src0_sel:BYTE_1 src1_sel:BYTE_1
	v_sub_u16_sdwa v119, v119, v199 dst_sel:BYTE_1 dst_unused:UNUSED_PAD src0_sel:DWORD src1_sel:BYTE_3
	v_sub_u16_sdwa v197, v197, v199 dst_sel:DWORD dst_unused:UNUSED_PAD src0_sel:WORD_1 src1_sel:WORD_1
	v_or_b32_sdwa v200, v200, v202 dst_sel:DWORD dst_unused:UNUSED_PAD src0_sel:BYTE_0 src1_sel:DWORD
	v_or_b32_sdwa v119, v197, v119 dst_sel:WORD_1 dst_unused:UNUSED_PAD src0_sel:BYTE_0 src1_sel:DWORD
	s_nop 0
	v_or_b32_sdwa v199, v200, v119 dst_sel:DWORD dst_unused:UNUSED_PAD src0_sel:WORD_0 src1_sel:DWORD
	v_ashrrev_i32_e32 v200, s19, v203
	v_ashrrev_i32_e32 v119, s21, v201
	v_lshlrev_b32_e32 v200, 2, v200
	v_and_b32_e32 v197, 0x3030303, v119
	v_bfe_u32 v119, v119, 24, 2
	v_and_b32_e32 v200, 0x4040404, v200
	v_sub_u16_e32 v201, v197, v200
	v_sub_u16_sdwa v202, v197, v200 dst_sel:BYTE_1 dst_unused:UNUSED_PAD src0_sel:BYTE_1 src1_sel:BYTE_1
	v_sub_u16_sdwa v119, v119, v200 dst_sel:BYTE_1 dst_unused:UNUSED_PAD src0_sel:DWORD src1_sel:BYTE_3
	v_sub_u16_sdwa v197, v197, v200 dst_sel:DWORD dst_unused:UNUSED_PAD src0_sel:WORD_1 src1_sel:WORD_1
	v_or_b32_sdwa v201, v201, v202 dst_sel:DWORD dst_unused:UNUSED_PAD src0_sel:BYTE_0 src1_sel:DWORD
	v_or_b32_sdwa v119, v197, v119 dst_sel:WORD_1 dst_unused:UNUSED_PAD src0_sel:BYTE_0 src1_sel:DWORD
	v_add_u32_e32 v197, s25, v136
	v_or_b32_sdwa v200, v201, v119 dst_sel:DWORD dst_unused:UNUSED_PAD src0_sel:WORD_0 src1_sel:DWORD
	v_add3_u32 v119, v148, s22, v118
	ds_read_b32 v197, v197
	ds_read_u16 v119, v119 offset:10242
	v_mov_b32_e32 v202, 0
	v_dot4c_i32_i8_e32 v202, v191, v4
	v_dot4c_i32_i8_e32 v202, v193, v5
	;; [unrolled: 1-line block ×3, first 2 shown]
	s_waitcnt lgkmcnt(0)
	v_lshrrev_b16_e32 v203, 8, v119
	v_bfe_i32 v201, v119, 0, 8
	v_mov_b32_e32 v119, 0
	v_dot4c_i32_i8_e32 v119, v196, v0
	v_dot4c_i32_i8_e32 v119, v198, v1
	v_dot4c_i32_i8_e32 v202, v195, v7
	v_dot4c_i32_i8_e32 v119, v199, v2
	v_dot4c_i32_i8_e32 v119, v200, v3
	v_bfe_i32 v203, v203, 0, 8
	v_mul_lo_u32 v202, v202, v201
	v_add3_u32 v118, v150, s22, v118
	v_mad_u64_u32 v[204:205], s[26:27], v119, v203, v[202:203]
	v_cvt_f32_i32_e32 v202, v204
	v_mul_f32_e32 v119, v116, v197
	v_fmac_f32_e32 v85, v119, v202
	v_add_u32_e32 v119, s24, v138
	ds_read2_b32 v[204:205], v119 offset1:1
	s_waitcnt lgkmcnt(0)
	v_ashrrev_i32_e32 v202, s21, v204
	v_and_b32_e32 v204, 0x3030303, v202
	v_bfe_u32 v202, v202, 24, 2
	v_sub_u16_e32 v208, v204, v206
	v_sub_u16_sdwa v209, v204, v206 dst_sel:BYTE_1 dst_unused:UNUSED_PAD src0_sel:BYTE_1 src1_sel:BYTE_1
	v_sub_u16_sdwa v202, v202, v206 dst_sel:BYTE_1 dst_unused:UNUSED_PAD src0_sel:DWORD src1_sel:BYTE_3
	v_sub_u16_sdwa v204, v204, v206 dst_sel:DWORD dst_unused:UNUSED_PAD src0_sel:WORD_1 src1_sel:WORD_1
	v_ashrrev_i32_e32 v206, s19, v207
	v_or_b32_sdwa v202, v204, v202 dst_sel:WORD_1 dst_unused:UNUSED_PAD src0_sel:BYTE_0 src1_sel:DWORD
	v_ashrrev_i32_e32 v204, s21, v205
	v_lshlrev_b32_e32 v206, 2, v206
	v_or_b32_sdwa v208, v208, v209 dst_sel:DWORD dst_unused:UNUSED_PAD src0_sel:BYTE_0 src1_sel:DWORD
	v_and_b32_e32 v205, 0x3030303, v204
	v_bfe_u32 v204, v204, 24, 2
	v_and_b32_e32 v206, 0x4040404, v206
	v_or_b32_sdwa v202, v208, v202 dst_sel:DWORD dst_unused:UNUSED_PAD src0_sel:WORD_0 src1_sel:DWORD
	v_sub_u16_e32 v207, v205, v206
	v_sub_u16_sdwa v208, v205, v206 dst_sel:BYTE_1 dst_unused:UNUSED_PAD src0_sel:BYTE_1 src1_sel:BYTE_1
	v_sub_u16_sdwa v204, v204, v206 dst_sel:BYTE_1 dst_unused:UNUSED_PAD src0_sel:DWORD src1_sel:BYTE_3
	v_sub_u16_sdwa v205, v205, v206 dst_sel:DWORD dst_unused:UNUSED_PAD src0_sel:WORD_1 src1_sel:WORD_1
	v_or_b32_sdwa v207, v207, v208 dst_sel:DWORD dst_unused:UNUSED_PAD src0_sel:BYTE_0 src1_sel:DWORD
	v_or_b32_sdwa v204, v205, v204 dst_sel:WORD_1 dst_unused:UNUSED_PAD src0_sel:BYTE_0 src1_sel:DWORD
	v_add_u32_e32 v208, 0x4208, v212
	v_or_b32_sdwa v204, v207, v204 dst_sel:DWORD dst_unused:UNUSED_PAD src0_sel:WORD_0 src1_sel:DWORD
	ds_read2_b32 v[206:207], v119 offset0:2 offset1:3
	ds_read2_b32 v[208:209], v208 offset1:1
	s_waitcnt lgkmcnt(1)
	v_ashrrev_i32_e32 v205, s21, v206
	s_waitcnt lgkmcnt(0)
	v_ashrrev_i32_e32 v208, s19, v208
	v_lshlrev_b32_e32 v208, 2, v208
	v_and_b32_e32 v206, 0x3030303, v205
	v_bfe_u32 v205, v205, 24, 2
	v_and_b32_e32 v208, 0x4040404, v208
	v_sub_u16_e32 v210, v206, v208
	v_sub_u16_sdwa v211, v206, v208 dst_sel:BYTE_1 dst_unused:UNUSED_PAD src0_sel:BYTE_1 src1_sel:BYTE_1
	v_sub_u16_sdwa v205, v205, v208 dst_sel:BYTE_1 dst_unused:UNUSED_PAD src0_sel:DWORD src1_sel:BYTE_3
	v_sub_u16_sdwa v206, v206, v208 dst_sel:DWORD dst_unused:UNUSED_PAD src0_sel:WORD_1 src1_sel:WORD_1
	v_ashrrev_i32_e32 v208, s19, v209
	v_or_b32_sdwa v205, v206, v205 dst_sel:WORD_1 dst_unused:UNUSED_PAD src0_sel:BYTE_0 src1_sel:DWORD
	v_ashrrev_i32_e32 v206, s21, v207
	v_lshlrev_b32_e32 v208, 2, v208
	v_or_b32_sdwa v210, v210, v211 dst_sel:DWORD dst_unused:UNUSED_PAD src0_sel:BYTE_0 src1_sel:DWORD
	v_and_b32_e32 v207, 0x3030303, v206
	v_bfe_u32 v206, v206, 24, 2
	v_and_b32_e32 v208, 0x4040404, v208
	v_or_b32_sdwa v205, v210, v205 dst_sel:DWORD dst_unused:UNUSED_PAD src0_sel:WORD_0 src1_sel:DWORD
	v_sub_u16_e32 v209, v207, v208
	v_sub_u16_sdwa v210, v207, v208 dst_sel:BYTE_1 dst_unused:UNUSED_PAD src0_sel:BYTE_1 src1_sel:BYTE_1
	v_sub_u16_sdwa v206, v206, v208 dst_sel:BYTE_1 dst_unused:UNUSED_PAD src0_sel:DWORD src1_sel:BYTE_3
	v_sub_u16_sdwa v207, v207, v208 dst_sel:DWORD dst_unused:UNUSED_PAD src0_sel:WORD_1 src1_sel:WORD_1
	v_or_b32_sdwa v209, v209, v210 dst_sel:DWORD dst_unused:UNUSED_PAD src0_sel:BYTE_0 src1_sel:DWORD
	v_or_b32_sdwa v206, v207, v206 dst_sel:WORD_1 dst_unused:UNUSED_PAD src0_sel:BYTE_0 src1_sel:DWORD
	v_add_u32_e32 v210, 0x4210, v212
	v_or_b32_sdwa v206, v209, v206 dst_sel:DWORD dst_unused:UNUSED_PAD src0_sel:WORD_0 src1_sel:DWORD
	ds_read2_b32 v[208:209], v119 offset0:4 offset1:5
	ds_read2_b32 v[210:211], v210 offset1:1
	s_waitcnt lgkmcnt(1)
	v_ashrrev_i32_e32 v207, s21, v208
	s_waitcnt lgkmcnt(0)
	v_ashrrev_i32_e32 v210, s19, v210
	v_lshlrev_b32_e32 v210, 2, v210
	v_and_b32_e32 v208, 0x3030303, v207
	v_bfe_u32 v207, v207, 24, 2
	v_and_b32_e32 v210, 0x4040404, v210
	v_sub_u16_e32 v213, v208, v210
	v_sub_u16_sdwa v214, v208, v210 dst_sel:BYTE_1 dst_unused:UNUSED_PAD src0_sel:BYTE_1 src1_sel:BYTE_1
	v_sub_u16_sdwa v207, v207, v210 dst_sel:BYTE_1 dst_unused:UNUSED_PAD src0_sel:DWORD src1_sel:BYTE_3
	v_sub_u16_sdwa v208, v208, v210 dst_sel:DWORD dst_unused:UNUSED_PAD src0_sel:WORD_1 src1_sel:WORD_1
	v_ashrrev_i32_e32 v210, s19, v211
	v_or_b32_sdwa v207, v208, v207 dst_sel:WORD_1 dst_unused:UNUSED_PAD src0_sel:BYTE_0 src1_sel:DWORD
	v_ashrrev_i32_e32 v208, s21, v209
	v_lshlrev_b32_e32 v210, 2, v210
	v_or_b32_sdwa v213, v213, v214 dst_sel:DWORD dst_unused:UNUSED_PAD src0_sel:BYTE_0 src1_sel:DWORD
	v_and_b32_e32 v209, 0x3030303, v208
	v_bfe_u32 v208, v208, 24, 2
	v_and_b32_e32 v210, 0x4040404, v210
	v_or_b32_sdwa v207, v213, v207 dst_sel:DWORD dst_unused:UNUSED_PAD src0_sel:WORD_0 src1_sel:DWORD
	v_sub_u16_e32 v211, v209, v210
	v_sub_u16_sdwa v213, v209, v210 dst_sel:BYTE_1 dst_unused:UNUSED_PAD src0_sel:BYTE_1 src1_sel:BYTE_1
	v_sub_u16_sdwa v208, v208, v210 dst_sel:BYTE_1 dst_unused:UNUSED_PAD src0_sel:DWORD src1_sel:BYTE_3
	v_sub_u16_sdwa v209, v209, v210 dst_sel:DWORD dst_unused:UNUSED_PAD src0_sel:WORD_1 src1_sel:WORD_1
	v_or_b32_sdwa v211, v211, v213 dst_sel:DWORD dst_unused:UNUSED_PAD src0_sel:BYTE_0 src1_sel:DWORD
	v_or_b32_sdwa v208, v209, v208 dst_sel:WORD_1 dst_unused:UNUSED_PAD src0_sel:BYTE_0 src1_sel:DWORD
	s_nop 0
	v_or_b32_sdwa v209, v211, v208 dst_sel:DWORD dst_unused:UNUSED_PAD src0_sel:WORD_0 src1_sel:DWORD
	ds_read2_b32 v[210:211], v119 offset0:6 offset1:7
	s_waitcnt lgkmcnt(0)
	v_ashrrev_i32_e32 v119, s21, v210
	v_add_u32_e32 v210, 0x4218, v212
	ds_read2_b32 v[212:213], v210 offset1:1
	v_and_b32_e32 v208, 0x3030303, v119
	v_bfe_u32 v119, v119, 24, 2
	s_waitcnt lgkmcnt(0)
	v_ashrrev_i32_e32 v210, s19, v212
	v_lshlrev_b32_e32 v210, 2, v210
	v_and_b32_e32 v210, 0x4040404, v210
	v_sub_u16_e32 v212, v208, v210
	v_sub_u16_sdwa v214, v208, v210 dst_sel:BYTE_1 dst_unused:UNUSED_PAD src0_sel:BYTE_1 src1_sel:BYTE_1
	v_sub_u16_sdwa v119, v119, v210 dst_sel:BYTE_1 dst_unused:UNUSED_PAD src0_sel:DWORD src1_sel:BYTE_3
	v_sub_u16_sdwa v208, v208, v210 dst_sel:DWORD dst_unused:UNUSED_PAD src0_sel:WORD_1 src1_sel:WORD_1
	v_or_b32_sdwa v212, v212, v214 dst_sel:DWORD dst_unused:UNUSED_PAD src0_sel:BYTE_0 src1_sel:DWORD
	v_or_b32_sdwa v119, v208, v119 dst_sel:WORD_1 dst_unused:UNUSED_PAD src0_sel:BYTE_0 src1_sel:DWORD
	s_nop 0
	v_or_b32_sdwa v210, v212, v119 dst_sel:DWORD dst_unused:UNUSED_PAD src0_sel:WORD_0 src1_sel:DWORD
	v_ashrrev_i32_e32 v119, s21, v211
	v_ashrrev_i32_e32 v211, s19, v213
	v_lshlrev_b32_e32 v211, 2, v211
	v_and_b32_e32 v208, 0x3030303, v119
	v_bfe_u32 v119, v119, 24, 2
	v_and_b32_e32 v211, 0x4040404, v211
	v_sub_u16_e32 v212, v208, v211
	v_sub_u16_sdwa v213, v208, v211 dst_sel:BYTE_1 dst_unused:UNUSED_PAD src0_sel:BYTE_1 src1_sel:BYTE_1
	v_sub_u16_sdwa v119, v119, v211 dst_sel:BYTE_1 dst_unused:UNUSED_PAD src0_sel:DWORD src1_sel:BYTE_3
	v_sub_u16_sdwa v208, v208, v211 dst_sel:DWORD dst_unused:UNUSED_PAD src0_sel:WORD_1 src1_sel:WORD_1
	v_or_b32_sdwa v212, v212, v213 dst_sel:DWORD dst_unused:UNUSED_PAD src0_sel:BYTE_0 src1_sel:DWORD
	v_or_b32_sdwa v119, v208, v119 dst_sel:WORD_1 dst_unused:UNUSED_PAD src0_sel:BYTE_0 src1_sel:DWORD
	s_add_i32 s19, s19, 1
	v_or_b32_sdwa v211, v212, v119 dst_sel:DWORD dst_unused:UNUSED_PAD src0_sel:WORD_0 src1_sel:DWORD
	v_add_u32_e32 v119, s25, v139
	ds_read_b32 v208, v119
	v_mov_b32_e32 v119, 0
	v_dot4c_i32_i8_e32 v119, v202, v4
	ds_read_u16 v4, v118 offset:11266
	v_dot4c_i32_i8_e32 v119, v204, v5
	v_dot4c_i32_i8_e32 v119, v205, v6
	v_mov_b32_e32 v6, 0
	v_dot4c_i32_i8_e32 v6, v207, v0
	v_dot4c_i32_i8_e32 v6, v209, v1
	;; [unrolled: 1-line block ×3, first 2 shown]
	s_waitcnt lgkmcnt(0)
	v_lshrrev_b16_e32 v5, 8, v4
	v_bfe_i32 v212, v4, 0, 8
	v_dot4c_i32_i8_e32 v6, v210, v2
	v_mul_lo_u32 v4, v119, v212
	v_dot4c_i32_i8_e32 v6, v211, v3
	v_bfe_i32 v213, v5, 0, 8
	v_mov_b32_e32 v118, 0
	s_cmp_lt_u32 s21, 6
	v_mad_u64_u32 v[0:1], s[22:23], v6, v213, v[4:5]
	v_cvt_f32_i32_e32 v0, v0
	v_mul_f32_e32 v1, v116, v208
	v_mov_b32_e32 v116, 0
	v_fmac_f32_e32 v81, v1, v0
	ds_read_b128 v[0:3], v168 offset:26368
	ds_read_b128 v[4:7], v168 offset:26384
	s_waitcnt lgkmcnt(1)
	v_dot4c_i32_i8_e32 v116, v170, v0
	v_dot4c_i32_i8_e32 v116, v171, v1
	s_waitcnt lgkmcnt(0)
	v_dot4c_i32_i8_e32 v118, v175, v4
	v_dot4c_i32_i8_e32 v116, v172, v2
	;; [unrolled: 1-line block ×6, first 2 shown]
	s_nop 0
	v_mul_lo_u32 v116, v116, v179
	s_nop 0
	v_mad_u64_u32 v[118:119], s[22:23], v118, v181, v[116:117]
	v_cvt_f32_i32_e32 v118, v118
	v_mul_f32_e32 v116, v174, v117
	v_fmac_f32_e32 v79, v116, v118
	v_mov_b32_e32 v116, 0
	v_dot4c_i32_i8_e32 v116, v180, v0
	v_mov_b32_e32 v118, 0
	v_dot4c_i32_i8_e32 v116, v182, v1
	v_dot4c_i32_i8_e32 v118, v185, v4
	;; [unrolled: 1-line block ×7, first 2 shown]
	s_nop 0
	v_mul_lo_u32 v116, v116, v190
	s_nop 0
	v_mad_u64_u32 v[118:119], s[22:23], v118, v192, v[116:117]
	v_cvt_f32_i32_e32 v118, v118
	v_mul_f32_e32 v116, v186, v117
	v_fmac_f32_e32 v73, v116, v118
	v_mov_b32_e32 v116, 0
	v_dot4c_i32_i8_e32 v116, v191, v0
	v_mov_b32_e32 v118, 0
	v_dot4c_i32_i8_e32 v116, v193, v1
	v_dot4c_i32_i8_e32 v118, v196, v4
	;; [unrolled: 1-line block ×7, first 2 shown]
	s_nop 0
	v_mul_lo_u32 v116, v116, v201
	s_nop 0
	v_mad_u64_u32 v[118:119], s[22:23], v118, v203, v[116:117]
	v_cvt_f32_i32_e32 v118, v118
	v_mul_f32_e32 v116, v197, v117
	v_fmac_f32_e32 v69, v116, v118
	v_mov_b32_e32 v116, 0
	v_dot4c_i32_i8_e32 v116, v202, v0
	v_dot4c_i32_i8_e32 v116, v204, v1
	v_mov_b32_e32 v1, 0
	v_dot4c_i32_i8_e32 v1, v207, v4
	v_dot4c_i32_i8_e32 v116, v205, v2
	;; [unrolled: 1-line block ×6, first 2 shown]
	s_nop 0
	v_mul_lo_u32 v0, v116, v212
	s_nop 0
	v_mad_u64_u32 v[0:1], s[22:23], v1, v213, v[0:1]
	v_cvt_f32_i32_e32 v0, v0
	v_mul_f32_e32 v1, v208, v117
	v_fmac_f32_e32 v67, v1, v0
	v_add_u32_e32 v0, 0x9800, v169
	ds_read2_b32 v[6:7], v0 offset0:40 offset1:72
	ds_read_b128 v[2:5], v168 offset:27392
	ds_read_b128 v[116:119], v168 offset:27408
	v_mov_b32_e32 v1, 0
	v_add_u32_e32 v169, 4, v169
	s_waitcnt lgkmcnt(1)
	v_dot4c_i32_i8_e32 v1, v170, v2
	v_dot4c_i32_i8_e32 v1, v171, v3
	;; [unrolled: 1-line block ×4, first 2 shown]
	s_nop 2
	v_mul_lo_u32 v214, v1, v179
	v_mov_b32_e32 v1, 0
	s_waitcnt lgkmcnt(0)
	v_dot4c_i32_i8_e32 v1, v175, v116
	v_dot4c_i32_i8_e32 v1, v176, v117
	;; [unrolled: 1-line block ×4, first 2 shown]
	s_nop 2
	v_mad_u64_u32 v[214:215], s[22:23], v1, v181, v[214:215]
	v_cvt_f32_i32_e32 v214, v214
	v_mul_f32_e32 v1, v174, v6
                                        ; kill: def $vgpr215 killed $sgpr0 killed $exec
	v_fmac_f32_e32 v65, v1, v214
	v_mov_b32_e32 v1, 0
	v_dot4c_i32_i8_e32 v1, v180, v2
	v_dot4c_i32_i8_e32 v1, v182, v3
	;; [unrolled: 1-line block ×4, first 2 shown]
	s_nop 2
	v_mul_lo_u32 v214, v1, v190
	v_mov_b32_e32 v1, 0
	v_dot4c_i32_i8_e32 v1, v185, v116
	v_dot4c_i32_i8_e32 v1, v187, v117
	;; [unrolled: 1-line block ×4, first 2 shown]
	s_nop 2
	v_mad_u64_u32 v[214:215], s[22:23], v1, v192, v[214:215]
	v_cvt_f32_i32_e32 v214, v214
	v_mul_f32_e32 v1, v186, v6
                                        ; kill: def $vgpr215 killed $sgpr0 killed $exec
	v_fmac_f32_e32 v63, v1, v214
	v_mov_b32_e32 v1, 0
	v_dot4c_i32_i8_e32 v1, v191, v2
	v_dot4c_i32_i8_e32 v1, v193, v3
	;; [unrolled: 1-line block ×4, first 2 shown]
	s_nop 2
	v_mul_lo_u32 v214, v1, v201
	v_mov_b32_e32 v1, 0
	v_dot4c_i32_i8_e32 v1, v196, v116
	v_dot4c_i32_i8_e32 v1, v198, v117
	;; [unrolled: 1-line block ×4, first 2 shown]
	s_nop 2
	v_mad_u64_u32 v[214:215], s[22:23], v1, v203, v[214:215]
	v_cvt_f32_i32_e32 v214, v214
	v_mul_f32_e32 v1, v197, v6
	v_fmac_f32_e32 v61, v1, v214
	v_mov_b32_e32 v1, 0
	v_dot4c_i32_i8_e32 v1, v202, v2
	v_dot4c_i32_i8_e32 v1, v204, v3
	;; [unrolled: 1-line block ×4, first 2 shown]
                                        ; kill: def $vgpr3 killed $sgpr0 killed $exec
	s_nop 2
	v_mul_lo_u32 v2, v1, v212
	v_mov_b32_e32 v1, 0
	v_dot4c_i32_i8_e32 v1, v207, v116
	v_dot4c_i32_i8_e32 v1, v209, v117
	;; [unrolled: 1-line block ×4, first 2 shown]
	s_nop 2
	v_mad_u64_u32 v[2:3], s[22:23], v1, v213, v[2:3]
	v_cvt_f32_i32_e32 v2, v2
	v_mul_f32_e32 v1, v208, v6
	v_fmac_f32_e32 v57, v1, v2
	ds_read_b128 v[2:5], v168 offset:28416
	ds_read_b128 v[116:119], v168 offset:28432
	v_mov_b32_e32 v1, 0
	s_waitcnt lgkmcnt(1)
	v_dot4c_i32_i8_e32 v1, v170, v2
	v_dot4c_i32_i8_e32 v1, v171, v3
	v_dot4c_i32_i8_e32 v1, v172, v4
	v_dot4c_i32_i8_e32 v1, v173, v5
	s_nop 2
	v_mul_lo_u32 v6, v1, v179
	v_mov_b32_e32 v1, 0
	s_waitcnt lgkmcnt(0)
	v_dot4c_i32_i8_e32 v1, v175, v116
	v_dot4c_i32_i8_e32 v1, v176, v117
	;; [unrolled: 1-line block ×4, first 2 shown]
	s_nop 2
	v_mad_u64_u32 v[214:215], s[22:23], v1, v181, v[6:7]
	v_cvt_f32_i32_e32 v6, v214
	v_mul_f32_e32 v1, v174, v7
	v_fmac_f32_e32 v53, v1, v6
	v_mov_b32_e32 v1, 0
	v_dot4c_i32_i8_e32 v1, v180, v2
	v_dot4c_i32_i8_e32 v1, v182, v3
	v_dot4c_i32_i8_e32 v1, v183, v4
	v_dot4c_i32_i8_e32 v1, v184, v5
	s_nop 2
	v_mul_lo_u32 v6, v1, v190
	v_mov_b32_e32 v1, 0
	v_dot4c_i32_i8_e32 v1, v185, v116
	v_dot4c_i32_i8_e32 v1, v187, v117
	;; [unrolled: 1-line block ×4, first 2 shown]
	s_nop 2
	v_mad_u64_u32 v[214:215], s[22:23], v1, v192, v[6:7]
	v_cvt_f32_i32_e32 v6, v214
	v_mul_f32_e32 v1, v186, v7
	v_fmac_f32_e32 v51, v1, v6
	v_mov_b32_e32 v1, 0
	v_dot4c_i32_i8_e32 v1, v191, v2
	v_dot4c_i32_i8_e32 v1, v193, v3
	;; [unrolled: 1-line block ×4, first 2 shown]
	s_nop 2
	v_mul_lo_u32 v6, v1, v201
	v_mov_b32_e32 v1, 0
	v_dot4c_i32_i8_e32 v1, v196, v116
	v_dot4c_i32_i8_e32 v1, v198, v117
	;; [unrolled: 1-line block ×4, first 2 shown]
	s_nop 2
	v_mad_u64_u32 v[214:215], s[22:23], v1, v203, v[6:7]
	v_cvt_f32_i32_e32 v6, v214
	v_mul_f32_e32 v1, v197, v7
                                        ; kill: def $vgpr215 killed $sgpr0 killed $exec
	v_fmac_f32_e32 v49, v1, v6
	v_mov_b32_e32 v1, 0
	v_dot4c_i32_i8_e32 v1, v202, v2
	v_dot4c_i32_i8_e32 v1, v204, v3
	;; [unrolled: 1-line block ×4, first 2 shown]
                                        ; kill: def $vgpr3 killed $sgpr0 killed $exec
	s_nop 2
	v_mul_lo_u32 v2, v1, v212
	v_mov_b32_e32 v1, 0
	v_dot4c_i32_i8_e32 v1, v207, v116
	v_dot4c_i32_i8_e32 v1, v209, v117
	;; [unrolled: 1-line block ×4, first 2 shown]
	s_nop 2
	v_mad_u64_u32 v[2:3], s[22:23], v1, v213, v[2:3]
	v_cvt_f32_i32_e32 v2, v2
	v_mul_f32_e32 v1, v208, v7
	v_fmac_f32_e32 v47, v1, v2
	ds_read2_b32 v[6:7], v0 offset0:104 offset1:136
	ds_read_b128 v[2:5], v168 offset:29440
	ds_read_b128 v[116:119], v168 offset:29456
	v_mov_b32_e32 v1, 0
	s_waitcnt lgkmcnt(1)
	v_dot4c_i32_i8_e32 v1, v170, v2
	v_dot4c_i32_i8_e32 v1, v171, v3
	;; [unrolled: 1-line block ×4, first 2 shown]
	s_nop 2
	v_mul_lo_u32 v214, v1, v179
	v_mov_b32_e32 v1, 0
	s_waitcnt lgkmcnt(0)
	v_dot4c_i32_i8_e32 v1, v175, v116
	v_dot4c_i32_i8_e32 v1, v176, v117
	;; [unrolled: 1-line block ×4, first 2 shown]
	s_nop 2
	v_mad_u64_u32 v[214:215], s[22:23], v1, v181, v[214:215]
	v_cvt_f32_i32_e32 v214, v214
	v_mul_f32_e32 v1, v174, v6
                                        ; kill: def $vgpr215 killed $sgpr0 killed $exec
	v_fmac_f32_e32 v45, v1, v214
	v_mov_b32_e32 v1, 0
	v_dot4c_i32_i8_e32 v1, v180, v2
	v_dot4c_i32_i8_e32 v1, v182, v3
	;; [unrolled: 1-line block ×4, first 2 shown]
	s_nop 2
	v_mul_lo_u32 v214, v1, v190
	v_mov_b32_e32 v1, 0
	v_dot4c_i32_i8_e32 v1, v185, v116
	v_dot4c_i32_i8_e32 v1, v187, v117
	;; [unrolled: 1-line block ×4, first 2 shown]
	s_nop 2
	v_mad_u64_u32 v[214:215], s[22:23], v1, v192, v[214:215]
	v_cvt_f32_i32_e32 v214, v214
	v_mul_f32_e32 v1, v186, v6
                                        ; kill: def $vgpr215 killed $sgpr0 killed $exec
	v_fmac_f32_e32 v43, v1, v214
	v_mov_b32_e32 v1, 0
	v_dot4c_i32_i8_e32 v1, v191, v2
	v_dot4c_i32_i8_e32 v1, v193, v3
	;; [unrolled: 1-line block ×4, first 2 shown]
	s_nop 2
	v_mul_lo_u32 v214, v1, v201
	v_mov_b32_e32 v1, 0
	v_dot4c_i32_i8_e32 v1, v196, v116
	v_dot4c_i32_i8_e32 v1, v198, v117
	;; [unrolled: 1-line block ×4, first 2 shown]
	s_nop 2
	v_mad_u64_u32 v[214:215], s[22:23], v1, v203, v[214:215]
	v_cvt_f32_i32_e32 v214, v214
	v_mul_f32_e32 v1, v197, v6
	v_fmac_f32_e32 v41, v1, v214
	v_mov_b32_e32 v1, 0
	v_dot4c_i32_i8_e32 v1, v202, v2
	v_dot4c_i32_i8_e32 v1, v204, v3
	;; [unrolled: 1-line block ×4, first 2 shown]
                                        ; kill: def $vgpr3 killed $sgpr0 killed $exec
	s_nop 2
	v_mul_lo_u32 v2, v1, v212
	v_mov_b32_e32 v1, 0
	v_dot4c_i32_i8_e32 v1, v207, v116
	v_dot4c_i32_i8_e32 v1, v209, v117
	;; [unrolled: 1-line block ×4, first 2 shown]
	s_nop 2
	v_mad_u64_u32 v[2:3], s[22:23], v1, v213, v[2:3]
	v_cvt_f32_i32_e32 v2, v2
	v_mul_f32_e32 v1, v208, v6
	v_fmac_f32_e32 v39, v1, v2
	ds_read_b128 v[2:5], v168 offset:30464
	ds_read_b128 v[116:119], v168 offset:30480
	v_mov_b32_e32 v1, 0
	s_waitcnt lgkmcnt(1)
	v_dot4c_i32_i8_e32 v1, v170, v2
	v_dot4c_i32_i8_e32 v1, v171, v3
	;; [unrolled: 1-line block ×4, first 2 shown]
	s_nop 2
	v_mul_lo_u32 v6, v1, v179
	v_mov_b32_e32 v1, 0
	s_waitcnt lgkmcnt(0)
	v_dot4c_i32_i8_e32 v1, v175, v116
	v_dot4c_i32_i8_e32 v1, v176, v117
	;; [unrolled: 1-line block ×4, first 2 shown]
	s_nop 2
	v_mad_u64_u32 v[214:215], s[22:23], v1, v181, v[6:7]
	v_cvt_f32_i32_e32 v6, v214
	v_mul_f32_e32 v1, v174, v7
	v_fmac_f32_e32 v37, v1, v6
	v_mov_b32_e32 v1, 0
	v_dot4c_i32_i8_e32 v1, v180, v2
	v_dot4c_i32_i8_e32 v1, v182, v3
	;; [unrolled: 1-line block ×4, first 2 shown]
	s_nop 2
	v_mul_lo_u32 v6, v1, v190
	v_mov_b32_e32 v1, 0
	v_dot4c_i32_i8_e32 v1, v185, v116
	v_dot4c_i32_i8_e32 v1, v187, v117
	;; [unrolled: 1-line block ×4, first 2 shown]
	s_nop 2
	v_mad_u64_u32 v[214:215], s[22:23], v1, v192, v[6:7]
	v_cvt_f32_i32_e32 v6, v214
	v_mul_f32_e32 v1, v186, v7
	v_fmac_f32_e32 v35, v1, v6
	v_mov_b32_e32 v1, 0
	v_dot4c_i32_i8_e32 v1, v191, v2
	v_dot4c_i32_i8_e32 v1, v193, v3
	;; [unrolled: 1-line block ×4, first 2 shown]
	s_nop 2
	v_mul_lo_u32 v6, v1, v201
	v_mov_b32_e32 v1, 0
	v_dot4c_i32_i8_e32 v1, v196, v116
	v_dot4c_i32_i8_e32 v1, v198, v117
	;; [unrolled: 1-line block ×4, first 2 shown]
	s_nop 2
	v_mad_u64_u32 v[214:215], s[22:23], v1, v203, v[6:7]
	v_cvt_f32_i32_e32 v6, v214
	v_mul_f32_e32 v1, v197, v7
	v_fmac_f32_e32 v33, v1, v6
	v_mov_b32_e32 v1, 0
	v_dot4c_i32_i8_e32 v1, v202, v2
	v_dot4c_i32_i8_e32 v1, v204, v3
	v_dot4c_i32_i8_e32 v1, v205, v4
	v_dot4c_i32_i8_e32 v1, v206, v5
                                        ; kill: def $vgpr3 killed $sgpr0 killed $exec
	s_nop 2
	v_mul_lo_u32 v2, v1, v212
	v_mov_b32_e32 v1, 0
	v_dot4c_i32_i8_e32 v1, v207, v116
	v_dot4c_i32_i8_e32 v1, v209, v117
	;; [unrolled: 1-line block ×4, first 2 shown]
	v_mov_b32_e32 v118, 0
	v_mov_b32_e32 v119, 0
	s_nop 0
	v_mad_u64_u32 v[2:3], s[22:23], v1, v213, v[2:3]
	v_cvt_f32_i32_e32 v2, v2
	v_mul_f32_e32 v1, v208, v7
	v_fmac_f32_e32 v31, v1, v2
	ds_read2_b32 v[116:117], v0 offset0:168 offset1:200
	ds_read_b128 v[4:7], v168 offset:31488
	ds_read_b128 v[0:3], v168 offset:31504
	s_waitcnt lgkmcnt(1)
	v_dot4c_i32_i8_e32 v118, v170, v4
	v_dot4c_i32_i8_e32 v118, v171, v5
	s_waitcnt lgkmcnt(0)
	v_dot4c_i32_i8_e32 v119, v175, v0
	v_dot4c_i32_i8_e32 v118, v172, v6
	;; [unrolled: 1-line block ×6, first 2 shown]
	s_nop 0
	v_mul_lo_u32 v118, v118, v179
	s_nop 0
	v_mad_u64_u32 v[118:119], s[22:23], v119, v181, v[118:119]
	v_cvt_f32_i32_e32 v118, v118
	v_mul_f32_e32 v119, v174, v116
	v_fmac_f32_e32 v27, v119, v118
	v_mov_b32_e32 v118, 0
	v_dot4c_i32_i8_e32 v118, v180, v4
	v_mov_b32_e32 v119, 0
	v_dot4c_i32_i8_e32 v118, v182, v5
	v_dot4c_i32_i8_e32 v119, v185, v0
	;; [unrolled: 1-line block ×7, first 2 shown]
	s_nop 0
	v_mul_lo_u32 v118, v118, v190
	s_nop 0
	v_mad_u64_u32 v[118:119], s[22:23], v119, v192, v[118:119]
	v_cvt_f32_i32_e32 v118, v118
	v_mul_f32_e32 v119, v186, v116
	v_fmac_f32_e32 v23, v119, v118
	v_mov_b32_e32 v118, 0
	v_dot4c_i32_i8_e32 v118, v191, v4
	v_mov_b32_e32 v119, 0
	v_dot4c_i32_i8_e32 v118, v193, v5
	v_dot4c_i32_i8_e32 v119, v196, v0
	;; [unrolled: 1-line block ×7, first 2 shown]
	s_nop 0
	v_mul_lo_u32 v118, v118, v201
	s_nop 0
	v_mad_u64_u32 v[118:119], s[22:23], v119, v203, v[118:119]
	v_cvt_f32_i32_e32 v118, v118
	v_mul_f32_e32 v119, v197, v116
	v_fmac_f32_e32 v21, v119, v118
	v_mov_b32_e32 v118, 0
	v_dot4c_i32_i8_e32 v118, v202, v4
	v_dot4c_i32_i8_e32 v118, v204, v5
	v_mov_b32_e32 v5, 0
	v_dot4c_i32_i8_e32 v5, v207, v0
	v_dot4c_i32_i8_e32 v118, v205, v6
	;; [unrolled: 1-line block ×6, first 2 shown]
	s_nop 0
	v_mul_lo_u32 v4, v118, v212
	v_mov_b32_e32 v118, 0
	v_mad_u64_u32 v[0:1], s[22:23], v5, v213, v[4:5]
	v_cvt_f32_i32_e32 v0, v0
	v_mul_f32_e32 v1, v208, v116
	v_mov_b32_e32 v116, 0
	v_fmac_f32_e32 v19, v1, v0
	ds_read_b128 v[0:3], v168 offset:32512
	ds_read_b128 v[4:7], v168 offset:32528
	v_add_u32_e32 v168, 32, v168
	s_waitcnt lgkmcnt(1)
	v_dot4c_i32_i8_e32 v116, v170, v0
	v_dot4c_i32_i8_e32 v116, v171, v1
	s_waitcnt lgkmcnt(0)
	v_dot4c_i32_i8_e32 v118, v175, v4
	v_dot4c_i32_i8_e32 v116, v172, v2
	;; [unrolled: 1-line block ×6, first 2 shown]
	s_nop 0
	v_mul_lo_u32 v116, v116, v179
	s_nop 0
	v_mad_u64_u32 v[118:119], s[22:23], v118, v181, v[116:117]
	v_cvt_f32_i32_e32 v118, v118
	v_mul_f32_e32 v116, v174, v117
	v_fmac_f32_e32 v17, v116, v118
	v_mov_b32_e32 v116, 0
	v_dot4c_i32_i8_e32 v116, v180, v0
	v_mov_b32_e32 v118, 0
	v_dot4c_i32_i8_e32 v116, v182, v1
	v_dot4c_i32_i8_e32 v118, v185, v4
	;; [unrolled: 1-line block ×7, first 2 shown]
	s_nop 0
	v_mul_lo_u32 v116, v116, v190
	s_nop 0
	v_mad_u64_u32 v[118:119], s[22:23], v118, v192, v[116:117]
	v_cvt_f32_i32_e32 v118, v118
	v_mul_f32_e32 v116, v186, v117
	v_fmac_f32_e32 v15, v116, v118
	v_mov_b32_e32 v116, 0
	v_dot4c_i32_i8_e32 v116, v191, v0
	v_mov_b32_e32 v118, 0
	v_dot4c_i32_i8_e32 v116, v193, v1
	v_dot4c_i32_i8_e32 v118, v196, v4
	;; [unrolled: 1-line block ×7, first 2 shown]
	s_nop 0
	v_mul_lo_u32 v116, v116, v201
	s_nop 0
	v_mad_u64_u32 v[118:119], s[22:23], v118, v203, v[116:117]
	v_cvt_f32_i32_e32 v118, v118
	v_mul_f32_e32 v116, v197, v117
	v_fmac_f32_e32 v13, v116, v118
	v_mov_b32_e32 v116, 0
	v_dot4c_i32_i8_e32 v116, v202, v0
	v_dot4c_i32_i8_e32 v116, v204, v1
	v_mov_b32_e32 v1, 0
	v_dot4c_i32_i8_e32 v1, v207, v4
	v_dot4c_i32_i8_e32 v116, v205, v2
	v_dot4c_i32_i8_e32 v1, v209, v5
	v_dot4c_i32_i8_e32 v116, v206, v3
	v_dot4c_i32_i8_e32 v1, v210, v6
	v_dot4c_i32_i8_e32 v1, v211, v7
	s_nop 0
	v_mul_lo_u32 v0, v116, v212
	s_nop 0
	v_mad_u64_u32 v[0:1], s[22:23], v1, v213, v[0:1]
	v_cvt_f32_i32_e32 v0, v0
	v_mul_f32_e32 v1, v208, v117
	s_mov_b32 s22, s21
	v_fmac_f32_e32 v9, v1, v0
	s_cbranch_scc1 .LBB130_7
; %bb.8:                                ;   in Loop: Header=BB130_6 Depth=1
	v_add_u32_e32 v170, s18, v140
	v_add_u32_e32 v0, v170, v91
	;; [unrolled: 1-line block ×6, first 2 shown]
	v_mad_i64_i32 v[0:1], s[20:21], v0, 36, v[112:113]
	v_mad_i64_i32 v[2:3], s[20:21], v2, 36, v[112:113]
	v_mad_i64_i32 v[4:5], s[20:21], v4, 36, v[112:113]
	v_mad_i64_i32 v[6:7], s[20:21], v6, 36, v[112:113]
	v_add_u32_e32 v116, v170, v115
	v_add_u32_e32 v118, v170, v121
	;; [unrolled: 1-line block ×4, first 2 shown]
	v_mad_u64_u32 v[172:173], s[20:21], v172, 36, s[2:3]
	s_barrier
	v_mad_i64_i32 v[116:117], s[20:21], v116, 36, v[112:113]
	v_mad_i64_i32 v[118:119], s[20:21], v118, 36, v[112:113]
	;; [unrolled: 1-line block ×4, first 2 shown]
	global_load_dword v172, v[172:173], off
	s_nop 0
	global_load_dword v0, v[0:1], off offset:4
	s_nop 0
	global_load_dword v1, v[2:3], off offset:4
	;; [unrolled: 2-line block ×3, first 2 shown]
	global_load_dword v3, v[6:7], off offset:4
	s_nop 0
	global_load_dword v4, v[116:117], off offset:4
	global_load_dword v5, v[118:119], off offset:4
	;; [unrolled: 1-line block ×4, first 2 shown]
	s_mov_b32 s19, 4
	s_mov_b32 s20, 8
	;; [unrolled: 1-line block ×3, first 2 shown]
	v_mov_b32_e32 v168, v93
	v_mov_b32_e32 v169, v55
	s_waitcnt vmcnt(8)
	v_cvt_f32_f16_e32 v116, v172
	s_waitcnt vmcnt(7)
	ds_write_b32 v95, v0
	s_waitcnt vmcnt(6)
	ds_write_b32 v99, v1
	;; [unrolled: 2-line block ×8, first 2 shown]
	ds_write_b32 v87, v116
	s_waitcnt lgkmcnt(0)
	s_barrier
.LBB130_9:                              ;   Parent Loop BB130_6 Depth=1
                                        ; =>  This Inner Loop Header: Depth=2
	s_and_b32 s21, s20, -16
	v_add_u32_e32 v118, s21, v127
	s_add_i32 s21, s22, 2
	s_lshr_b32 s26, s21, 4
	s_and_b32 s25, s21, 0x3ffffff8
	s_lshl_b32 s24, s26, 3
	s_lshl_b32 s25, s25, 2
	v_add_lshl_u32 v180, v128, s24, 2
	v_add_u32_e32 v0, 0x9600, v169
	v_add_u32_e32 v119, s25, v129
	;; [unrolled: 1-line block ×3, first 2 shown]
	ds_read2_b32 v[116:117], v0 offset0:104 offset1:136
	ds_read_b128 v[4:7], v168 offset:25344
	ds_read_b128 v[0:3], v168 offset:25360
	ds_read2_b32 v[170:171], v119 offset1:1
	ds_read2_b32 v[172:173], v172 offset1:1
	s_add_i32 s23, s22, -6
	s_lshl_b32 s26, s26, 2
	v_add_lshl_u32 v190, v131, s24, 2
	s_waitcnt lgkmcnt(1)
	v_ashrrev_i32_e32 v170, s23, v170
	s_waitcnt lgkmcnt(0)
	v_ashrrev_i32_e32 v172, s19, v172
	v_lshlrev_b32_e32 v172, 2, v172
	v_and_b32_e32 v174, 0x3030303, v170
	v_bfe_u32 v170, v170, 24, 2
	v_and_b32_e32 v172, 0x4040404, v172
	v_ashrrev_i32_e32 v173, s19, v173
	v_sub_u16_e32 v175, v174, v172
	v_sub_u16_sdwa v176, v174, v172 dst_sel:BYTE_1 dst_unused:UNUSED_PAD src0_sel:BYTE_1 src1_sel:BYTE_1
	v_sub_u16_sdwa v170, v170, v172 dst_sel:BYTE_1 dst_unused:UNUSED_PAD src0_sel:DWORD src1_sel:BYTE_3
	v_sub_u16_sdwa v172, v174, v172 dst_sel:DWORD dst_unused:UNUSED_PAD src0_sel:WORD_1 src1_sel:WORD_1
	v_ashrrev_i32_e32 v171, s23, v171
	v_lshlrev_b32_e32 v173, 2, v173
	v_or_b32_sdwa v175, v175, v176 dst_sel:DWORD dst_unused:UNUSED_PAD src0_sel:BYTE_0 src1_sel:DWORD
	v_or_b32_sdwa v170, v172, v170 dst_sel:WORD_1 dst_unused:UNUSED_PAD src0_sel:BYTE_0 src1_sel:DWORD
	v_and_b32_e32 v172, 0x3030303, v171
	v_bfe_u32 v171, v171, 24, 2
	v_and_b32_e32 v173, 0x4040404, v173
	v_or_b32_sdwa v170, v175, v170 dst_sel:DWORD dst_unused:UNUSED_PAD src0_sel:WORD_0 src1_sel:DWORD
	v_sub_u16_e32 v174, v172, v173
	v_sub_u16_sdwa v175, v172, v173 dst_sel:BYTE_1 dst_unused:UNUSED_PAD src0_sel:BYTE_1 src1_sel:BYTE_1
	v_sub_u16_sdwa v171, v171, v173 dst_sel:BYTE_1 dst_unused:UNUSED_PAD src0_sel:DWORD src1_sel:BYTE_3
	v_sub_u16_sdwa v172, v172, v173 dst_sel:DWORD dst_unused:UNUSED_PAD src0_sel:WORD_1 src1_sel:WORD_1
	v_or_b32_sdwa v174, v174, v175 dst_sel:DWORD dst_unused:UNUSED_PAD src0_sel:BYTE_0 src1_sel:DWORD
	v_or_b32_sdwa v171, v172, v171 dst_sel:WORD_1 dst_unused:UNUSED_PAD src0_sel:BYTE_0 src1_sel:DWORD
	ds_read2_b32 v[172:173], v119 offset0:2 offset1:3
	v_or_b32_sdwa v171, v174, v171 dst_sel:DWORD dst_unused:UNUSED_PAD src0_sel:WORD_0 src1_sel:DWORD
	v_add_u32_e32 v174, 0x4208, v180
	ds_read2_b32 v[174:175], v174 offset1:1
	v_add_u32_e32 v184, 0x4200, v190
	s_waitcnt lgkmcnt(1)
	v_ashrrev_i32_e32 v172, s23, v172
	v_and_b32_e32 v176, 0x3030303, v172
	v_bfe_u32 v172, v172, 24, 2
	s_waitcnt lgkmcnt(0)
	v_ashrrev_i32_e32 v174, s19, v174
	v_lshlrev_b32_e32 v174, 2, v174
	v_and_b32_e32 v174, 0x4040404, v174
	v_ashrrev_i32_e32 v175, s19, v175
	v_sub_u16_e32 v177, v176, v174
	v_sub_u16_sdwa v178, v176, v174 dst_sel:BYTE_1 dst_unused:UNUSED_PAD src0_sel:BYTE_1 src1_sel:BYTE_1
	v_sub_u16_sdwa v172, v172, v174 dst_sel:BYTE_1 dst_unused:UNUSED_PAD src0_sel:DWORD src1_sel:BYTE_3
	v_sub_u16_sdwa v174, v176, v174 dst_sel:DWORD dst_unused:UNUSED_PAD src0_sel:WORD_1 src1_sel:WORD_1
	v_ashrrev_i32_e32 v173, s23, v173
	v_lshlrev_b32_e32 v175, 2, v175
	v_or_b32_sdwa v177, v177, v178 dst_sel:DWORD dst_unused:UNUSED_PAD src0_sel:BYTE_0 src1_sel:DWORD
	v_or_b32_sdwa v172, v174, v172 dst_sel:WORD_1 dst_unused:UNUSED_PAD src0_sel:BYTE_0 src1_sel:DWORD
	v_and_b32_e32 v174, 0x3030303, v173
	v_bfe_u32 v173, v173, 24, 2
	v_and_b32_e32 v175, 0x4040404, v175
	v_or_b32_sdwa v172, v177, v172 dst_sel:DWORD dst_unused:UNUSED_PAD src0_sel:WORD_0 src1_sel:DWORD
	v_sub_u16_e32 v176, v174, v175
	v_sub_u16_sdwa v177, v174, v175 dst_sel:BYTE_1 dst_unused:UNUSED_PAD src0_sel:BYTE_1 src1_sel:BYTE_1
	v_sub_u16_sdwa v173, v173, v175 dst_sel:BYTE_1 dst_unused:UNUSED_PAD src0_sel:DWORD src1_sel:BYTE_3
	v_sub_u16_sdwa v174, v174, v175 dst_sel:DWORD dst_unused:UNUSED_PAD src0_sel:WORD_1 src1_sel:WORD_1
	v_or_b32_sdwa v176, v176, v177 dst_sel:DWORD dst_unused:UNUSED_PAD src0_sel:BYTE_0 src1_sel:DWORD
	v_or_b32_sdwa v173, v174, v173 dst_sel:WORD_1 dst_unused:UNUSED_PAD src0_sel:BYTE_0 src1_sel:DWORD
	v_add_lshl_u32 v212, v137, s24, 2
	v_or_b32_sdwa v173, v176, v173 dst_sel:DWORD dst_unused:UNUSED_PAD src0_sel:WORD_0 src1_sel:DWORD
	ds_read2_b32 v[176:177], v119 offset0:4 offset1:5
	v_add_lshl_u32 v202, v134, s24, 2
	v_add_u32_e32 v206, 0x4200, v212
                                        ; kill: def $vgpr215 killed $sgpr0 killed $exec
	s_add_i32 s20, s20, 2
	ds_read2_b32 v[184:185], v184 offset1:1
	s_waitcnt lgkmcnt(1)
	v_ashrrev_i32_e32 v174, s23, v176
	v_add_u32_e32 v176, 0x4210, v180
	ds_read2_b32 v[178:179], v176 offset1:1
	v_and_b32_e32 v175, 0x3030303, v174
	v_bfe_u32 v174, v174, 24, 2
	s_waitcnt lgkmcnt(1)
	v_ashrrev_i32_e32 v184, s19, v184
	v_lshlrev_b32_e32 v184, 2, v184
	s_waitcnt lgkmcnt(0)
	v_ashrrev_i32_e32 v176, s19, v178
	v_lshlrev_b32_e32 v176, 2, v176
	v_and_b32_e32 v176, 0x4040404, v176
	v_sub_u16_e32 v178, v175, v176
	v_sub_u16_sdwa v181, v175, v176 dst_sel:BYTE_1 dst_unused:UNUSED_PAD src0_sel:BYTE_1 src1_sel:BYTE_1
	v_sub_u16_sdwa v174, v174, v176 dst_sel:BYTE_1 dst_unused:UNUSED_PAD src0_sel:DWORD src1_sel:BYTE_3
	v_sub_u16_sdwa v175, v175, v176 dst_sel:DWORD dst_unused:UNUSED_PAD src0_sel:WORD_1 src1_sel:WORD_1
	v_or_b32_sdwa v178, v178, v181 dst_sel:DWORD dst_unused:UNUSED_PAD src0_sel:BYTE_0 src1_sel:DWORD
	v_or_b32_sdwa v174, v175, v174 dst_sel:WORD_1 dst_unused:UNUSED_PAD src0_sel:BYTE_0 src1_sel:DWORD
	v_and_b32_e32 v184, 0x4040404, v184
	v_or_b32_sdwa v175, v178, v174 dst_sel:DWORD dst_unused:UNUSED_PAD src0_sel:WORD_0 src1_sel:DWORD
	v_ashrrev_i32_e32 v174, s23, v177
	v_ashrrev_i32_e32 v177, s19, v179
	v_lshlrev_b32_e32 v177, 2, v177
	v_and_b32_e32 v176, 0x3030303, v174
	v_bfe_u32 v174, v174, 24, 2
	v_and_b32_e32 v177, 0x4040404, v177
	v_sub_u16_e32 v178, v176, v177
	v_sub_u16_sdwa v179, v176, v177 dst_sel:BYTE_1 dst_unused:UNUSED_PAD src0_sel:BYTE_1 src1_sel:BYTE_1
	v_sub_u16_sdwa v174, v174, v177 dst_sel:BYTE_1 dst_unused:UNUSED_PAD src0_sel:DWORD src1_sel:BYTE_3
	v_sub_u16_sdwa v176, v176, v177 dst_sel:DWORD dst_unused:UNUSED_PAD src0_sel:WORD_1 src1_sel:WORD_1
	v_or_b32_sdwa v178, v178, v179 dst_sel:DWORD dst_unused:UNUSED_PAD src0_sel:BYTE_0 src1_sel:DWORD
	v_or_b32_sdwa v174, v176, v174 dst_sel:WORD_1 dst_unused:UNUSED_PAD src0_sel:BYTE_0 src1_sel:DWORD
	v_add_u32_e32 v177, 0x4218, v180
	v_or_b32_sdwa v176, v178, v174 dst_sel:DWORD dst_unused:UNUSED_PAD src0_sel:WORD_0 src1_sel:DWORD
	ds_read2_b32 v[178:179], v119 offset0:6 offset1:7
	ds_read2_b32 v[180:181], v177 offset1:1
	ds_read2_b32 v[206:207], v206 offset1:1
	s_waitcnt lgkmcnt(2)
	v_ashrrev_i32_e32 v119, s23, v178
	s_waitcnt lgkmcnt(1)
	v_ashrrev_i32_e32 v177, s19, v180
	v_lshlrev_b32_e32 v177, 2, v177
	v_and_b32_e32 v174, 0x3030303, v119
	v_bfe_u32 v119, v119, 24, 2
	v_and_b32_e32 v177, 0x4040404, v177
	v_sub_u16_e32 v178, v174, v177
	v_sub_u16_sdwa v180, v174, v177 dst_sel:BYTE_1 dst_unused:UNUSED_PAD src0_sel:BYTE_1 src1_sel:BYTE_1
	v_sub_u16_sdwa v119, v119, v177 dst_sel:BYTE_1 dst_unused:UNUSED_PAD src0_sel:DWORD src1_sel:BYTE_3
	v_sub_u16_sdwa v174, v174, v177 dst_sel:DWORD dst_unused:UNUSED_PAD src0_sel:WORD_1 src1_sel:WORD_1
	v_or_b32_sdwa v178, v178, v180 dst_sel:DWORD dst_unused:UNUSED_PAD src0_sel:BYTE_0 src1_sel:DWORD
	v_or_b32_sdwa v119, v174, v119 dst_sel:WORD_1 dst_unused:UNUSED_PAD src0_sel:BYTE_0 src1_sel:DWORD
	s_waitcnt lgkmcnt(0)
	v_ashrrev_i32_e32 v206, s19, v206
	v_or_b32_sdwa v177, v178, v119 dst_sel:DWORD dst_unused:UNUSED_PAD src0_sel:WORD_0 src1_sel:DWORD
	v_ashrrev_i32_e32 v178, s19, v181
	v_ashrrev_i32_e32 v119, s23, v179
	v_lshlrev_b32_e32 v178, 2, v178
	v_and_b32_e32 v174, 0x3030303, v119
	v_bfe_u32 v119, v119, 24, 2
	v_and_b32_e32 v178, 0x4040404, v178
	v_sub_u16_e32 v179, v174, v178
	v_sub_u16_sdwa v180, v174, v178 dst_sel:BYTE_1 dst_unused:UNUSED_PAD src0_sel:BYTE_1 src1_sel:BYTE_1
	v_sub_u16_sdwa v119, v119, v178 dst_sel:BYTE_1 dst_unused:UNUSED_PAD src0_sel:DWORD src1_sel:BYTE_3
	v_sub_u16_sdwa v174, v174, v178 dst_sel:DWORD dst_unused:UNUSED_PAD src0_sel:WORD_1 src1_sel:WORD_1
	v_or_b32_sdwa v179, v179, v180 dst_sel:DWORD dst_unused:UNUSED_PAD src0_sel:BYTE_0 src1_sel:DWORD
	v_or_b32_sdwa v119, v174, v119 dst_sel:WORD_1 dst_unused:UNUSED_PAD src0_sel:BYTE_0 src1_sel:DWORD
	v_add_u32_e32 v174, s26, v130
	v_or_b32_sdwa v178, v179, v119 dst_sel:DWORD dst_unused:UNUSED_PAD src0_sel:WORD_0 src1_sel:DWORD
	v_add3_u32 v119, v144, s22, v118
	ds_read_b32 v174, v174
	ds_read_u16 v119, v119 offset:8194
	v_mov_b32_e32 v180, 0
	v_dot4c_i32_i8_e32 v180, v170, v4
	v_dot4c_i32_i8_e32 v180, v171, v5
	;; [unrolled: 1-line block ×3, first 2 shown]
	s_waitcnt lgkmcnt(0)
	v_lshrrev_b16_e32 v181, 8, v119
	v_bfe_i32 v179, v119, 0, 8
	v_mov_b32_e32 v119, 0
	v_dot4c_i32_i8_e32 v119, v175, v0
	v_dot4c_i32_i8_e32 v119, v176, v1
	;; [unrolled: 1-line block ×5, first 2 shown]
	v_bfe_i32 v181, v181, 0, 8
	v_mul_lo_u32 v180, v180, v179
	v_lshlrev_b32_e32 v206, 2, v206
	v_mad_u64_u32 v[182:183], s[28:29], v119, v181, v[180:181]
	v_cvt_f32_i32_e32 v180, v182
	v_mul_f32_e32 v119, v116, v174
	v_and_b32_e32 v206, 0x4040404, v206
	v_fmac_f32_e32 v105, v119, v180
	v_add_u32_e32 v119, s25, v132
	ds_read2_b32 v[182:183], v119 offset1:1
	s_waitcnt lgkmcnt(0)
	v_ashrrev_i32_e32 v180, s23, v182
	v_and_b32_e32 v182, 0x3030303, v180
	v_bfe_u32 v180, v180, 24, 2
	v_sub_u16_e32 v186, v182, v184
	v_sub_u16_sdwa v187, v182, v184 dst_sel:BYTE_1 dst_unused:UNUSED_PAD src0_sel:BYTE_1 src1_sel:BYTE_1
	v_sub_u16_sdwa v180, v180, v184 dst_sel:BYTE_1 dst_unused:UNUSED_PAD src0_sel:DWORD src1_sel:BYTE_3
	v_sub_u16_sdwa v182, v182, v184 dst_sel:DWORD dst_unused:UNUSED_PAD src0_sel:WORD_1 src1_sel:WORD_1
	v_ashrrev_i32_e32 v184, s19, v185
	v_or_b32_sdwa v180, v182, v180 dst_sel:WORD_1 dst_unused:UNUSED_PAD src0_sel:BYTE_0 src1_sel:DWORD
	v_ashrrev_i32_e32 v182, s23, v183
	v_lshlrev_b32_e32 v184, 2, v184
	v_or_b32_sdwa v186, v186, v187 dst_sel:DWORD dst_unused:UNUSED_PAD src0_sel:BYTE_0 src1_sel:DWORD
	v_and_b32_e32 v183, 0x3030303, v182
	v_bfe_u32 v182, v182, 24, 2
	v_and_b32_e32 v184, 0x4040404, v184
	v_or_b32_sdwa v180, v186, v180 dst_sel:DWORD dst_unused:UNUSED_PAD src0_sel:WORD_0 src1_sel:DWORD
	v_sub_u16_e32 v185, v183, v184
	v_sub_u16_sdwa v186, v183, v184 dst_sel:BYTE_1 dst_unused:UNUSED_PAD src0_sel:BYTE_1 src1_sel:BYTE_1
	v_sub_u16_sdwa v182, v182, v184 dst_sel:BYTE_1 dst_unused:UNUSED_PAD src0_sel:DWORD src1_sel:BYTE_3
	v_sub_u16_sdwa v183, v183, v184 dst_sel:DWORD dst_unused:UNUSED_PAD src0_sel:WORD_1 src1_sel:WORD_1
	v_or_b32_sdwa v185, v185, v186 dst_sel:DWORD dst_unused:UNUSED_PAD src0_sel:BYTE_0 src1_sel:DWORD
	v_or_b32_sdwa v182, v183, v182 dst_sel:WORD_1 dst_unused:UNUSED_PAD src0_sel:BYTE_0 src1_sel:DWORD
	v_add_u32_e32 v186, 0x4208, v190
	v_or_b32_sdwa v182, v185, v182 dst_sel:DWORD dst_unused:UNUSED_PAD src0_sel:WORD_0 src1_sel:DWORD
	ds_read2_b32 v[184:185], v119 offset0:2 offset1:3
	ds_read2_b32 v[186:187], v186 offset1:1
	s_waitcnt lgkmcnt(1)
	v_ashrrev_i32_e32 v183, s23, v184
	s_waitcnt lgkmcnt(0)
	v_ashrrev_i32_e32 v186, s19, v186
	v_lshlrev_b32_e32 v186, 2, v186
	v_and_b32_e32 v184, 0x3030303, v183
	v_bfe_u32 v183, v183, 24, 2
	v_and_b32_e32 v186, 0x4040404, v186
	v_sub_u16_e32 v188, v184, v186
	v_sub_u16_sdwa v189, v184, v186 dst_sel:BYTE_1 dst_unused:UNUSED_PAD src0_sel:BYTE_1 src1_sel:BYTE_1
	v_sub_u16_sdwa v183, v183, v186 dst_sel:BYTE_1 dst_unused:UNUSED_PAD src0_sel:DWORD src1_sel:BYTE_3
	v_sub_u16_sdwa v184, v184, v186 dst_sel:DWORD dst_unused:UNUSED_PAD src0_sel:WORD_1 src1_sel:WORD_1
	v_ashrrev_i32_e32 v186, s19, v187
	v_or_b32_sdwa v183, v184, v183 dst_sel:WORD_1 dst_unused:UNUSED_PAD src0_sel:BYTE_0 src1_sel:DWORD
	v_ashrrev_i32_e32 v184, s23, v185
	v_lshlrev_b32_e32 v186, 2, v186
	v_or_b32_sdwa v188, v188, v189 dst_sel:DWORD dst_unused:UNUSED_PAD src0_sel:BYTE_0 src1_sel:DWORD
	v_and_b32_e32 v185, 0x3030303, v184
	v_bfe_u32 v184, v184, 24, 2
	v_and_b32_e32 v186, 0x4040404, v186
	v_or_b32_sdwa v183, v188, v183 dst_sel:DWORD dst_unused:UNUSED_PAD src0_sel:WORD_0 src1_sel:DWORD
	v_sub_u16_e32 v187, v185, v186
	v_sub_u16_sdwa v188, v185, v186 dst_sel:BYTE_1 dst_unused:UNUSED_PAD src0_sel:BYTE_1 src1_sel:BYTE_1
	v_sub_u16_sdwa v184, v184, v186 dst_sel:BYTE_1 dst_unused:UNUSED_PAD src0_sel:DWORD src1_sel:BYTE_3
	v_sub_u16_sdwa v185, v185, v186 dst_sel:DWORD dst_unused:UNUSED_PAD src0_sel:WORD_1 src1_sel:WORD_1
	v_or_b32_sdwa v187, v187, v188 dst_sel:DWORD dst_unused:UNUSED_PAD src0_sel:BYTE_0 src1_sel:DWORD
	v_or_b32_sdwa v184, v185, v184 dst_sel:WORD_1 dst_unused:UNUSED_PAD src0_sel:BYTE_0 src1_sel:DWORD
	v_add_u32_e32 v188, 0x4210, v190
	v_or_b32_sdwa v184, v187, v184 dst_sel:DWORD dst_unused:UNUSED_PAD src0_sel:WORD_0 src1_sel:DWORD
	ds_read2_b32 v[186:187], v119 offset0:4 offset1:5
	ds_read2_b32 v[188:189], v188 offset1:1
	s_waitcnt lgkmcnt(1)
	v_ashrrev_i32_e32 v185, s23, v186
	s_waitcnt lgkmcnt(0)
	v_ashrrev_i32_e32 v188, s19, v188
	v_lshlrev_b32_e32 v188, 2, v188
	v_and_b32_e32 v186, 0x3030303, v185
	v_bfe_u32 v185, v185, 24, 2
	v_and_b32_e32 v188, 0x4040404, v188
	v_sub_u16_e32 v191, v186, v188
	v_sub_u16_sdwa v192, v186, v188 dst_sel:BYTE_1 dst_unused:UNUSED_PAD src0_sel:BYTE_1 src1_sel:BYTE_1
	v_sub_u16_sdwa v185, v185, v188 dst_sel:BYTE_1 dst_unused:UNUSED_PAD src0_sel:DWORD src1_sel:BYTE_3
	v_sub_u16_sdwa v186, v186, v188 dst_sel:DWORD dst_unused:UNUSED_PAD src0_sel:WORD_1 src1_sel:WORD_1
	v_ashrrev_i32_e32 v188, s19, v189
	v_or_b32_sdwa v185, v186, v185 dst_sel:WORD_1 dst_unused:UNUSED_PAD src0_sel:BYTE_0 src1_sel:DWORD
	v_ashrrev_i32_e32 v186, s23, v187
	v_lshlrev_b32_e32 v188, 2, v188
	v_or_b32_sdwa v191, v191, v192 dst_sel:DWORD dst_unused:UNUSED_PAD src0_sel:BYTE_0 src1_sel:DWORD
	v_and_b32_e32 v187, 0x3030303, v186
	v_bfe_u32 v186, v186, 24, 2
	v_and_b32_e32 v188, 0x4040404, v188
	v_or_b32_sdwa v185, v191, v185 dst_sel:DWORD dst_unused:UNUSED_PAD src0_sel:WORD_0 src1_sel:DWORD
	v_sub_u16_e32 v189, v187, v188
	v_sub_u16_sdwa v191, v187, v188 dst_sel:BYTE_1 dst_unused:UNUSED_PAD src0_sel:BYTE_1 src1_sel:BYTE_1
	v_sub_u16_sdwa v186, v186, v188 dst_sel:BYTE_1 dst_unused:UNUSED_PAD src0_sel:DWORD src1_sel:BYTE_3
	v_sub_u16_sdwa v187, v187, v188 dst_sel:DWORD dst_unused:UNUSED_PAD src0_sel:WORD_1 src1_sel:WORD_1
	v_or_b32_sdwa v189, v189, v191 dst_sel:DWORD dst_unused:UNUSED_PAD src0_sel:BYTE_0 src1_sel:DWORD
	v_or_b32_sdwa v186, v187, v186 dst_sel:WORD_1 dst_unused:UNUSED_PAD src0_sel:BYTE_0 src1_sel:DWORD
	s_nop 0
	v_or_b32_sdwa v187, v189, v186 dst_sel:DWORD dst_unused:UNUSED_PAD src0_sel:WORD_0 src1_sel:DWORD
	ds_read2_b32 v[188:189], v119 offset0:6 offset1:7
	s_waitcnt lgkmcnt(0)
	v_ashrrev_i32_e32 v119, s23, v188
	v_add_u32_e32 v188, 0x4218, v190
	ds_read2_b32 v[190:191], v188 offset1:1
	v_and_b32_e32 v186, 0x3030303, v119
	v_bfe_u32 v119, v119, 24, 2
	s_waitcnt lgkmcnt(0)
	v_ashrrev_i32_e32 v188, s19, v190
	v_lshlrev_b32_e32 v188, 2, v188
	v_and_b32_e32 v188, 0x4040404, v188
	v_sub_u16_e32 v190, v186, v188
	v_sub_u16_sdwa v192, v186, v188 dst_sel:BYTE_1 dst_unused:UNUSED_PAD src0_sel:BYTE_1 src1_sel:BYTE_1
	v_sub_u16_sdwa v119, v119, v188 dst_sel:BYTE_1 dst_unused:UNUSED_PAD src0_sel:DWORD src1_sel:BYTE_3
	v_sub_u16_sdwa v186, v186, v188 dst_sel:DWORD dst_unused:UNUSED_PAD src0_sel:WORD_1 src1_sel:WORD_1
	v_or_b32_sdwa v190, v190, v192 dst_sel:DWORD dst_unused:UNUSED_PAD src0_sel:BYTE_0 src1_sel:DWORD
	v_or_b32_sdwa v119, v186, v119 dst_sel:WORD_1 dst_unused:UNUSED_PAD src0_sel:BYTE_0 src1_sel:DWORD
	s_nop 0
	v_or_b32_sdwa v188, v190, v119 dst_sel:DWORD dst_unused:UNUSED_PAD src0_sel:WORD_0 src1_sel:DWORD
	v_ashrrev_i32_e32 v119, s23, v189
	v_ashrrev_i32_e32 v189, s19, v191
	v_lshlrev_b32_e32 v189, 2, v189
	v_and_b32_e32 v186, 0x3030303, v119
	v_bfe_u32 v119, v119, 24, 2
	v_and_b32_e32 v189, 0x4040404, v189
	v_sub_u16_e32 v190, v186, v189
	v_sub_u16_sdwa v191, v186, v189 dst_sel:BYTE_1 dst_unused:UNUSED_PAD src0_sel:BYTE_1 src1_sel:BYTE_1
	v_sub_u16_sdwa v119, v119, v189 dst_sel:BYTE_1 dst_unused:UNUSED_PAD src0_sel:DWORD src1_sel:BYTE_3
	v_sub_u16_sdwa v186, v186, v189 dst_sel:DWORD dst_unused:UNUSED_PAD src0_sel:WORD_1 src1_sel:WORD_1
	v_or_b32_sdwa v190, v190, v191 dst_sel:DWORD dst_unused:UNUSED_PAD src0_sel:BYTE_0 src1_sel:DWORD
	v_or_b32_sdwa v119, v186, v119 dst_sel:WORD_1 dst_unused:UNUSED_PAD src0_sel:BYTE_0 src1_sel:DWORD
	v_add_u32_e32 v186, s26, v133
	v_or_b32_sdwa v189, v190, v119 dst_sel:DWORD dst_unused:UNUSED_PAD src0_sel:WORD_0 src1_sel:DWORD
	v_add3_u32 v119, v146, s22, v118
	ds_read_b32 v186, v186
	ds_read_u16 v119, v119 offset:9218
	v_mov_b32_e32 v191, 0
	v_dot4c_i32_i8_e32 v191, v180, v4
	v_dot4c_i32_i8_e32 v191, v182, v5
	;; [unrolled: 1-line block ×3, first 2 shown]
	s_waitcnt lgkmcnt(0)
	v_lshrrev_b16_e32 v192, 8, v119
	v_bfe_i32 v190, v119, 0, 8
	v_mov_b32_e32 v119, 0
	v_dot4c_i32_i8_e32 v119, v185, v0
	v_dot4c_i32_i8_e32 v119, v187, v1
	;; [unrolled: 1-line block ×5, first 2 shown]
	v_bfe_i32 v192, v192, 0, 8
	v_mul_lo_u32 v194, v191, v190
	s_nop 0
	v_mad_u64_u32 v[194:195], s[28:29], v119, v192, v[194:195]
	v_cvt_f32_i32_e32 v191, v194
	v_mul_f32_e32 v119, v116, v186
	v_fmac_f32_e32 v89, v119, v191
	v_add_u32_e32 v119, s25, v135
	ds_read2_b32 v[194:195], v119 offset1:1
	s_waitcnt lgkmcnt(0)
	v_ashrrev_i32_e32 v191, s23, v194
	v_add_u32_e32 v194, 0x4200, v202
	ds_read2_b32 v[196:197], v194 offset1:1
	v_and_b32_e32 v193, 0x3030303, v191
	v_bfe_u32 v191, v191, 24, 2
	s_waitcnt lgkmcnt(0)
	v_ashrrev_i32_e32 v194, s19, v196
	v_lshlrev_b32_e32 v194, 2, v194
	v_and_b32_e32 v194, 0x4040404, v194
	v_sub_u16_e32 v196, v193, v194
	v_sub_u16_sdwa v198, v193, v194 dst_sel:BYTE_1 dst_unused:UNUSED_PAD src0_sel:BYTE_1 src1_sel:BYTE_1
	v_sub_u16_sdwa v191, v191, v194 dst_sel:BYTE_1 dst_unused:UNUSED_PAD src0_sel:DWORD src1_sel:BYTE_3
	v_sub_u16_sdwa v193, v193, v194 dst_sel:DWORD dst_unused:UNUSED_PAD src0_sel:WORD_1 src1_sel:WORD_1
	v_or_b32_sdwa v191, v193, v191 dst_sel:WORD_1 dst_unused:UNUSED_PAD src0_sel:BYTE_0 src1_sel:DWORD
	v_ashrrev_i32_e32 v193, s23, v195
	v_ashrrev_i32_e32 v195, s19, v197
	v_lshlrev_b32_e32 v195, 2, v195
	v_or_b32_sdwa v196, v196, v198 dst_sel:DWORD dst_unused:UNUSED_PAD src0_sel:BYTE_0 src1_sel:DWORD
	v_and_b32_e32 v194, 0x3030303, v193
	v_bfe_u32 v193, v193, 24, 2
	v_and_b32_e32 v195, 0x4040404, v195
	v_or_b32_sdwa v191, v196, v191 dst_sel:DWORD dst_unused:UNUSED_PAD src0_sel:WORD_0 src1_sel:DWORD
	v_sub_u16_e32 v196, v194, v195
	v_sub_u16_sdwa v197, v194, v195 dst_sel:BYTE_1 dst_unused:UNUSED_PAD src0_sel:BYTE_1 src1_sel:BYTE_1
	v_sub_u16_sdwa v193, v193, v195 dst_sel:BYTE_1 dst_unused:UNUSED_PAD src0_sel:DWORD src1_sel:BYTE_3
	v_sub_u16_sdwa v194, v194, v195 dst_sel:DWORD dst_unused:UNUSED_PAD src0_sel:WORD_1 src1_sel:WORD_1
	v_or_b32_sdwa v196, v196, v197 dst_sel:DWORD dst_unused:UNUSED_PAD src0_sel:BYTE_0 src1_sel:DWORD
	v_or_b32_sdwa v193, v194, v193 dst_sel:WORD_1 dst_unused:UNUSED_PAD src0_sel:BYTE_0 src1_sel:DWORD
	ds_read2_b32 v[194:195], v119 offset0:2 offset1:3
	v_or_b32_sdwa v193, v196, v193 dst_sel:DWORD dst_unused:UNUSED_PAD src0_sel:WORD_0 src1_sel:DWORD
	v_add_u32_e32 v196, 0x4208, v202
	ds_read2_b32 v[196:197], v196 offset1:1
	s_waitcnt lgkmcnt(1)
	v_ashrrev_i32_e32 v194, s23, v194
	v_and_b32_e32 v198, 0x3030303, v194
	v_bfe_u32 v194, v194, 24, 2
	s_waitcnt lgkmcnt(0)
	v_ashrrev_i32_e32 v196, s19, v196
	v_lshlrev_b32_e32 v196, 2, v196
	v_and_b32_e32 v196, 0x4040404, v196
	v_ashrrev_i32_e32 v197, s19, v197
	v_sub_u16_e32 v199, v198, v196
	v_sub_u16_sdwa v200, v198, v196 dst_sel:BYTE_1 dst_unused:UNUSED_PAD src0_sel:BYTE_1 src1_sel:BYTE_1
	v_sub_u16_sdwa v194, v194, v196 dst_sel:BYTE_1 dst_unused:UNUSED_PAD src0_sel:DWORD src1_sel:BYTE_3
	v_sub_u16_sdwa v196, v198, v196 dst_sel:DWORD dst_unused:UNUSED_PAD src0_sel:WORD_1 src1_sel:WORD_1
	v_ashrrev_i32_e32 v195, s23, v195
	v_lshlrev_b32_e32 v197, 2, v197
	v_or_b32_sdwa v199, v199, v200 dst_sel:DWORD dst_unused:UNUSED_PAD src0_sel:BYTE_0 src1_sel:DWORD
	v_or_b32_sdwa v194, v196, v194 dst_sel:WORD_1 dst_unused:UNUSED_PAD src0_sel:BYTE_0 src1_sel:DWORD
	v_and_b32_e32 v196, 0x3030303, v195
	v_bfe_u32 v195, v195, 24, 2
	v_and_b32_e32 v197, 0x4040404, v197
	v_or_b32_sdwa v194, v199, v194 dst_sel:DWORD dst_unused:UNUSED_PAD src0_sel:WORD_0 src1_sel:DWORD
	v_sub_u16_e32 v198, v196, v197
	v_sub_u16_sdwa v199, v196, v197 dst_sel:BYTE_1 dst_unused:UNUSED_PAD src0_sel:BYTE_1 src1_sel:BYTE_1
	v_sub_u16_sdwa v195, v195, v197 dst_sel:BYTE_1 dst_unused:UNUSED_PAD src0_sel:DWORD src1_sel:BYTE_3
	v_sub_u16_sdwa v196, v196, v197 dst_sel:DWORD dst_unused:UNUSED_PAD src0_sel:WORD_1 src1_sel:WORD_1
	v_or_b32_sdwa v198, v198, v199 dst_sel:DWORD dst_unused:UNUSED_PAD src0_sel:BYTE_0 src1_sel:DWORD
	v_or_b32_sdwa v195, v196, v195 dst_sel:WORD_1 dst_unused:UNUSED_PAD src0_sel:BYTE_0 src1_sel:DWORD
	ds_read2_b32 v[196:197], v119 offset0:4 offset1:5
	v_or_b32_sdwa v195, v198, v195 dst_sel:DWORD dst_unused:UNUSED_PAD src0_sel:WORD_0 src1_sel:DWORD
	v_add_u32_e32 v198, 0x4210, v202
	ds_read2_b32 v[198:199], v198 offset1:1
	s_waitcnt lgkmcnt(1)
	v_ashrrev_i32_e32 v196, s23, v196
	v_and_b32_e32 v200, 0x3030303, v196
	v_bfe_u32 v196, v196, 24, 2
	s_waitcnt lgkmcnt(0)
	v_ashrrev_i32_e32 v198, s19, v198
	v_lshlrev_b32_e32 v198, 2, v198
	v_and_b32_e32 v198, 0x4040404, v198
	v_ashrrev_i32_e32 v199, s19, v199
	v_sub_u16_e32 v201, v200, v198
	v_sub_u16_sdwa v203, v200, v198 dst_sel:BYTE_1 dst_unused:UNUSED_PAD src0_sel:BYTE_1 src1_sel:BYTE_1
	v_sub_u16_sdwa v196, v196, v198 dst_sel:BYTE_1 dst_unused:UNUSED_PAD src0_sel:DWORD src1_sel:BYTE_3
	v_sub_u16_sdwa v198, v200, v198 dst_sel:DWORD dst_unused:UNUSED_PAD src0_sel:WORD_1 src1_sel:WORD_1
	v_ashrrev_i32_e32 v197, s23, v197
	v_lshlrev_b32_e32 v199, 2, v199
	v_or_b32_sdwa v201, v201, v203 dst_sel:DWORD dst_unused:UNUSED_PAD src0_sel:BYTE_0 src1_sel:DWORD
	v_or_b32_sdwa v196, v198, v196 dst_sel:WORD_1 dst_unused:UNUSED_PAD src0_sel:BYTE_0 src1_sel:DWORD
	v_and_b32_e32 v198, 0x3030303, v197
	v_bfe_u32 v197, v197, 24, 2
	v_and_b32_e32 v199, 0x4040404, v199
	v_or_b32_sdwa v196, v201, v196 dst_sel:DWORD dst_unused:UNUSED_PAD src0_sel:WORD_0 src1_sel:DWORD
	v_sub_u16_e32 v200, v198, v199
	v_sub_u16_sdwa v201, v198, v199 dst_sel:BYTE_1 dst_unused:UNUSED_PAD src0_sel:BYTE_1 src1_sel:BYTE_1
	v_sub_u16_sdwa v197, v197, v199 dst_sel:BYTE_1 dst_unused:UNUSED_PAD src0_sel:DWORD src1_sel:BYTE_3
	v_sub_u16_sdwa v198, v198, v199 dst_sel:DWORD dst_unused:UNUSED_PAD src0_sel:WORD_1 src1_sel:WORD_1
	v_or_b32_sdwa v200, v200, v201 dst_sel:DWORD dst_unused:UNUSED_PAD src0_sel:BYTE_0 src1_sel:DWORD
	v_or_b32_sdwa v197, v198, v197 dst_sel:WORD_1 dst_unused:UNUSED_PAD src0_sel:BYTE_0 src1_sel:DWORD
	v_add_u32_e32 v199, 0x4218, v202
	v_or_b32_sdwa v198, v200, v197 dst_sel:DWORD dst_unused:UNUSED_PAD src0_sel:WORD_0 src1_sel:DWORD
	ds_read2_b32 v[200:201], v119 offset0:6 offset1:7
	ds_read2_b32 v[202:203], v199 offset1:1
	s_waitcnt lgkmcnt(1)
	v_ashrrev_i32_e32 v119, s23, v200
	s_waitcnt lgkmcnt(0)
	v_ashrrev_i32_e32 v199, s19, v202
	v_lshlrev_b32_e32 v199, 2, v199
	v_and_b32_e32 v197, 0x3030303, v119
	v_bfe_u32 v119, v119, 24, 2
	v_and_b32_e32 v199, 0x4040404, v199
	v_sub_u16_e32 v200, v197, v199
	v_sub_u16_sdwa v202, v197, v199 dst_sel:BYTE_1 dst_unused:UNUSED_PAD src0_sel:BYTE_1 src1_sel:BYTE_1
	v_sub_u16_sdwa v119, v119, v199 dst_sel:BYTE_1 dst_unused:UNUSED_PAD src0_sel:DWORD src1_sel:BYTE_3
	v_sub_u16_sdwa v197, v197, v199 dst_sel:DWORD dst_unused:UNUSED_PAD src0_sel:WORD_1 src1_sel:WORD_1
	v_or_b32_sdwa v200, v200, v202 dst_sel:DWORD dst_unused:UNUSED_PAD src0_sel:BYTE_0 src1_sel:DWORD
	v_or_b32_sdwa v119, v197, v119 dst_sel:WORD_1 dst_unused:UNUSED_PAD src0_sel:BYTE_0 src1_sel:DWORD
	s_nop 0
	v_or_b32_sdwa v199, v200, v119 dst_sel:DWORD dst_unused:UNUSED_PAD src0_sel:WORD_0 src1_sel:DWORD
	v_ashrrev_i32_e32 v200, s19, v203
	v_ashrrev_i32_e32 v119, s23, v201
	v_lshlrev_b32_e32 v200, 2, v200
	v_and_b32_e32 v197, 0x3030303, v119
	v_bfe_u32 v119, v119, 24, 2
	v_and_b32_e32 v200, 0x4040404, v200
	v_sub_u16_e32 v201, v197, v200
	v_sub_u16_sdwa v202, v197, v200 dst_sel:BYTE_1 dst_unused:UNUSED_PAD src0_sel:BYTE_1 src1_sel:BYTE_1
	v_sub_u16_sdwa v119, v119, v200 dst_sel:BYTE_1 dst_unused:UNUSED_PAD src0_sel:DWORD src1_sel:BYTE_3
	v_sub_u16_sdwa v197, v197, v200 dst_sel:DWORD dst_unused:UNUSED_PAD src0_sel:WORD_1 src1_sel:WORD_1
	v_or_b32_sdwa v201, v201, v202 dst_sel:DWORD dst_unused:UNUSED_PAD src0_sel:BYTE_0 src1_sel:DWORD
	v_or_b32_sdwa v119, v197, v119 dst_sel:WORD_1 dst_unused:UNUSED_PAD src0_sel:BYTE_0 src1_sel:DWORD
	v_add_u32_e32 v197, s26, v136
	v_or_b32_sdwa v200, v201, v119 dst_sel:DWORD dst_unused:UNUSED_PAD src0_sel:WORD_0 src1_sel:DWORD
	v_add3_u32 v119, v148, s22, v118
	ds_read_b32 v197, v197
	ds_read_u16 v119, v119 offset:10242
	v_mov_b32_e32 v202, 0
	v_dot4c_i32_i8_e32 v202, v191, v4
	v_dot4c_i32_i8_e32 v202, v193, v5
	;; [unrolled: 1-line block ×3, first 2 shown]
	s_waitcnt lgkmcnt(0)
	v_lshrrev_b16_e32 v203, 8, v119
	v_bfe_i32 v201, v119, 0, 8
	v_mov_b32_e32 v119, 0
	v_dot4c_i32_i8_e32 v119, v196, v0
	v_dot4c_i32_i8_e32 v119, v198, v1
	;; [unrolled: 1-line block ×5, first 2 shown]
	v_bfe_i32 v203, v203, 0, 8
	v_mul_lo_u32 v202, v202, v201
	v_add3_u32 v118, v150, s22, v118
	v_mad_u64_u32 v[204:205], s[28:29], v119, v203, v[202:203]
	v_cvt_f32_i32_e32 v202, v204
	v_mul_f32_e32 v119, v116, v197
	v_fmac_f32_e32 v85, v119, v202
	v_add_u32_e32 v119, s25, v138
	ds_read2_b32 v[204:205], v119 offset1:1
	s_waitcnt lgkmcnt(0)
	v_ashrrev_i32_e32 v202, s23, v204
	v_and_b32_e32 v204, 0x3030303, v202
	v_bfe_u32 v202, v202, 24, 2
	v_sub_u16_e32 v208, v204, v206
	v_sub_u16_sdwa v209, v204, v206 dst_sel:BYTE_1 dst_unused:UNUSED_PAD src0_sel:BYTE_1 src1_sel:BYTE_1
	v_sub_u16_sdwa v202, v202, v206 dst_sel:BYTE_1 dst_unused:UNUSED_PAD src0_sel:DWORD src1_sel:BYTE_3
	v_sub_u16_sdwa v204, v204, v206 dst_sel:DWORD dst_unused:UNUSED_PAD src0_sel:WORD_1 src1_sel:WORD_1
	v_ashrrev_i32_e32 v206, s19, v207
	v_or_b32_sdwa v202, v204, v202 dst_sel:WORD_1 dst_unused:UNUSED_PAD src0_sel:BYTE_0 src1_sel:DWORD
	v_ashrrev_i32_e32 v204, s23, v205
	v_lshlrev_b32_e32 v206, 2, v206
	v_or_b32_sdwa v208, v208, v209 dst_sel:DWORD dst_unused:UNUSED_PAD src0_sel:BYTE_0 src1_sel:DWORD
	v_and_b32_e32 v205, 0x3030303, v204
	v_bfe_u32 v204, v204, 24, 2
	v_and_b32_e32 v206, 0x4040404, v206
	v_or_b32_sdwa v202, v208, v202 dst_sel:DWORD dst_unused:UNUSED_PAD src0_sel:WORD_0 src1_sel:DWORD
	v_sub_u16_e32 v207, v205, v206
	v_sub_u16_sdwa v208, v205, v206 dst_sel:BYTE_1 dst_unused:UNUSED_PAD src0_sel:BYTE_1 src1_sel:BYTE_1
	v_sub_u16_sdwa v204, v204, v206 dst_sel:BYTE_1 dst_unused:UNUSED_PAD src0_sel:DWORD src1_sel:BYTE_3
	v_sub_u16_sdwa v205, v205, v206 dst_sel:DWORD dst_unused:UNUSED_PAD src0_sel:WORD_1 src1_sel:WORD_1
	v_or_b32_sdwa v207, v207, v208 dst_sel:DWORD dst_unused:UNUSED_PAD src0_sel:BYTE_0 src1_sel:DWORD
	v_or_b32_sdwa v204, v205, v204 dst_sel:WORD_1 dst_unused:UNUSED_PAD src0_sel:BYTE_0 src1_sel:DWORD
	v_add_u32_e32 v208, 0x4208, v212
	v_or_b32_sdwa v204, v207, v204 dst_sel:DWORD dst_unused:UNUSED_PAD src0_sel:WORD_0 src1_sel:DWORD
	ds_read2_b32 v[206:207], v119 offset0:2 offset1:3
	ds_read2_b32 v[208:209], v208 offset1:1
	s_waitcnt lgkmcnt(1)
	v_ashrrev_i32_e32 v205, s23, v206
	s_waitcnt lgkmcnt(0)
	v_ashrrev_i32_e32 v208, s19, v208
	v_lshlrev_b32_e32 v208, 2, v208
	v_and_b32_e32 v206, 0x3030303, v205
	v_bfe_u32 v205, v205, 24, 2
	v_and_b32_e32 v208, 0x4040404, v208
	v_sub_u16_e32 v210, v206, v208
	v_sub_u16_sdwa v211, v206, v208 dst_sel:BYTE_1 dst_unused:UNUSED_PAD src0_sel:BYTE_1 src1_sel:BYTE_1
	v_sub_u16_sdwa v205, v205, v208 dst_sel:BYTE_1 dst_unused:UNUSED_PAD src0_sel:DWORD src1_sel:BYTE_3
	v_sub_u16_sdwa v206, v206, v208 dst_sel:DWORD dst_unused:UNUSED_PAD src0_sel:WORD_1 src1_sel:WORD_1
	v_ashrrev_i32_e32 v208, s19, v209
	v_or_b32_sdwa v205, v206, v205 dst_sel:WORD_1 dst_unused:UNUSED_PAD src0_sel:BYTE_0 src1_sel:DWORD
	v_ashrrev_i32_e32 v206, s23, v207
	v_lshlrev_b32_e32 v208, 2, v208
	v_or_b32_sdwa v210, v210, v211 dst_sel:DWORD dst_unused:UNUSED_PAD src0_sel:BYTE_0 src1_sel:DWORD
	v_and_b32_e32 v207, 0x3030303, v206
	v_bfe_u32 v206, v206, 24, 2
	v_and_b32_e32 v208, 0x4040404, v208
	v_or_b32_sdwa v205, v210, v205 dst_sel:DWORD dst_unused:UNUSED_PAD src0_sel:WORD_0 src1_sel:DWORD
	v_sub_u16_e32 v209, v207, v208
	v_sub_u16_sdwa v210, v207, v208 dst_sel:BYTE_1 dst_unused:UNUSED_PAD src0_sel:BYTE_1 src1_sel:BYTE_1
	v_sub_u16_sdwa v206, v206, v208 dst_sel:BYTE_1 dst_unused:UNUSED_PAD src0_sel:DWORD src1_sel:BYTE_3
	v_sub_u16_sdwa v207, v207, v208 dst_sel:DWORD dst_unused:UNUSED_PAD src0_sel:WORD_1 src1_sel:WORD_1
	v_or_b32_sdwa v209, v209, v210 dst_sel:DWORD dst_unused:UNUSED_PAD src0_sel:BYTE_0 src1_sel:DWORD
	v_or_b32_sdwa v206, v207, v206 dst_sel:WORD_1 dst_unused:UNUSED_PAD src0_sel:BYTE_0 src1_sel:DWORD
	v_add_u32_e32 v210, 0x4210, v212
	v_or_b32_sdwa v206, v209, v206 dst_sel:DWORD dst_unused:UNUSED_PAD src0_sel:WORD_0 src1_sel:DWORD
	ds_read2_b32 v[208:209], v119 offset0:4 offset1:5
	ds_read2_b32 v[210:211], v210 offset1:1
	s_waitcnt lgkmcnt(1)
	v_ashrrev_i32_e32 v207, s23, v208
	s_waitcnt lgkmcnt(0)
	v_ashrrev_i32_e32 v210, s19, v210
	v_lshlrev_b32_e32 v210, 2, v210
	v_and_b32_e32 v208, 0x3030303, v207
	v_bfe_u32 v207, v207, 24, 2
	v_and_b32_e32 v210, 0x4040404, v210
	v_sub_u16_e32 v213, v208, v210
	v_sub_u16_sdwa v214, v208, v210 dst_sel:BYTE_1 dst_unused:UNUSED_PAD src0_sel:BYTE_1 src1_sel:BYTE_1
	v_sub_u16_sdwa v207, v207, v210 dst_sel:BYTE_1 dst_unused:UNUSED_PAD src0_sel:DWORD src1_sel:BYTE_3
	v_sub_u16_sdwa v208, v208, v210 dst_sel:DWORD dst_unused:UNUSED_PAD src0_sel:WORD_1 src1_sel:WORD_1
	v_ashrrev_i32_e32 v210, s19, v211
	v_or_b32_sdwa v207, v208, v207 dst_sel:WORD_1 dst_unused:UNUSED_PAD src0_sel:BYTE_0 src1_sel:DWORD
	v_ashrrev_i32_e32 v208, s23, v209
	v_lshlrev_b32_e32 v210, 2, v210
	v_or_b32_sdwa v213, v213, v214 dst_sel:DWORD dst_unused:UNUSED_PAD src0_sel:BYTE_0 src1_sel:DWORD
	v_and_b32_e32 v209, 0x3030303, v208
	v_bfe_u32 v208, v208, 24, 2
	v_and_b32_e32 v210, 0x4040404, v210
	v_or_b32_sdwa v207, v213, v207 dst_sel:DWORD dst_unused:UNUSED_PAD src0_sel:WORD_0 src1_sel:DWORD
	v_sub_u16_e32 v211, v209, v210
	v_sub_u16_sdwa v213, v209, v210 dst_sel:BYTE_1 dst_unused:UNUSED_PAD src0_sel:BYTE_1 src1_sel:BYTE_1
	v_sub_u16_sdwa v208, v208, v210 dst_sel:BYTE_1 dst_unused:UNUSED_PAD src0_sel:DWORD src1_sel:BYTE_3
	v_sub_u16_sdwa v209, v209, v210 dst_sel:DWORD dst_unused:UNUSED_PAD src0_sel:WORD_1 src1_sel:WORD_1
	v_or_b32_sdwa v211, v211, v213 dst_sel:DWORD dst_unused:UNUSED_PAD src0_sel:BYTE_0 src1_sel:DWORD
	v_or_b32_sdwa v208, v209, v208 dst_sel:WORD_1 dst_unused:UNUSED_PAD src0_sel:BYTE_0 src1_sel:DWORD
	s_nop 0
	v_or_b32_sdwa v209, v211, v208 dst_sel:DWORD dst_unused:UNUSED_PAD src0_sel:WORD_0 src1_sel:DWORD
	ds_read2_b32 v[210:211], v119 offset0:6 offset1:7
	s_waitcnt lgkmcnt(0)
	v_ashrrev_i32_e32 v119, s23, v210
	v_add_u32_e32 v210, 0x4218, v212
	ds_read2_b32 v[212:213], v210 offset1:1
	v_and_b32_e32 v208, 0x3030303, v119
	v_bfe_u32 v119, v119, 24, 2
	s_waitcnt lgkmcnt(0)
	v_ashrrev_i32_e32 v210, s19, v212
	v_lshlrev_b32_e32 v210, 2, v210
	v_and_b32_e32 v210, 0x4040404, v210
	v_sub_u16_e32 v212, v208, v210
	v_sub_u16_sdwa v214, v208, v210 dst_sel:BYTE_1 dst_unused:UNUSED_PAD src0_sel:BYTE_1 src1_sel:BYTE_1
	v_sub_u16_sdwa v119, v119, v210 dst_sel:BYTE_1 dst_unused:UNUSED_PAD src0_sel:DWORD src1_sel:BYTE_3
	v_sub_u16_sdwa v208, v208, v210 dst_sel:DWORD dst_unused:UNUSED_PAD src0_sel:WORD_1 src1_sel:WORD_1
	v_or_b32_sdwa v212, v212, v214 dst_sel:DWORD dst_unused:UNUSED_PAD src0_sel:BYTE_0 src1_sel:DWORD
	v_or_b32_sdwa v119, v208, v119 dst_sel:WORD_1 dst_unused:UNUSED_PAD src0_sel:BYTE_0 src1_sel:DWORD
	s_nop 0
	v_or_b32_sdwa v210, v212, v119 dst_sel:DWORD dst_unused:UNUSED_PAD src0_sel:WORD_0 src1_sel:DWORD
	v_ashrrev_i32_e32 v119, s23, v211
	v_ashrrev_i32_e32 v211, s19, v213
	v_lshlrev_b32_e32 v211, 2, v211
	v_and_b32_e32 v208, 0x3030303, v119
	v_bfe_u32 v119, v119, 24, 2
	v_and_b32_e32 v211, 0x4040404, v211
	v_sub_u16_e32 v212, v208, v211
	v_sub_u16_sdwa v213, v208, v211 dst_sel:BYTE_1 dst_unused:UNUSED_PAD src0_sel:BYTE_1 src1_sel:BYTE_1
	v_sub_u16_sdwa v119, v119, v211 dst_sel:BYTE_1 dst_unused:UNUSED_PAD src0_sel:DWORD src1_sel:BYTE_3
	v_sub_u16_sdwa v208, v208, v211 dst_sel:DWORD dst_unused:UNUSED_PAD src0_sel:WORD_1 src1_sel:WORD_1
	v_or_b32_sdwa v212, v212, v213 dst_sel:DWORD dst_unused:UNUSED_PAD src0_sel:BYTE_0 src1_sel:DWORD
	v_or_b32_sdwa v119, v208, v119 dst_sel:WORD_1 dst_unused:UNUSED_PAD src0_sel:BYTE_0 src1_sel:DWORD
	s_add_i32 s19, s19, 1
	v_or_b32_sdwa v211, v212, v119 dst_sel:DWORD dst_unused:UNUSED_PAD src0_sel:WORD_0 src1_sel:DWORD
	v_add_u32_e32 v119, s26, v139
	ds_read_b32 v208, v119
	v_mov_b32_e32 v119, 0
	v_dot4c_i32_i8_e32 v119, v202, v4
	ds_read_u16 v4, v118 offset:11266
	v_dot4c_i32_i8_e32 v119, v204, v5
	v_dot4c_i32_i8_e32 v119, v205, v6
	v_mov_b32_e32 v6, 0
	v_dot4c_i32_i8_e32 v6, v207, v0
	v_dot4c_i32_i8_e32 v6, v209, v1
	;; [unrolled: 1-line block ×3, first 2 shown]
	s_waitcnt lgkmcnt(0)
	v_lshrrev_b16_e32 v5, 8, v4
	v_bfe_i32 v212, v4, 0, 8
	v_dot4c_i32_i8_e32 v6, v210, v2
	v_mul_lo_u32 v4, v119, v212
	v_dot4c_i32_i8_e32 v6, v211, v3
	v_bfe_i32 v213, v5, 0, 8
	v_mov_b32_e32 v118, 0
	s_cmp_lt_u32 s21, 14
	v_mad_u64_u32 v[0:1], s[22:23], v6, v213, v[4:5]
	v_cvt_f32_i32_e32 v0, v0
	v_mul_f32_e32 v1, v116, v208
	v_mov_b32_e32 v116, 0
	v_fmac_f32_e32 v81, v1, v0
	ds_read_b128 v[0:3], v168 offset:26368
	ds_read_b128 v[4:7], v168 offset:26384
	s_waitcnt lgkmcnt(1)
	v_dot4c_i32_i8_e32 v116, v170, v0
	v_dot4c_i32_i8_e32 v116, v171, v1
	s_waitcnt lgkmcnt(0)
	v_dot4c_i32_i8_e32 v118, v175, v4
	v_dot4c_i32_i8_e32 v116, v172, v2
	;; [unrolled: 1-line block ×6, first 2 shown]
	s_nop 0
	v_mul_lo_u32 v116, v116, v179
	s_nop 0
	v_mad_u64_u32 v[118:119], s[22:23], v118, v181, v[116:117]
	v_cvt_f32_i32_e32 v118, v118
	v_mul_f32_e32 v116, v174, v117
	v_fmac_f32_e32 v79, v116, v118
	v_mov_b32_e32 v116, 0
	v_dot4c_i32_i8_e32 v116, v180, v0
	v_mov_b32_e32 v118, 0
	v_dot4c_i32_i8_e32 v116, v182, v1
	v_dot4c_i32_i8_e32 v118, v185, v4
	;; [unrolled: 1-line block ×7, first 2 shown]
	s_nop 0
	v_mul_lo_u32 v116, v116, v190
	s_nop 0
	v_mad_u64_u32 v[118:119], s[22:23], v118, v192, v[116:117]
	v_cvt_f32_i32_e32 v118, v118
	v_mul_f32_e32 v116, v186, v117
	v_fmac_f32_e32 v73, v116, v118
	v_mov_b32_e32 v116, 0
	v_dot4c_i32_i8_e32 v116, v191, v0
	v_mov_b32_e32 v118, 0
	v_dot4c_i32_i8_e32 v116, v193, v1
	v_dot4c_i32_i8_e32 v118, v196, v4
	;; [unrolled: 1-line block ×7, first 2 shown]
	s_nop 0
	v_mul_lo_u32 v116, v116, v201
	s_nop 0
	v_mad_u64_u32 v[118:119], s[22:23], v118, v203, v[116:117]
	v_cvt_f32_i32_e32 v118, v118
	v_mul_f32_e32 v116, v197, v117
	v_fmac_f32_e32 v69, v116, v118
	v_mov_b32_e32 v116, 0
	v_dot4c_i32_i8_e32 v116, v202, v0
	v_dot4c_i32_i8_e32 v116, v204, v1
	v_mov_b32_e32 v1, 0
	v_dot4c_i32_i8_e32 v1, v207, v4
	v_dot4c_i32_i8_e32 v116, v205, v2
	;; [unrolled: 1-line block ×6, first 2 shown]
	s_nop 0
	v_mul_lo_u32 v0, v116, v212
	s_nop 0
	v_mad_u64_u32 v[0:1], s[22:23], v1, v213, v[0:1]
	v_cvt_f32_i32_e32 v0, v0
	v_mul_f32_e32 v1, v208, v117
	v_fmac_f32_e32 v67, v1, v0
	v_add_u32_e32 v0, 0x9800, v169
	ds_read2_b32 v[6:7], v0 offset0:40 offset1:72
	ds_read_b128 v[2:5], v168 offset:27392
	ds_read_b128 v[116:119], v168 offset:27408
	v_mov_b32_e32 v1, 0
	v_add_u32_e32 v169, 4, v169
	s_waitcnt lgkmcnt(1)
	v_dot4c_i32_i8_e32 v1, v170, v2
	v_dot4c_i32_i8_e32 v1, v171, v3
	;; [unrolled: 1-line block ×4, first 2 shown]
	s_nop 2
	v_mul_lo_u32 v214, v1, v179
	v_mov_b32_e32 v1, 0
	s_waitcnt lgkmcnt(0)
	v_dot4c_i32_i8_e32 v1, v175, v116
	v_dot4c_i32_i8_e32 v1, v176, v117
	;; [unrolled: 1-line block ×4, first 2 shown]
	s_nop 2
	v_mad_u64_u32 v[214:215], s[22:23], v1, v181, v[214:215]
	v_cvt_f32_i32_e32 v214, v214
	v_mul_f32_e32 v1, v174, v6
                                        ; kill: def $vgpr215 killed $sgpr0 killed $exec
	v_fmac_f32_e32 v65, v1, v214
	v_mov_b32_e32 v1, 0
	v_dot4c_i32_i8_e32 v1, v180, v2
	v_dot4c_i32_i8_e32 v1, v182, v3
	v_dot4c_i32_i8_e32 v1, v183, v4
	v_dot4c_i32_i8_e32 v1, v184, v5
	s_nop 2
	v_mul_lo_u32 v214, v1, v190
	v_mov_b32_e32 v1, 0
	v_dot4c_i32_i8_e32 v1, v185, v116
	v_dot4c_i32_i8_e32 v1, v187, v117
	;; [unrolled: 1-line block ×4, first 2 shown]
	s_nop 2
	v_mad_u64_u32 v[214:215], s[22:23], v1, v192, v[214:215]
	v_cvt_f32_i32_e32 v214, v214
	v_mul_f32_e32 v1, v186, v6
                                        ; kill: def $vgpr215 killed $sgpr0 killed $exec
	v_fmac_f32_e32 v63, v1, v214
	v_mov_b32_e32 v1, 0
	v_dot4c_i32_i8_e32 v1, v191, v2
	v_dot4c_i32_i8_e32 v1, v193, v3
	;; [unrolled: 1-line block ×4, first 2 shown]
	s_nop 2
	v_mul_lo_u32 v214, v1, v201
	v_mov_b32_e32 v1, 0
	v_dot4c_i32_i8_e32 v1, v196, v116
	v_dot4c_i32_i8_e32 v1, v198, v117
	;; [unrolled: 1-line block ×4, first 2 shown]
	s_nop 2
	v_mad_u64_u32 v[214:215], s[22:23], v1, v203, v[214:215]
	v_cvt_f32_i32_e32 v214, v214
	v_mul_f32_e32 v1, v197, v6
	v_fmac_f32_e32 v61, v1, v214
	v_mov_b32_e32 v1, 0
	v_dot4c_i32_i8_e32 v1, v202, v2
	v_dot4c_i32_i8_e32 v1, v204, v3
	;; [unrolled: 1-line block ×4, first 2 shown]
                                        ; kill: def $vgpr3 killed $sgpr0 killed $exec
	s_nop 2
	v_mul_lo_u32 v2, v1, v212
	v_mov_b32_e32 v1, 0
	v_dot4c_i32_i8_e32 v1, v207, v116
	v_dot4c_i32_i8_e32 v1, v209, v117
	;; [unrolled: 1-line block ×4, first 2 shown]
	s_nop 2
	v_mad_u64_u32 v[2:3], s[22:23], v1, v213, v[2:3]
	v_cvt_f32_i32_e32 v2, v2
	v_mul_f32_e32 v1, v208, v6
	v_fmac_f32_e32 v57, v1, v2
	ds_read_b128 v[2:5], v168 offset:28416
	ds_read_b128 v[116:119], v168 offset:28432
	v_mov_b32_e32 v1, 0
	s_waitcnt lgkmcnt(1)
	v_dot4c_i32_i8_e32 v1, v170, v2
	v_dot4c_i32_i8_e32 v1, v171, v3
	v_dot4c_i32_i8_e32 v1, v172, v4
	v_dot4c_i32_i8_e32 v1, v173, v5
	s_nop 2
	v_mul_lo_u32 v6, v1, v179
	v_mov_b32_e32 v1, 0
	s_waitcnt lgkmcnt(0)
	v_dot4c_i32_i8_e32 v1, v175, v116
	v_dot4c_i32_i8_e32 v1, v176, v117
	;; [unrolled: 1-line block ×4, first 2 shown]
	s_nop 2
	v_mad_u64_u32 v[214:215], s[22:23], v1, v181, v[6:7]
	v_cvt_f32_i32_e32 v6, v214
	v_mul_f32_e32 v1, v174, v7
	v_fmac_f32_e32 v53, v1, v6
	v_mov_b32_e32 v1, 0
	v_dot4c_i32_i8_e32 v1, v180, v2
	v_dot4c_i32_i8_e32 v1, v182, v3
	;; [unrolled: 1-line block ×4, first 2 shown]
	s_nop 2
	v_mul_lo_u32 v6, v1, v190
	v_mov_b32_e32 v1, 0
	v_dot4c_i32_i8_e32 v1, v185, v116
	v_dot4c_i32_i8_e32 v1, v187, v117
	;; [unrolled: 1-line block ×4, first 2 shown]
	s_nop 2
	v_mad_u64_u32 v[214:215], s[22:23], v1, v192, v[6:7]
	v_cvt_f32_i32_e32 v6, v214
	v_mul_f32_e32 v1, v186, v7
	v_fmac_f32_e32 v51, v1, v6
	v_mov_b32_e32 v1, 0
	v_dot4c_i32_i8_e32 v1, v191, v2
	v_dot4c_i32_i8_e32 v1, v193, v3
	;; [unrolled: 1-line block ×4, first 2 shown]
	s_nop 2
	v_mul_lo_u32 v6, v1, v201
	v_mov_b32_e32 v1, 0
	v_dot4c_i32_i8_e32 v1, v196, v116
	v_dot4c_i32_i8_e32 v1, v198, v117
	;; [unrolled: 1-line block ×4, first 2 shown]
	s_nop 2
	v_mad_u64_u32 v[214:215], s[22:23], v1, v203, v[6:7]
	v_cvt_f32_i32_e32 v6, v214
	v_mul_f32_e32 v1, v197, v7
                                        ; kill: def $vgpr215 killed $sgpr0 killed $exec
	v_fmac_f32_e32 v49, v1, v6
	v_mov_b32_e32 v1, 0
	v_dot4c_i32_i8_e32 v1, v202, v2
	v_dot4c_i32_i8_e32 v1, v204, v3
	;; [unrolled: 1-line block ×4, first 2 shown]
                                        ; kill: def $vgpr3 killed $sgpr0 killed $exec
	s_nop 2
	v_mul_lo_u32 v2, v1, v212
	v_mov_b32_e32 v1, 0
	v_dot4c_i32_i8_e32 v1, v207, v116
	v_dot4c_i32_i8_e32 v1, v209, v117
	;; [unrolled: 1-line block ×4, first 2 shown]
	s_nop 2
	v_mad_u64_u32 v[2:3], s[22:23], v1, v213, v[2:3]
	v_cvt_f32_i32_e32 v2, v2
	v_mul_f32_e32 v1, v208, v7
	v_fmac_f32_e32 v47, v1, v2
	ds_read2_b32 v[6:7], v0 offset0:104 offset1:136
	ds_read_b128 v[2:5], v168 offset:29440
	ds_read_b128 v[116:119], v168 offset:29456
	v_mov_b32_e32 v1, 0
	s_waitcnt lgkmcnt(1)
	v_dot4c_i32_i8_e32 v1, v170, v2
	v_dot4c_i32_i8_e32 v1, v171, v3
	;; [unrolled: 1-line block ×4, first 2 shown]
	s_nop 2
	v_mul_lo_u32 v214, v1, v179
	v_mov_b32_e32 v1, 0
	s_waitcnt lgkmcnt(0)
	v_dot4c_i32_i8_e32 v1, v175, v116
	v_dot4c_i32_i8_e32 v1, v176, v117
	;; [unrolled: 1-line block ×4, first 2 shown]
	s_nop 2
	v_mad_u64_u32 v[214:215], s[22:23], v1, v181, v[214:215]
	v_cvt_f32_i32_e32 v214, v214
	v_mul_f32_e32 v1, v174, v6
                                        ; kill: def $vgpr215 killed $sgpr0 killed $exec
	v_fmac_f32_e32 v45, v1, v214
	v_mov_b32_e32 v1, 0
	v_dot4c_i32_i8_e32 v1, v180, v2
	v_dot4c_i32_i8_e32 v1, v182, v3
	;; [unrolled: 1-line block ×4, first 2 shown]
	s_nop 2
	v_mul_lo_u32 v214, v1, v190
	v_mov_b32_e32 v1, 0
	v_dot4c_i32_i8_e32 v1, v185, v116
	v_dot4c_i32_i8_e32 v1, v187, v117
	;; [unrolled: 1-line block ×4, first 2 shown]
	s_nop 2
	v_mad_u64_u32 v[214:215], s[22:23], v1, v192, v[214:215]
	v_cvt_f32_i32_e32 v214, v214
	v_mul_f32_e32 v1, v186, v6
                                        ; kill: def $vgpr215 killed $sgpr0 killed $exec
	v_fmac_f32_e32 v43, v1, v214
	v_mov_b32_e32 v1, 0
	v_dot4c_i32_i8_e32 v1, v191, v2
	v_dot4c_i32_i8_e32 v1, v193, v3
	;; [unrolled: 1-line block ×4, first 2 shown]
	s_nop 2
	v_mul_lo_u32 v214, v1, v201
	v_mov_b32_e32 v1, 0
	v_dot4c_i32_i8_e32 v1, v196, v116
	v_dot4c_i32_i8_e32 v1, v198, v117
	;; [unrolled: 1-line block ×4, first 2 shown]
	s_nop 2
	v_mad_u64_u32 v[214:215], s[22:23], v1, v203, v[214:215]
	v_cvt_f32_i32_e32 v214, v214
	v_mul_f32_e32 v1, v197, v6
	v_fmac_f32_e32 v41, v1, v214
	v_mov_b32_e32 v1, 0
	v_dot4c_i32_i8_e32 v1, v202, v2
	v_dot4c_i32_i8_e32 v1, v204, v3
	;; [unrolled: 1-line block ×4, first 2 shown]
                                        ; kill: def $vgpr3 killed $sgpr0 killed $exec
	s_nop 2
	v_mul_lo_u32 v2, v1, v212
	v_mov_b32_e32 v1, 0
	v_dot4c_i32_i8_e32 v1, v207, v116
	v_dot4c_i32_i8_e32 v1, v209, v117
	;; [unrolled: 1-line block ×4, first 2 shown]
	s_nop 2
	v_mad_u64_u32 v[2:3], s[22:23], v1, v213, v[2:3]
	v_cvt_f32_i32_e32 v2, v2
	v_mul_f32_e32 v1, v208, v6
	v_fmac_f32_e32 v39, v1, v2
	ds_read_b128 v[2:5], v168 offset:30464
	ds_read_b128 v[116:119], v168 offset:30480
	v_mov_b32_e32 v1, 0
	s_waitcnt lgkmcnt(1)
	v_dot4c_i32_i8_e32 v1, v170, v2
	v_dot4c_i32_i8_e32 v1, v171, v3
	;; [unrolled: 1-line block ×4, first 2 shown]
	s_nop 2
	v_mul_lo_u32 v6, v1, v179
	v_mov_b32_e32 v1, 0
	s_waitcnt lgkmcnt(0)
	v_dot4c_i32_i8_e32 v1, v175, v116
	v_dot4c_i32_i8_e32 v1, v176, v117
	;; [unrolled: 1-line block ×4, first 2 shown]
	s_nop 2
	v_mad_u64_u32 v[214:215], s[22:23], v1, v181, v[6:7]
	v_cvt_f32_i32_e32 v6, v214
	v_mul_f32_e32 v1, v174, v7
	v_fmac_f32_e32 v37, v1, v6
	v_mov_b32_e32 v1, 0
	v_dot4c_i32_i8_e32 v1, v180, v2
	v_dot4c_i32_i8_e32 v1, v182, v3
	;; [unrolled: 1-line block ×4, first 2 shown]
	s_nop 2
	v_mul_lo_u32 v6, v1, v190
	v_mov_b32_e32 v1, 0
	v_dot4c_i32_i8_e32 v1, v185, v116
	v_dot4c_i32_i8_e32 v1, v187, v117
	;; [unrolled: 1-line block ×4, first 2 shown]
	s_nop 2
	v_mad_u64_u32 v[214:215], s[22:23], v1, v192, v[6:7]
	v_cvt_f32_i32_e32 v6, v214
	v_mul_f32_e32 v1, v186, v7
	v_fmac_f32_e32 v35, v1, v6
	v_mov_b32_e32 v1, 0
	v_dot4c_i32_i8_e32 v1, v191, v2
	v_dot4c_i32_i8_e32 v1, v193, v3
	;; [unrolled: 1-line block ×4, first 2 shown]
	s_nop 2
	v_mul_lo_u32 v6, v1, v201
	v_mov_b32_e32 v1, 0
	v_dot4c_i32_i8_e32 v1, v196, v116
	v_dot4c_i32_i8_e32 v1, v198, v117
	;; [unrolled: 1-line block ×4, first 2 shown]
	s_nop 2
	v_mad_u64_u32 v[214:215], s[22:23], v1, v203, v[6:7]
	v_cvt_f32_i32_e32 v6, v214
	v_mul_f32_e32 v1, v197, v7
	v_fmac_f32_e32 v33, v1, v6
	v_mov_b32_e32 v1, 0
	v_dot4c_i32_i8_e32 v1, v202, v2
	v_dot4c_i32_i8_e32 v1, v204, v3
	;; [unrolled: 1-line block ×4, first 2 shown]
                                        ; kill: def $vgpr3 killed $sgpr0 killed $exec
	s_nop 2
	v_mul_lo_u32 v2, v1, v212
	v_mov_b32_e32 v1, 0
	v_dot4c_i32_i8_e32 v1, v207, v116
	v_dot4c_i32_i8_e32 v1, v209, v117
	;; [unrolled: 1-line block ×4, first 2 shown]
	v_mov_b32_e32 v118, 0
	v_mov_b32_e32 v119, 0
	s_nop 0
	v_mad_u64_u32 v[2:3], s[22:23], v1, v213, v[2:3]
	v_cvt_f32_i32_e32 v2, v2
	v_mul_f32_e32 v1, v208, v7
	v_fmac_f32_e32 v31, v1, v2
	ds_read2_b32 v[116:117], v0 offset0:168 offset1:200
	ds_read_b128 v[4:7], v168 offset:31488
	ds_read_b128 v[0:3], v168 offset:31504
	s_waitcnt lgkmcnt(1)
	v_dot4c_i32_i8_e32 v118, v170, v4
	v_dot4c_i32_i8_e32 v118, v171, v5
	s_waitcnt lgkmcnt(0)
	v_dot4c_i32_i8_e32 v119, v175, v0
	v_dot4c_i32_i8_e32 v118, v172, v6
	;; [unrolled: 1-line block ×6, first 2 shown]
	s_nop 0
	v_mul_lo_u32 v118, v118, v179
	s_nop 0
	v_mad_u64_u32 v[118:119], s[22:23], v119, v181, v[118:119]
	v_cvt_f32_i32_e32 v118, v118
	v_mul_f32_e32 v119, v174, v116
	v_fmac_f32_e32 v27, v119, v118
	v_mov_b32_e32 v118, 0
	v_dot4c_i32_i8_e32 v118, v180, v4
	v_mov_b32_e32 v119, 0
	v_dot4c_i32_i8_e32 v118, v182, v5
	v_dot4c_i32_i8_e32 v119, v185, v0
	v_dot4c_i32_i8_e32 v118, v183, v6
	v_dot4c_i32_i8_e32 v119, v187, v1
	v_dot4c_i32_i8_e32 v118, v184, v7
	v_dot4c_i32_i8_e32 v119, v188, v2
	v_dot4c_i32_i8_e32 v119, v189, v3
	s_nop 0
	v_mul_lo_u32 v118, v118, v190
	s_nop 0
	v_mad_u64_u32 v[118:119], s[22:23], v119, v192, v[118:119]
	v_cvt_f32_i32_e32 v118, v118
	v_mul_f32_e32 v119, v186, v116
	v_fmac_f32_e32 v23, v119, v118
	v_mov_b32_e32 v118, 0
	v_dot4c_i32_i8_e32 v118, v191, v4
	v_mov_b32_e32 v119, 0
	v_dot4c_i32_i8_e32 v118, v193, v5
	v_dot4c_i32_i8_e32 v119, v196, v0
	;; [unrolled: 1-line block ×7, first 2 shown]
	s_nop 0
	v_mul_lo_u32 v118, v118, v201
	s_nop 0
	v_mad_u64_u32 v[118:119], s[22:23], v119, v203, v[118:119]
	v_cvt_f32_i32_e32 v118, v118
	v_mul_f32_e32 v119, v197, v116
	v_fmac_f32_e32 v21, v119, v118
	v_mov_b32_e32 v118, 0
	v_dot4c_i32_i8_e32 v118, v202, v4
	v_dot4c_i32_i8_e32 v118, v204, v5
	v_mov_b32_e32 v5, 0
	v_dot4c_i32_i8_e32 v5, v207, v0
	v_dot4c_i32_i8_e32 v118, v205, v6
	;; [unrolled: 1-line block ×6, first 2 shown]
	s_nop 0
	v_mul_lo_u32 v4, v118, v212
	v_mov_b32_e32 v118, 0
	v_mad_u64_u32 v[0:1], s[22:23], v5, v213, v[4:5]
	v_cvt_f32_i32_e32 v0, v0
	v_mul_f32_e32 v1, v208, v116
	v_mov_b32_e32 v116, 0
	v_fmac_f32_e32 v19, v1, v0
	ds_read_b128 v[0:3], v168 offset:32512
	ds_read_b128 v[4:7], v168 offset:32528
	v_add_u32_e32 v168, 32, v168
	s_waitcnt lgkmcnt(1)
	v_dot4c_i32_i8_e32 v116, v170, v0
	v_dot4c_i32_i8_e32 v116, v171, v1
	s_waitcnt lgkmcnt(0)
	v_dot4c_i32_i8_e32 v118, v175, v4
	v_dot4c_i32_i8_e32 v116, v172, v2
	;; [unrolled: 1-line block ×6, first 2 shown]
	s_nop 0
	v_mul_lo_u32 v116, v116, v179
	s_nop 0
	v_mad_u64_u32 v[118:119], s[22:23], v118, v181, v[116:117]
	v_cvt_f32_i32_e32 v118, v118
	v_mul_f32_e32 v116, v174, v117
	v_fmac_f32_e32 v17, v116, v118
	v_mov_b32_e32 v116, 0
	v_dot4c_i32_i8_e32 v116, v180, v0
	v_mov_b32_e32 v118, 0
	v_dot4c_i32_i8_e32 v116, v182, v1
	v_dot4c_i32_i8_e32 v118, v185, v4
	;; [unrolled: 1-line block ×7, first 2 shown]
	s_nop 0
	v_mul_lo_u32 v116, v116, v190
	s_nop 0
	v_mad_u64_u32 v[118:119], s[22:23], v118, v192, v[116:117]
	v_cvt_f32_i32_e32 v118, v118
	v_mul_f32_e32 v116, v186, v117
	v_fmac_f32_e32 v15, v116, v118
	v_mov_b32_e32 v116, 0
	v_dot4c_i32_i8_e32 v116, v191, v0
	v_mov_b32_e32 v118, 0
	v_dot4c_i32_i8_e32 v116, v193, v1
	v_dot4c_i32_i8_e32 v118, v196, v4
	;; [unrolled: 1-line block ×7, first 2 shown]
	s_nop 0
	v_mul_lo_u32 v116, v116, v201
	s_nop 0
	v_mad_u64_u32 v[118:119], s[22:23], v118, v203, v[116:117]
	v_cvt_f32_i32_e32 v118, v118
	v_mul_f32_e32 v116, v197, v117
	v_fmac_f32_e32 v13, v116, v118
	v_mov_b32_e32 v116, 0
	v_dot4c_i32_i8_e32 v116, v202, v0
	v_dot4c_i32_i8_e32 v116, v204, v1
	v_mov_b32_e32 v1, 0
	v_dot4c_i32_i8_e32 v1, v207, v4
	v_dot4c_i32_i8_e32 v116, v205, v2
	;; [unrolled: 1-line block ×6, first 2 shown]
	s_nop 0
	v_mul_lo_u32 v0, v116, v212
	s_nop 0
	v_mad_u64_u32 v[0:1], s[22:23], v1, v213, v[0:1]
	v_cvt_f32_i32_e32 v0, v0
	v_mul_f32_e32 v1, v208, v117
	s_mov_b32 s22, s21
	v_fmac_f32_e32 v9, v1, v0
	s_cbranch_scc1 .LBB130_9
; %bb.10:                               ;   in Loop: Header=BB130_6 Depth=1
	s_or_b32 s19, s9, 1
	s_cmp_ge_i32 s19, s4
	s_barrier
	s_cbranch_scc1 .LBB130_5
; %bb.11:                               ;   in Loop: Header=BB130_6 Depth=1
	v_add_u32_e32 v170, s18, v141
	v_add_u32_e32 v0, v170, v91
	v_add_u32_e32 v2, v170, v97
	v_add_u32_e32 v4, v170, v101
	v_add_u32_e32 v6, v170, v109
	v_add_u32_e32 v172, 8, v167
	v_mad_i64_i32 v[0:1], s[20:21], v0, 36, v[112:113]
	v_mad_i64_i32 v[2:3], s[20:21], v2, 36, v[112:113]
	;; [unrolled: 1-line block ×4, first 2 shown]
	v_add_u32_e32 v116, v170, v115
	v_add_u32_e32 v118, v170, v121
	v_add_u32_e32 v168, v170, v123
	v_add_u32_e32 v170, v170, v125
	v_mad_u64_u32 v[172:173], s[20:21], v172, 36, s[2:3]
	v_mad_i64_i32 v[116:117], s[20:21], v116, 36, v[112:113]
	v_mad_i64_i32 v[118:119], s[20:21], v118, 36, v[112:113]
	v_mad_i64_i32 v[168:169], s[20:21], v168, 36, v[112:113]
	v_mad_i64_i32 v[170:171], s[20:21], v170, 36, v[112:113]
	global_load_dword v172, v[172:173], off
	s_nop 0
	global_load_dword v0, v[0:1], off offset:4
	s_nop 0
	global_load_dword v1, v[2:3], off offset:4
	;; [unrolled: 2-line block ×3, first 2 shown]
	global_load_dword v3, v[6:7], off offset:4
	s_nop 0
	global_load_dword v4, v[116:117], off offset:4
	global_load_dword v5, v[118:119], off offset:4
	;; [unrolled: 1-line block ×4, first 2 shown]
	s_mov_b32 s19, 16
	s_mov_b32 s22, 14
	s_mov_b32 s20, 0
	v_mov_b32_e32 v168, v152
	v_mov_b32_e32 v169, v151
	s_waitcnt vmcnt(8)
	v_cvt_f32_f16_e32 v116, v172
	s_waitcnt vmcnt(7)
	ds_write_b32 v95, v0
	s_waitcnt vmcnt(6)
	ds_write_b32 v99, v1
	;; [unrolled: 2-line block ×8, first 2 shown]
	ds_write_b32 v87, v116
	s_waitcnt lgkmcnt(0)
	s_barrier
.LBB130_12:                             ;   Parent Loop BB130_6 Depth=1
                                        ; =>  This Inner Loop Header: Depth=2
	s_add_i32 s21, s22, 2
	s_lshr_b32 s26, s21, 4
	s_and_b32 s25, s21, 0x3ffffff8
	s_lshl_b32 s24, s26, 3
	s_lshl_b32 s25, s25, 2
	v_add_lshl_u32 v180, v128, s24, 2
	v_add_u32_e32 v119, s25, v129
	v_add_u32_e32 v172, 0x4200, v180
	ds_read2_b32 v[116:117], v169 offset1:32
	ds_read_b128 v[4:7], v168
	ds_read_b128 v[0:3], v168 offset:16
	ds_read2_b32 v[170:171], v119 offset1:1
	ds_read2_b32 v[172:173], v172 offset1:1
	s_and_b32 s23, s19, -16
	v_add_u32_e32 v118, s23, v127
	s_add_i32 s23, s22, -14
	s_waitcnt lgkmcnt(1)
	v_ashrrev_i32_e32 v170, s23, v170
	s_waitcnt lgkmcnt(0)
	v_ashrrev_i32_e32 v172, s20, v172
	v_lshlrev_b32_e32 v172, 2, v172
	v_and_b32_e32 v174, 0x3030303, v170
	v_bfe_u32 v170, v170, 24, 2
	v_and_b32_e32 v172, 0x4040404, v172
	v_ashrrev_i32_e32 v173, s20, v173
	v_sub_u16_e32 v175, v174, v172
	v_sub_u16_sdwa v176, v174, v172 dst_sel:BYTE_1 dst_unused:UNUSED_PAD src0_sel:BYTE_1 src1_sel:BYTE_1
	v_sub_u16_sdwa v170, v170, v172 dst_sel:BYTE_1 dst_unused:UNUSED_PAD src0_sel:DWORD src1_sel:BYTE_3
	v_sub_u16_sdwa v172, v174, v172 dst_sel:DWORD dst_unused:UNUSED_PAD src0_sel:WORD_1 src1_sel:WORD_1
	v_ashrrev_i32_e32 v171, s23, v171
	v_lshlrev_b32_e32 v173, 2, v173
	v_or_b32_sdwa v175, v175, v176 dst_sel:DWORD dst_unused:UNUSED_PAD src0_sel:BYTE_0 src1_sel:DWORD
	v_or_b32_sdwa v170, v172, v170 dst_sel:WORD_1 dst_unused:UNUSED_PAD src0_sel:BYTE_0 src1_sel:DWORD
	v_and_b32_e32 v172, 0x3030303, v171
	v_bfe_u32 v171, v171, 24, 2
	v_and_b32_e32 v173, 0x4040404, v173
	v_or_b32_sdwa v170, v175, v170 dst_sel:DWORD dst_unused:UNUSED_PAD src0_sel:WORD_0 src1_sel:DWORD
	v_sub_u16_e32 v174, v172, v173
	v_sub_u16_sdwa v175, v172, v173 dst_sel:BYTE_1 dst_unused:UNUSED_PAD src0_sel:BYTE_1 src1_sel:BYTE_1
	v_sub_u16_sdwa v171, v171, v173 dst_sel:BYTE_1 dst_unused:UNUSED_PAD src0_sel:DWORD src1_sel:BYTE_3
	v_sub_u16_sdwa v172, v172, v173 dst_sel:DWORD dst_unused:UNUSED_PAD src0_sel:WORD_1 src1_sel:WORD_1
	v_or_b32_sdwa v174, v174, v175 dst_sel:DWORD dst_unused:UNUSED_PAD src0_sel:BYTE_0 src1_sel:DWORD
	v_or_b32_sdwa v171, v172, v171 dst_sel:WORD_1 dst_unused:UNUSED_PAD src0_sel:BYTE_0 src1_sel:DWORD
	ds_read2_b32 v[172:173], v119 offset0:2 offset1:3
	v_or_b32_sdwa v171, v174, v171 dst_sel:DWORD dst_unused:UNUSED_PAD src0_sel:WORD_0 src1_sel:DWORD
	v_add_u32_e32 v174, 0x4208, v180
	ds_read2_b32 v[174:175], v174 offset1:1
	s_lshl_b32 s26, s26, 2
	s_waitcnt lgkmcnt(1)
	v_ashrrev_i32_e32 v172, s23, v172
	v_and_b32_e32 v176, 0x3030303, v172
	v_bfe_u32 v172, v172, 24, 2
	s_waitcnt lgkmcnt(0)
	v_ashrrev_i32_e32 v174, s20, v174
	v_lshlrev_b32_e32 v174, 2, v174
	v_and_b32_e32 v174, 0x4040404, v174
	v_ashrrev_i32_e32 v175, s20, v175
	v_sub_u16_e32 v177, v176, v174
	v_sub_u16_sdwa v178, v176, v174 dst_sel:BYTE_1 dst_unused:UNUSED_PAD src0_sel:BYTE_1 src1_sel:BYTE_1
	v_sub_u16_sdwa v172, v172, v174 dst_sel:BYTE_1 dst_unused:UNUSED_PAD src0_sel:DWORD src1_sel:BYTE_3
	v_sub_u16_sdwa v174, v176, v174 dst_sel:DWORD dst_unused:UNUSED_PAD src0_sel:WORD_1 src1_sel:WORD_1
	v_ashrrev_i32_e32 v173, s23, v173
	v_lshlrev_b32_e32 v175, 2, v175
	v_or_b32_sdwa v177, v177, v178 dst_sel:DWORD dst_unused:UNUSED_PAD src0_sel:BYTE_0 src1_sel:DWORD
	v_or_b32_sdwa v172, v174, v172 dst_sel:WORD_1 dst_unused:UNUSED_PAD src0_sel:BYTE_0 src1_sel:DWORD
	v_and_b32_e32 v174, 0x3030303, v173
	v_bfe_u32 v173, v173, 24, 2
	v_and_b32_e32 v175, 0x4040404, v175
	v_or_b32_sdwa v172, v177, v172 dst_sel:DWORD dst_unused:UNUSED_PAD src0_sel:WORD_0 src1_sel:DWORD
	v_sub_u16_e32 v176, v174, v175
	v_sub_u16_sdwa v177, v174, v175 dst_sel:BYTE_1 dst_unused:UNUSED_PAD src0_sel:BYTE_1 src1_sel:BYTE_1
	v_sub_u16_sdwa v173, v173, v175 dst_sel:BYTE_1 dst_unused:UNUSED_PAD src0_sel:DWORD src1_sel:BYTE_3
	v_sub_u16_sdwa v174, v174, v175 dst_sel:DWORD dst_unused:UNUSED_PAD src0_sel:WORD_1 src1_sel:WORD_1
	v_or_b32_sdwa v176, v176, v177 dst_sel:DWORD dst_unused:UNUSED_PAD src0_sel:BYTE_0 src1_sel:DWORD
	v_or_b32_sdwa v173, v174, v173 dst_sel:WORD_1 dst_unused:UNUSED_PAD src0_sel:BYTE_0 src1_sel:DWORD
	v_add_lshl_u32 v190, v131, s24, 2
	v_or_b32_sdwa v173, v176, v173 dst_sel:DWORD dst_unused:UNUSED_PAD src0_sel:WORD_0 src1_sel:DWORD
	ds_read2_b32 v[176:177], v119 offset0:4 offset1:5
	v_add_u32_e32 v184, 0x4200, v190
	v_add_lshl_u32 v212, v137, s24, 2
	v_add_lshl_u32 v202, v134, s24, 2
	v_add_u32_e32 v206, 0x4200, v212
	s_waitcnt lgkmcnt(0)
	v_ashrrev_i32_e32 v174, s23, v176
	v_add_u32_e32 v176, 0x4210, v180
	ds_read2_b32 v[178:179], v176 offset1:1
	v_and_b32_e32 v175, 0x3030303, v174
	v_bfe_u32 v174, v174, 24, 2
	s_add_i32 s19, s19, 2
	ds_read2_b32 v[184:185], v184 offset1:1
	s_waitcnt lgkmcnt(1)
	v_ashrrev_i32_e32 v176, s20, v178
	v_lshlrev_b32_e32 v176, 2, v176
	v_and_b32_e32 v176, 0x4040404, v176
	v_sub_u16_e32 v178, v175, v176
	v_sub_u16_sdwa v181, v175, v176 dst_sel:BYTE_1 dst_unused:UNUSED_PAD src0_sel:BYTE_1 src1_sel:BYTE_1
	v_sub_u16_sdwa v174, v174, v176 dst_sel:BYTE_1 dst_unused:UNUSED_PAD src0_sel:DWORD src1_sel:BYTE_3
	v_sub_u16_sdwa v175, v175, v176 dst_sel:DWORD dst_unused:UNUSED_PAD src0_sel:WORD_1 src1_sel:WORD_1
	v_or_b32_sdwa v178, v178, v181 dst_sel:DWORD dst_unused:UNUSED_PAD src0_sel:BYTE_0 src1_sel:DWORD
	v_or_b32_sdwa v174, v175, v174 dst_sel:WORD_1 dst_unused:UNUSED_PAD src0_sel:BYTE_0 src1_sel:DWORD
	s_waitcnt lgkmcnt(0)
	v_ashrrev_i32_e32 v184, s20, v184
	v_or_b32_sdwa v175, v178, v174 dst_sel:DWORD dst_unused:UNUSED_PAD src0_sel:WORD_0 src1_sel:DWORD
	v_ashrrev_i32_e32 v174, s23, v177
	v_ashrrev_i32_e32 v177, s20, v179
	v_lshlrev_b32_e32 v177, 2, v177
	v_and_b32_e32 v176, 0x3030303, v174
	v_bfe_u32 v174, v174, 24, 2
	v_and_b32_e32 v177, 0x4040404, v177
	v_sub_u16_e32 v178, v176, v177
	v_sub_u16_sdwa v179, v176, v177 dst_sel:BYTE_1 dst_unused:UNUSED_PAD src0_sel:BYTE_1 src1_sel:BYTE_1
	v_sub_u16_sdwa v174, v174, v177 dst_sel:BYTE_1 dst_unused:UNUSED_PAD src0_sel:DWORD src1_sel:BYTE_3
	v_sub_u16_sdwa v176, v176, v177 dst_sel:DWORD dst_unused:UNUSED_PAD src0_sel:WORD_1 src1_sel:WORD_1
	v_or_b32_sdwa v178, v178, v179 dst_sel:DWORD dst_unused:UNUSED_PAD src0_sel:BYTE_0 src1_sel:DWORD
	v_or_b32_sdwa v174, v176, v174 dst_sel:WORD_1 dst_unused:UNUSED_PAD src0_sel:BYTE_0 src1_sel:DWORD
	v_add_u32_e32 v177, 0x4218, v180
	v_or_b32_sdwa v176, v178, v174 dst_sel:DWORD dst_unused:UNUSED_PAD src0_sel:WORD_0 src1_sel:DWORD
	ds_read2_b32 v[178:179], v119 offset0:6 offset1:7
	ds_read2_b32 v[180:181], v177 offset1:1
	v_lshlrev_b32_e32 v184, 2, v184
	v_and_b32_e32 v184, 0x4040404, v184
	ds_read2_b32 v[206:207], v206 offset1:1
	s_waitcnt lgkmcnt(2)
	v_ashrrev_i32_e32 v119, s23, v178
	s_waitcnt lgkmcnt(1)
	v_ashrrev_i32_e32 v177, s20, v180
	v_lshlrev_b32_e32 v177, 2, v177
	v_and_b32_e32 v174, 0x3030303, v119
	v_bfe_u32 v119, v119, 24, 2
	v_and_b32_e32 v177, 0x4040404, v177
	v_sub_u16_e32 v178, v174, v177
	v_sub_u16_sdwa v180, v174, v177 dst_sel:BYTE_1 dst_unused:UNUSED_PAD src0_sel:BYTE_1 src1_sel:BYTE_1
	v_sub_u16_sdwa v119, v119, v177 dst_sel:BYTE_1 dst_unused:UNUSED_PAD src0_sel:DWORD src1_sel:BYTE_3
	v_sub_u16_sdwa v174, v174, v177 dst_sel:DWORD dst_unused:UNUSED_PAD src0_sel:WORD_1 src1_sel:WORD_1
	v_or_b32_sdwa v178, v178, v180 dst_sel:DWORD dst_unused:UNUSED_PAD src0_sel:BYTE_0 src1_sel:DWORD
	v_or_b32_sdwa v119, v174, v119 dst_sel:WORD_1 dst_unused:UNUSED_PAD src0_sel:BYTE_0 src1_sel:DWORD
	s_waitcnt lgkmcnt(0)
	v_ashrrev_i32_e32 v206, s20, v206
	v_or_b32_sdwa v177, v178, v119 dst_sel:DWORD dst_unused:UNUSED_PAD src0_sel:WORD_0 src1_sel:DWORD
	v_ashrrev_i32_e32 v178, s20, v181
	v_ashrrev_i32_e32 v119, s23, v179
	v_lshlrev_b32_e32 v178, 2, v178
	v_and_b32_e32 v174, 0x3030303, v119
	v_bfe_u32 v119, v119, 24, 2
	v_and_b32_e32 v178, 0x4040404, v178
	v_sub_u16_e32 v179, v174, v178
	v_sub_u16_sdwa v180, v174, v178 dst_sel:BYTE_1 dst_unused:UNUSED_PAD src0_sel:BYTE_1 src1_sel:BYTE_1
	v_sub_u16_sdwa v119, v119, v178 dst_sel:BYTE_1 dst_unused:UNUSED_PAD src0_sel:DWORD src1_sel:BYTE_3
	v_sub_u16_sdwa v174, v174, v178 dst_sel:DWORD dst_unused:UNUSED_PAD src0_sel:WORD_1 src1_sel:WORD_1
	v_or_b32_sdwa v179, v179, v180 dst_sel:DWORD dst_unused:UNUSED_PAD src0_sel:BYTE_0 src1_sel:DWORD
	v_or_b32_sdwa v119, v174, v119 dst_sel:WORD_1 dst_unused:UNUSED_PAD src0_sel:BYTE_0 src1_sel:DWORD
	v_add_u32_e32 v174, s26, v130
	v_or_b32_sdwa v178, v179, v119 dst_sel:DWORD dst_unused:UNUSED_PAD src0_sel:WORD_0 src1_sel:DWORD
	v_add3_u32 v119, v143, s22, v118
	ds_read_b32 v174, v174
	ds_read_u16 v119, v119 offset:33522
	v_mov_b32_e32 v180, 0
	v_dot4c_i32_i8_e32 v180, v170, v4
	v_dot4c_i32_i8_e32 v180, v171, v5
	;; [unrolled: 1-line block ×3, first 2 shown]
	s_waitcnt lgkmcnt(0)
	v_lshrrev_b16_e32 v181, 8, v119
	v_bfe_i32 v179, v119, 0, 8
	v_mov_b32_e32 v119, 0
	v_dot4c_i32_i8_e32 v119, v175, v0
	v_dot4c_i32_i8_e32 v119, v176, v1
	;; [unrolled: 1-line block ×5, first 2 shown]
	v_bfe_i32 v181, v181, 0, 8
	v_mul_lo_u32 v180, v180, v179
	v_lshlrev_b32_e32 v206, 2, v206
	v_mad_u64_u32 v[182:183], s[28:29], v119, v181, v[180:181]
	v_cvt_f32_i32_e32 v180, v182
	v_mul_f32_e32 v119, v116, v174
	v_and_b32_e32 v206, 0x4040404, v206
	v_fmac_f32_e32 v105, v119, v180
	v_add_u32_e32 v119, s25, v132
	ds_read2_b32 v[182:183], v119 offset1:1
	s_waitcnt lgkmcnt(0)
	v_ashrrev_i32_e32 v180, s23, v182
	v_and_b32_e32 v182, 0x3030303, v180
	v_bfe_u32 v180, v180, 24, 2
	v_sub_u16_e32 v186, v182, v184
	v_sub_u16_sdwa v187, v182, v184 dst_sel:BYTE_1 dst_unused:UNUSED_PAD src0_sel:BYTE_1 src1_sel:BYTE_1
	v_sub_u16_sdwa v180, v180, v184 dst_sel:BYTE_1 dst_unused:UNUSED_PAD src0_sel:DWORD src1_sel:BYTE_3
	v_sub_u16_sdwa v182, v182, v184 dst_sel:DWORD dst_unused:UNUSED_PAD src0_sel:WORD_1 src1_sel:WORD_1
	v_ashrrev_i32_e32 v184, s20, v185
	v_or_b32_sdwa v180, v182, v180 dst_sel:WORD_1 dst_unused:UNUSED_PAD src0_sel:BYTE_0 src1_sel:DWORD
	v_ashrrev_i32_e32 v182, s23, v183
	v_lshlrev_b32_e32 v184, 2, v184
	v_or_b32_sdwa v186, v186, v187 dst_sel:DWORD dst_unused:UNUSED_PAD src0_sel:BYTE_0 src1_sel:DWORD
	v_and_b32_e32 v183, 0x3030303, v182
	v_bfe_u32 v182, v182, 24, 2
	v_and_b32_e32 v184, 0x4040404, v184
	v_or_b32_sdwa v180, v186, v180 dst_sel:DWORD dst_unused:UNUSED_PAD src0_sel:WORD_0 src1_sel:DWORD
	v_sub_u16_e32 v185, v183, v184
	v_sub_u16_sdwa v186, v183, v184 dst_sel:BYTE_1 dst_unused:UNUSED_PAD src0_sel:BYTE_1 src1_sel:BYTE_1
	v_sub_u16_sdwa v182, v182, v184 dst_sel:BYTE_1 dst_unused:UNUSED_PAD src0_sel:DWORD src1_sel:BYTE_3
	v_sub_u16_sdwa v183, v183, v184 dst_sel:DWORD dst_unused:UNUSED_PAD src0_sel:WORD_1 src1_sel:WORD_1
	v_or_b32_sdwa v185, v185, v186 dst_sel:DWORD dst_unused:UNUSED_PAD src0_sel:BYTE_0 src1_sel:DWORD
	v_or_b32_sdwa v182, v183, v182 dst_sel:WORD_1 dst_unused:UNUSED_PAD src0_sel:BYTE_0 src1_sel:DWORD
	v_add_u32_e32 v186, 0x4208, v190
	v_or_b32_sdwa v182, v185, v182 dst_sel:DWORD dst_unused:UNUSED_PAD src0_sel:WORD_0 src1_sel:DWORD
	ds_read2_b32 v[184:185], v119 offset0:2 offset1:3
	ds_read2_b32 v[186:187], v186 offset1:1
	s_waitcnt lgkmcnt(1)
	v_ashrrev_i32_e32 v183, s23, v184
	s_waitcnt lgkmcnt(0)
	v_ashrrev_i32_e32 v186, s20, v186
	v_lshlrev_b32_e32 v186, 2, v186
	v_and_b32_e32 v184, 0x3030303, v183
	v_bfe_u32 v183, v183, 24, 2
	v_and_b32_e32 v186, 0x4040404, v186
	v_sub_u16_e32 v188, v184, v186
	v_sub_u16_sdwa v189, v184, v186 dst_sel:BYTE_1 dst_unused:UNUSED_PAD src0_sel:BYTE_1 src1_sel:BYTE_1
	v_sub_u16_sdwa v183, v183, v186 dst_sel:BYTE_1 dst_unused:UNUSED_PAD src0_sel:DWORD src1_sel:BYTE_3
	v_sub_u16_sdwa v184, v184, v186 dst_sel:DWORD dst_unused:UNUSED_PAD src0_sel:WORD_1 src1_sel:WORD_1
	v_ashrrev_i32_e32 v186, s20, v187
	v_or_b32_sdwa v183, v184, v183 dst_sel:WORD_1 dst_unused:UNUSED_PAD src0_sel:BYTE_0 src1_sel:DWORD
	v_ashrrev_i32_e32 v184, s23, v185
	v_lshlrev_b32_e32 v186, 2, v186
	v_or_b32_sdwa v188, v188, v189 dst_sel:DWORD dst_unused:UNUSED_PAD src0_sel:BYTE_0 src1_sel:DWORD
	v_and_b32_e32 v185, 0x3030303, v184
	v_bfe_u32 v184, v184, 24, 2
	v_and_b32_e32 v186, 0x4040404, v186
	v_or_b32_sdwa v183, v188, v183 dst_sel:DWORD dst_unused:UNUSED_PAD src0_sel:WORD_0 src1_sel:DWORD
	v_sub_u16_e32 v187, v185, v186
	v_sub_u16_sdwa v188, v185, v186 dst_sel:BYTE_1 dst_unused:UNUSED_PAD src0_sel:BYTE_1 src1_sel:BYTE_1
	v_sub_u16_sdwa v184, v184, v186 dst_sel:BYTE_1 dst_unused:UNUSED_PAD src0_sel:DWORD src1_sel:BYTE_3
	v_sub_u16_sdwa v185, v185, v186 dst_sel:DWORD dst_unused:UNUSED_PAD src0_sel:WORD_1 src1_sel:WORD_1
	v_or_b32_sdwa v187, v187, v188 dst_sel:DWORD dst_unused:UNUSED_PAD src0_sel:BYTE_0 src1_sel:DWORD
	v_or_b32_sdwa v184, v185, v184 dst_sel:WORD_1 dst_unused:UNUSED_PAD src0_sel:BYTE_0 src1_sel:DWORD
	v_add_u32_e32 v188, 0x4210, v190
	v_or_b32_sdwa v184, v187, v184 dst_sel:DWORD dst_unused:UNUSED_PAD src0_sel:WORD_0 src1_sel:DWORD
	ds_read2_b32 v[186:187], v119 offset0:4 offset1:5
	ds_read2_b32 v[188:189], v188 offset1:1
	s_waitcnt lgkmcnt(1)
	v_ashrrev_i32_e32 v185, s23, v186
	s_waitcnt lgkmcnt(0)
	v_ashrrev_i32_e32 v188, s20, v188
	v_lshlrev_b32_e32 v188, 2, v188
	v_and_b32_e32 v186, 0x3030303, v185
	v_bfe_u32 v185, v185, 24, 2
	v_and_b32_e32 v188, 0x4040404, v188
	v_sub_u16_e32 v191, v186, v188
	v_sub_u16_sdwa v192, v186, v188 dst_sel:BYTE_1 dst_unused:UNUSED_PAD src0_sel:BYTE_1 src1_sel:BYTE_1
	v_sub_u16_sdwa v185, v185, v188 dst_sel:BYTE_1 dst_unused:UNUSED_PAD src0_sel:DWORD src1_sel:BYTE_3
	v_sub_u16_sdwa v186, v186, v188 dst_sel:DWORD dst_unused:UNUSED_PAD src0_sel:WORD_1 src1_sel:WORD_1
	v_ashrrev_i32_e32 v188, s20, v189
	v_or_b32_sdwa v185, v186, v185 dst_sel:WORD_1 dst_unused:UNUSED_PAD src0_sel:BYTE_0 src1_sel:DWORD
	v_ashrrev_i32_e32 v186, s23, v187
	v_lshlrev_b32_e32 v188, 2, v188
	v_or_b32_sdwa v191, v191, v192 dst_sel:DWORD dst_unused:UNUSED_PAD src0_sel:BYTE_0 src1_sel:DWORD
	v_and_b32_e32 v187, 0x3030303, v186
	v_bfe_u32 v186, v186, 24, 2
	v_and_b32_e32 v188, 0x4040404, v188
	v_or_b32_sdwa v185, v191, v185 dst_sel:DWORD dst_unused:UNUSED_PAD src0_sel:WORD_0 src1_sel:DWORD
	v_sub_u16_e32 v189, v187, v188
	v_sub_u16_sdwa v191, v187, v188 dst_sel:BYTE_1 dst_unused:UNUSED_PAD src0_sel:BYTE_1 src1_sel:BYTE_1
	v_sub_u16_sdwa v186, v186, v188 dst_sel:BYTE_1 dst_unused:UNUSED_PAD src0_sel:DWORD src1_sel:BYTE_3
	v_sub_u16_sdwa v187, v187, v188 dst_sel:DWORD dst_unused:UNUSED_PAD src0_sel:WORD_1 src1_sel:WORD_1
	v_or_b32_sdwa v189, v189, v191 dst_sel:DWORD dst_unused:UNUSED_PAD src0_sel:BYTE_0 src1_sel:DWORD
	v_or_b32_sdwa v186, v187, v186 dst_sel:WORD_1 dst_unused:UNUSED_PAD src0_sel:BYTE_0 src1_sel:DWORD
	s_nop 0
	v_or_b32_sdwa v187, v189, v186 dst_sel:DWORD dst_unused:UNUSED_PAD src0_sel:WORD_0 src1_sel:DWORD
	ds_read2_b32 v[188:189], v119 offset0:6 offset1:7
	s_waitcnt lgkmcnt(0)
	v_ashrrev_i32_e32 v119, s23, v188
	v_add_u32_e32 v188, 0x4218, v190
	ds_read2_b32 v[190:191], v188 offset1:1
	v_and_b32_e32 v186, 0x3030303, v119
	v_bfe_u32 v119, v119, 24, 2
	s_waitcnt lgkmcnt(0)
	v_ashrrev_i32_e32 v188, s20, v190
	v_lshlrev_b32_e32 v188, 2, v188
	v_and_b32_e32 v188, 0x4040404, v188
	v_sub_u16_e32 v190, v186, v188
	v_sub_u16_sdwa v192, v186, v188 dst_sel:BYTE_1 dst_unused:UNUSED_PAD src0_sel:BYTE_1 src1_sel:BYTE_1
	v_sub_u16_sdwa v119, v119, v188 dst_sel:BYTE_1 dst_unused:UNUSED_PAD src0_sel:DWORD src1_sel:BYTE_3
	v_sub_u16_sdwa v186, v186, v188 dst_sel:DWORD dst_unused:UNUSED_PAD src0_sel:WORD_1 src1_sel:WORD_1
	v_or_b32_sdwa v190, v190, v192 dst_sel:DWORD dst_unused:UNUSED_PAD src0_sel:BYTE_0 src1_sel:DWORD
	v_or_b32_sdwa v119, v186, v119 dst_sel:WORD_1 dst_unused:UNUSED_PAD src0_sel:BYTE_0 src1_sel:DWORD
	s_nop 0
	v_or_b32_sdwa v188, v190, v119 dst_sel:DWORD dst_unused:UNUSED_PAD src0_sel:WORD_0 src1_sel:DWORD
	v_ashrrev_i32_e32 v119, s23, v189
	v_ashrrev_i32_e32 v189, s20, v191
	v_lshlrev_b32_e32 v189, 2, v189
	v_and_b32_e32 v186, 0x3030303, v119
	v_bfe_u32 v119, v119, 24, 2
	v_and_b32_e32 v189, 0x4040404, v189
	v_sub_u16_e32 v190, v186, v189
	v_sub_u16_sdwa v191, v186, v189 dst_sel:BYTE_1 dst_unused:UNUSED_PAD src0_sel:BYTE_1 src1_sel:BYTE_1
	v_sub_u16_sdwa v119, v119, v189 dst_sel:BYTE_1 dst_unused:UNUSED_PAD src0_sel:DWORD src1_sel:BYTE_3
	v_sub_u16_sdwa v186, v186, v189 dst_sel:DWORD dst_unused:UNUSED_PAD src0_sel:WORD_1 src1_sel:WORD_1
	v_or_b32_sdwa v190, v190, v191 dst_sel:DWORD dst_unused:UNUSED_PAD src0_sel:BYTE_0 src1_sel:DWORD
	v_or_b32_sdwa v119, v186, v119 dst_sel:WORD_1 dst_unused:UNUSED_PAD src0_sel:BYTE_0 src1_sel:DWORD
	v_add_u32_e32 v186, s26, v133
	v_or_b32_sdwa v189, v190, v119 dst_sel:DWORD dst_unused:UNUSED_PAD src0_sel:WORD_0 src1_sel:DWORD
	v_add3_u32 v119, v145, s22, v118
	ds_read_b32 v186, v186
	ds_read_u16 v119, v119 offset:34546
	v_mov_b32_e32 v191, 0
	v_dot4c_i32_i8_e32 v191, v180, v4
	v_dot4c_i32_i8_e32 v191, v182, v5
	;; [unrolled: 1-line block ×3, first 2 shown]
	s_waitcnt lgkmcnt(0)
	v_lshrrev_b16_e32 v192, 8, v119
	v_bfe_i32 v190, v119, 0, 8
	v_mov_b32_e32 v119, 0
	v_dot4c_i32_i8_e32 v119, v185, v0
	v_dot4c_i32_i8_e32 v119, v187, v1
	v_dot4c_i32_i8_e32 v191, v184, v7
	v_dot4c_i32_i8_e32 v119, v188, v2
	v_dot4c_i32_i8_e32 v119, v189, v3
	v_bfe_i32 v192, v192, 0, 8
	v_mul_lo_u32 v194, v191, v190
	s_nop 0
	v_mad_u64_u32 v[194:195], s[28:29], v119, v192, v[194:195]
	v_cvt_f32_i32_e32 v191, v194
	v_mul_f32_e32 v119, v116, v186
	v_fmac_f32_e32 v89, v119, v191
	v_add_u32_e32 v119, s25, v135
	ds_read2_b32 v[194:195], v119 offset1:1
	s_waitcnt lgkmcnt(0)
	v_ashrrev_i32_e32 v191, s23, v194
	v_add_u32_e32 v194, 0x4200, v202
	ds_read2_b32 v[196:197], v194 offset1:1
	v_and_b32_e32 v193, 0x3030303, v191
	v_bfe_u32 v191, v191, 24, 2
	s_waitcnt lgkmcnt(0)
	v_ashrrev_i32_e32 v194, s20, v196
	v_lshlrev_b32_e32 v194, 2, v194
	v_and_b32_e32 v194, 0x4040404, v194
	v_sub_u16_e32 v196, v193, v194
	v_sub_u16_sdwa v198, v193, v194 dst_sel:BYTE_1 dst_unused:UNUSED_PAD src0_sel:BYTE_1 src1_sel:BYTE_1
	v_sub_u16_sdwa v191, v191, v194 dst_sel:BYTE_1 dst_unused:UNUSED_PAD src0_sel:DWORD src1_sel:BYTE_3
	v_sub_u16_sdwa v193, v193, v194 dst_sel:DWORD dst_unused:UNUSED_PAD src0_sel:WORD_1 src1_sel:WORD_1
	v_or_b32_sdwa v191, v193, v191 dst_sel:WORD_1 dst_unused:UNUSED_PAD src0_sel:BYTE_0 src1_sel:DWORD
	v_ashrrev_i32_e32 v193, s23, v195
	v_ashrrev_i32_e32 v195, s20, v197
	v_lshlrev_b32_e32 v195, 2, v195
	v_or_b32_sdwa v196, v196, v198 dst_sel:DWORD dst_unused:UNUSED_PAD src0_sel:BYTE_0 src1_sel:DWORD
	v_and_b32_e32 v194, 0x3030303, v193
	v_bfe_u32 v193, v193, 24, 2
	v_and_b32_e32 v195, 0x4040404, v195
	v_or_b32_sdwa v191, v196, v191 dst_sel:DWORD dst_unused:UNUSED_PAD src0_sel:WORD_0 src1_sel:DWORD
	v_sub_u16_e32 v196, v194, v195
	v_sub_u16_sdwa v197, v194, v195 dst_sel:BYTE_1 dst_unused:UNUSED_PAD src0_sel:BYTE_1 src1_sel:BYTE_1
	v_sub_u16_sdwa v193, v193, v195 dst_sel:BYTE_1 dst_unused:UNUSED_PAD src0_sel:DWORD src1_sel:BYTE_3
	v_sub_u16_sdwa v194, v194, v195 dst_sel:DWORD dst_unused:UNUSED_PAD src0_sel:WORD_1 src1_sel:WORD_1
	v_or_b32_sdwa v196, v196, v197 dst_sel:DWORD dst_unused:UNUSED_PAD src0_sel:BYTE_0 src1_sel:DWORD
	v_or_b32_sdwa v193, v194, v193 dst_sel:WORD_1 dst_unused:UNUSED_PAD src0_sel:BYTE_0 src1_sel:DWORD
	ds_read2_b32 v[194:195], v119 offset0:2 offset1:3
	v_or_b32_sdwa v193, v196, v193 dst_sel:DWORD dst_unused:UNUSED_PAD src0_sel:WORD_0 src1_sel:DWORD
	v_add_u32_e32 v196, 0x4208, v202
	ds_read2_b32 v[196:197], v196 offset1:1
	s_waitcnt lgkmcnt(1)
	v_ashrrev_i32_e32 v194, s23, v194
	v_and_b32_e32 v198, 0x3030303, v194
	v_bfe_u32 v194, v194, 24, 2
	s_waitcnt lgkmcnt(0)
	v_ashrrev_i32_e32 v196, s20, v196
	v_lshlrev_b32_e32 v196, 2, v196
	v_and_b32_e32 v196, 0x4040404, v196
	v_ashrrev_i32_e32 v197, s20, v197
	v_sub_u16_e32 v199, v198, v196
	v_sub_u16_sdwa v200, v198, v196 dst_sel:BYTE_1 dst_unused:UNUSED_PAD src0_sel:BYTE_1 src1_sel:BYTE_1
	v_sub_u16_sdwa v194, v194, v196 dst_sel:BYTE_1 dst_unused:UNUSED_PAD src0_sel:DWORD src1_sel:BYTE_3
	v_sub_u16_sdwa v196, v198, v196 dst_sel:DWORD dst_unused:UNUSED_PAD src0_sel:WORD_1 src1_sel:WORD_1
	v_ashrrev_i32_e32 v195, s23, v195
	v_lshlrev_b32_e32 v197, 2, v197
	v_or_b32_sdwa v199, v199, v200 dst_sel:DWORD dst_unused:UNUSED_PAD src0_sel:BYTE_0 src1_sel:DWORD
	v_or_b32_sdwa v194, v196, v194 dst_sel:WORD_1 dst_unused:UNUSED_PAD src0_sel:BYTE_0 src1_sel:DWORD
	v_and_b32_e32 v196, 0x3030303, v195
	v_bfe_u32 v195, v195, 24, 2
	v_and_b32_e32 v197, 0x4040404, v197
	v_or_b32_sdwa v194, v199, v194 dst_sel:DWORD dst_unused:UNUSED_PAD src0_sel:WORD_0 src1_sel:DWORD
	v_sub_u16_e32 v198, v196, v197
	v_sub_u16_sdwa v199, v196, v197 dst_sel:BYTE_1 dst_unused:UNUSED_PAD src0_sel:BYTE_1 src1_sel:BYTE_1
	v_sub_u16_sdwa v195, v195, v197 dst_sel:BYTE_1 dst_unused:UNUSED_PAD src0_sel:DWORD src1_sel:BYTE_3
	v_sub_u16_sdwa v196, v196, v197 dst_sel:DWORD dst_unused:UNUSED_PAD src0_sel:WORD_1 src1_sel:WORD_1
	v_or_b32_sdwa v198, v198, v199 dst_sel:DWORD dst_unused:UNUSED_PAD src0_sel:BYTE_0 src1_sel:DWORD
	v_or_b32_sdwa v195, v196, v195 dst_sel:WORD_1 dst_unused:UNUSED_PAD src0_sel:BYTE_0 src1_sel:DWORD
	ds_read2_b32 v[196:197], v119 offset0:4 offset1:5
	v_or_b32_sdwa v195, v198, v195 dst_sel:DWORD dst_unused:UNUSED_PAD src0_sel:WORD_0 src1_sel:DWORD
	v_add_u32_e32 v198, 0x4210, v202
	ds_read2_b32 v[198:199], v198 offset1:1
	s_waitcnt lgkmcnt(1)
	v_ashrrev_i32_e32 v196, s23, v196
	v_and_b32_e32 v200, 0x3030303, v196
	v_bfe_u32 v196, v196, 24, 2
	s_waitcnt lgkmcnt(0)
	v_ashrrev_i32_e32 v198, s20, v198
	v_lshlrev_b32_e32 v198, 2, v198
	v_and_b32_e32 v198, 0x4040404, v198
	v_ashrrev_i32_e32 v199, s20, v199
	v_sub_u16_e32 v201, v200, v198
	v_sub_u16_sdwa v203, v200, v198 dst_sel:BYTE_1 dst_unused:UNUSED_PAD src0_sel:BYTE_1 src1_sel:BYTE_1
	v_sub_u16_sdwa v196, v196, v198 dst_sel:BYTE_1 dst_unused:UNUSED_PAD src0_sel:DWORD src1_sel:BYTE_3
	v_sub_u16_sdwa v198, v200, v198 dst_sel:DWORD dst_unused:UNUSED_PAD src0_sel:WORD_1 src1_sel:WORD_1
	v_ashrrev_i32_e32 v197, s23, v197
	v_lshlrev_b32_e32 v199, 2, v199
	v_or_b32_sdwa v201, v201, v203 dst_sel:DWORD dst_unused:UNUSED_PAD src0_sel:BYTE_0 src1_sel:DWORD
	v_or_b32_sdwa v196, v198, v196 dst_sel:WORD_1 dst_unused:UNUSED_PAD src0_sel:BYTE_0 src1_sel:DWORD
	v_and_b32_e32 v198, 0x3030303, v197
	v_bfe_u32 v197, v197, 24, 2
	v_and_b32_e32 v199, 0x4040404, v199
	v_or_b32_sdwa v196, v201, v196 dst_sel:DWORD dst_unused:UNUSED_PAD src0_sel:WORD_0 src1_sel:DWORD
	v_sub_u16_e32 v200, v198, v199
	v_sub_u16_sdwa v201, v198, v199 dst_sel:BYTE_1 dst_unused:UNUSED_PAD src0_sel:BYTE_1 src1_sel:BYTE_1
	v_sub_u16_sdwa v197, v197, v199 dst_sel:BYTE_1 dst_unused:UNUSED_PAD src0_sel:DWORD src1_sel:BYTE_3
	v_sub_u16_sdwa v198, v198, v199 dst_sel:DWORD dst_unused:UNUSED_PAD src0_sel:WORD_1 src1_sel:WORD_1
	v_or_b32_sdwa v200, v200, v201 dst_sel:DWORD dst_unused:UNUSED_PAD src0_sel:BYTE_0 src1_sel:DWORD
	v_or_b32_sdwa v197, v198, v197 dst_sel:WORD_1 dst_unused:UNUSED_PAD src0_sel:BYTE_0 src1_sel:DWORD
	v_add_u32_e32 v199, 0x4218, v202
	v_or_b32_sdwa v198, v200, v197 dst_sel:DWORD dst_unused:UNUSED_PAD src0_sel:WORD_0 src1_sel:DWORD
	ds_read2_b32 v[200:201], v119 offset0:6 offset1:7
	ds_read2_b32 v[202:203], v199 offset1:1
	s_waitcnt lgkmcnt(1)
	v_ashrrev_i32_e32 v119, s23, v200
	s_waitcnt lgkmcnt(0)
	v_ashrrev_i32_e32 v199, s20, v202
	v_lshlrev_b32_e32 v199, 2, v199
	v_and_b32_e32 v197, 0x3030303, v119
	v_bfe_u32 v119, v119, 24, 2
	v_and_b32_e32 v199, 0x4040404, v199
	v_sub_u16_e32 v200, v197, v199
	v_sub_u16_sdwa v202, v197, v199 dst_sel:BYTE_1 dst_unused:UNUSED_PAD src0_sel:BYTE_1 src1_sel:BYTE_1
	v_sub_u16_sdwa v119, v119, v199 dst_sel:BYTE_1 dst_unused:UNUSED_PAD src0_sel:DWORD src1_sel:BYTE_3
	v_sub_u16_sdwa v197, v197, v199 dst_sel:DWORD dst_unused:UNUSED_PAD src0_sel:WORD_1 src1_sel:WORD_1
	v_or_b32_sdwa v200, v200, v202 dst_sel:DWORD dst_unused:UNUSED_PAD src0_sel:BYTE_0 src1_sel:DWORD
	v_or_b32_sdwa v119, v197, v119 dst_sel:WORD_1 dst_unused:UNUSED_PAD src0_sel:BYTE_0 src1_sel:DWORD
	s_nop 0
	v_or_b32_sdwa v199, v200, v119 dst_sel:DWORD dst_unused:UNUSED_PAD src0_sel:WORD_0 src1_sel:DWORD
	v_ashrrev_i32_e32 v200, s20, v203
	v_ashrrev_i32_e32 v119, s23, v201
	v_lshlrev_b32_e32 v200, 2, v200
	v_and_b32_e32 v197, 0x3030303, v119
	v_bfe_u32 v119, v119, 24, 2
	v_and_b32_e32 v200, 0x4040404, v200
	v_sub_u16_e32 v201, v197, v200
	v_sub_u16_sdwa v202, v197, v200 dst_sel:BYTE_1 dst_unused:UNUSED_PAD src0_sel:BYTE_1 src1_sel:BYTE_1
	v_sub_u16_sdwa v119, v119, v200 dst_sel:BYTE_1 dst_unused:UNUSED_PAD src0_sel:DWORD src1_sel:BYTE_3
	v_sub_u16_sdwa v197, v197, v200 dst_sel:DWORD dst_unused:UNUSED_PAD src0_sel:WORD_1 src1_sel:WORD_1
	v_or_b32_sdwa v201, v201, v202 dst_sel:DWORD dst_unused:UNUSED_PAD src0_sel:BYTE_0 src1_sel:DWORD
	v_or_b32_sdwa v119, v197, v119 dst_sel:WORD_1 dst_unused:UNUSED_PAD src0_sel:BYTE_0 src1_sel:DWORD
	v_add_u32_e32 v197, s26, v136
	v_or_b32_sdwa v200, v201, v119 dst_sel:DWORD dst_unused:UNUSED_PAD src0_sel:WORD_0 src1_sel:DWORD
	v_add3_u32 v119, v147, s22, v118
	ds_read_b32 v197, v197
	ds_read_u16 v119, v119 offset:35570
	v_mov_b32_e32 v202, 0
	v_dot4c_i32_i8_e32 v202, v191, v4
	v_dot4c_i32_i8_e32 v202, v193, v5
	;; [unrolled: 1-line block ×3, first 2 shown]
	s_waitcnt lgkmcnt(0)
	v_lshrrev_b16_e32 v203, 8, v119
	v_bfe_i32 v201, v119, 0, 8
	v_mov_b32_e32 v119, 0
	v_dot4c_i32_i8_e32 v119, v196, v0
	v_dot4c_i32_i8_e32 v119, v198, v1
	;; [unrolled: 1-line block ×5, first 2 shown]
	v_bfe_i32 v203, v203, 0, 8
	v_mul_lo_u32 v202, v202, v201
	v_add3_u32 v118, v149, s22, v118
	v_mad_u64_u32 v[204:205], s[28:29], v119, v203, v[202:203]
	v_cvt_f32_i32_e32 v202, v204
	v_mul_f32_e32 v119, v116, v197
	v_fmac_f32_e32 v85, v119, v202
	v_add_u32_e32 v119, s25, v138
	ds_read2_b32 v[204:205], v119 offset1:1
	s_waitcnt lgkmcnt(0)
	v_ashrrev_i32_e32 v202, s23, v204
	v_and_b32_e32 v204, 0x3030303, v202
	v_bfe_u32 v202, v202, 24, 2
	v_sub_u16_e32 v208, v204, v206
	v_sub_u16_sdwa v209, v204, v206 dst_sel:BYTE_1 dst_unused:UNUSED_PAD src0_sel:BYTE_1 src1_sel:BYTE_1
	v_sub_u16_sdwa v202, v202, v206 dst_sel:BYTE_1 dst_unused:UNUSED_PAD src0_sel:DWORD src1_sel:BYTE_3
	v_sub_u16_sdwa v204, v204, v206 dst_sel:DWORD dst_unused:UNUSED_PAD src0_sel:WORD_1 src1_sel:WORD_1
	v_ashrrev_i32_e32 v206, s20, v207
	v_or_b32_sdwa v202, v204, v202 dst_sel:WORD_1 dst_unused:UNUSED_PAD src0_sel:BYTE_0 src1_sel:DWORD
	v_ashrrev_i32_e32 v204, s23, v205
	v_lshlrev_b32_e32 v206, 2, v206
	v_or_b32_sdwa v208, v208, v209 dst_sel:DWORD dst_unused:UNUSED_PAD src0_sel:BYTE_0 src1_sel:DWORD
	v_and_b32_e32 v205, 0x3030303, v204
	v_bfe_u32 v204, v204, 24, 2
	v_and_b32_e32 v206, 0x4040404, v206
	v_or_b32_sdwa v202, v208, v202 dst_sel:DWORD dst_unused:UNUSED_PAD src0_sel:WORD_0 src1_sel:DWORD
	v_sub_u16_e32 v207, v205, v206
	v_sub_u16_sdwa v208, v205, v206 dst_sel:BYTE_1 dst_unused:UNUSED_PAD src0_sel:BYTE_1 src1_sel:BYTE_1
	v_sub_u16_sdwa v204, v204, v206 dst_sel:BYTE_1 dst_unused:UNUSED_PAD src0_sel:DWORD src1_sel:BYTE_3
	v_sub_u16_sdwa v205, v205, v206 dst_sel:DWORD dst_unused:UNUSED_PAD src0_sel:WORD_1 src1_sel:WORD_1
	v_or_b32_sdwa v207, v207, v208 dst_sel:DWORD dst_unused:UNUSED_PAD src0_sel:BYTE_0 src1_sel:DWORD
	v_or_b32_sdwa v204, v205, v204 dst_sel:WORD_1 dst_unused:UNUSED_PAD src0_sel:BYTE_0 src1_sel:DWORD
	v_add_u32_e32 v208, 0x4208, v212
	v_or_b32_sdwa v204, v207, v204 dst_sel:DWORD dst_unused:UNUSED_PAD src0_sel:WORD_0 src1_sel:DWORD
	ds_read2_b32 v[206:207], v119 offset0:2 offset1:3
	ds_read2_b32 v[208:209], v208 offset1:1
	s_waitcnt lgkmcnt(1)
	v_ashrrev_i32_e32 v205, s23, v206
	s_waitcnt lgkmcnt(0)
	v_ashrrev_i32_e32 v208, s20, v208
	v_lshlrev_b32_e32 v208, 2, v208
	v_and_b32_e32 v206, 0x3030303, v205
	v_bfe_u32 v205, v205, 24, 2
	v_and_b32_e32 v208, 0x4040404, v208
	v_sub_u16_e32 v210, v206, v208
	v_sub_u16_sdwa v211, v206, v208 dst_sel:BYTE_1 dst_unused:UNUSED_PAD src0_sel:BYTE_1 src1_sel:BYTE_1
	v_sub_u16_sdwa v205, v205, v208 dst_sel:BYTE_1 dst_unused:UNUSED_PAD src0_sel:DWORD src1_sel:BYTE_3
	v_sub_u16_sdwa v206, v206, v208 dst_sel:DWORD dst_unused:UNUSED_PAD src0_sel:WORD_1 src1_sel:WORD_1
	v_ashrrev_i32_e32 v208, s20, v209
	v_or_b32_sdwa v205, v206, v205 dst_sel:WORD_1 dst_unused:UNUSED_PAD src0_sel:BYTE_0 src1_sel:DWORD
	v_ashrrev_i32_e32 v206, s23, v207
	v_lshlrev_b32_e32 v208, 2, v208
	v_or_b32_sdwa v210, v210, v211 dst_sel:DWORD dst_unused:UNUSED_PAD src0_sel:BYTE_0 src1_sel:DWORD
	v_and_b32_e32 v207, 0x3030303, v206
	v_bfe_u32 v206, v206, 24, 2
	v_and_b32_e32 v208, 0x4040404, v208
	v_or_b32_sdwa v205, v210, v205 dst_sel:DWORD dst_unused:UNUSED_PAD src0_sel:WORD_0 src1_sel:DWORD
	v_sub_u16_e32 v209, v207, v208
	v_sub_u16_sdwa v210, v207, v208 dst_sel:BYTE_1 dst_unused:UNUSED_PAD src0_sel:BYTE_1 src1_sel:BYTE_1
	v_sub_u16_sdwa v206, v206, v208 dst_sel:BYTE_1 dst_unused:UNUSED_PAD src0_sel:DWORD src1_sel:BYTE_3
	v_sub_u16_sdwa v207, v207, v208 dst_sel:DWORD dst_unused:UNUSED_PAD src0_sel:WORD_1 src1_sel:WORD_1
	v_or_b32_sdwa v209, v209, v210 dst_sel:DWORD dst_unused:UNUSED_PAD src0_sel:BYTE_0 src1_sel:DWORD
	v_or_b32_sdwa v206, v207, v206 dst_sel:WORD_1 dst_unused:UNUSED_PAD src0_sel:BYTE_0 src1_sel:DWORD
	v_add_u32_e32 v210, 0x4210, v212
	v_or_b32_sdwa v206, v209, v206 dst_sel:DWORD dst_unused:UNUSED_PAD src0_sel:WORD_0 src1_sel:DWORD
	ds_read2_b32 v[208:209], v119 offset0:4 offset1:5
	ds_read2_b32 v[210:211], v210 offset1:1
	s_waitcnt lgkmcnt(1)
	v_ashrrev_i32_e32 v207, s23, v208
	s_waitcnt lgkmcnt(0)
	v_ashrrev_i32_e32 v210, s20, v210
	v_lshlrev_b32_e32 v210, 2, v210
	v_and_b32_e32 v208, 0x3030303, v207
	v_bfe_u32 v207, v207, 24, 2
	v_and_b32_e32 v210, 0x4040404, v210
	v_sub_u16_e32 v213, v208, v210
	v_sub_u16_sdwa v214, v208, v210 dst_sel:BYTE_1 dst_unused:UNUSED_PAD src0_sel:BYTE_1 src1_sel:BYTE_1
	v_sub_u16_sdwa v207, v207, v210 dst_sel:BYTE_1 dst_unused:UNUSED_PAD src0_sel:DWORD src1_sel:BYTE_3
	v_sub_u16_sdwa v208, v208, v210 dst_sel:DWORD dst_unused:UNUSED_PAD src0_sel:WORD_1 src1_sel:WORD_1
	v_ashrrev_i32_e32 v210, s20, v211
	v_or_b32_sdwa v207, v208, v207 dst_sel:WORD_1 dst_unused:UNUSED_PAD src0_sel:BYTE_0 src1_sel:DWORD
	v_ashrrev_i32_e32 v208, s23, v209
	v_lshlrev_b32_e32 v210, 2, v210
	v_or_b32_sdwa v213, v213, v214 dst_sel:DWORD dst_unused:UNUSED_PAD src0_sel:BYTE_0 src1_sel:DWORD
	v_and_b32_e32 v209, 0x3030303, v208
	v_bfe_u32 v208, v208, 24, 2
	v_and_b32_e32 v210, 0x4040404, v210
	v_or_b32_sdwa v207, v213, v207 dst_sel:DWORD dst_unused:UNUSED_PAD src0_sel:WORD_0 src1_sel:DWORD
	v_sub_u16_e32 v211, v209, v210
	v_sub_u16_sdwa v213, v209, v210 dst_sel:BYTE_1 dst_unused:UNUSED_PAD src0_sel:BYTE_1 src1_sel:BYTE_1
	v_sub_u16_sdwa v208, v208, v210 dst_sel:BYTE_1 dst_unused:UNUSED_PAD src0_sel:DWORD src1_sel:BYTE_3
	v_sub_u16_sdwa v209, v209, v210 dst_sel:DWORD dst_unused:UNUSED_PAD src0_sel:WORD_1 src1_sel:WORD_1
	v_or_b32_sdwa v211, v211, v213 dst_sel:DWORD dst_unused:UNUSED_PAD src0_sel:BYTE_0 src1_sel:DWORD
	v_or_b32_sdwa v208, v209, v208 dst_sel:WORD_1 dst_unused:UNUSED_PAD src0_sel:BYTE_0 src1_sel:DWORD
	s_nop 0
	v_or_b32_sdwa v209, v211, v208 dst_sel:DWORD dst_unused:UNUSED_PAD src0_sel:WORD_0 src1_sel:DWORD
	ds_read2_b32 v[210:211], v119 offset0:6 offset1:7
	s_waitcnt lgkmcnt(0)
	v_ashrrev_i32_e32 v119, s23, v210
	v_add_u32_e32 v210, 0x4218, v212
	ds_read2_b32 v[212:213], v210 offset1:1
	v_and_b32_e32 v208, 0x3030303, v119
	v_bfe_u32 v119, v119, 24, 2
	s_waitcnt lgkmcnt(0)
	v_ashrrev_i32_e32 v210, s20, v212
	v_lshlrev_b32_e32 v210, 2, v210
	v_and_b32_e32 v210, 0x4040404, v210
	v_sub_u16_e32 v212, v208, v210
	v_sub_u16_sdwa v214, v208, v210 dst_sel:BYTE_1 dst_unused:UNUSED_PAD src0_sel:BYTE_1 src1_sel:BYTE_1
	v_sub_u16_sdwa v119, v119, v210 dst_sel:BYTE_1 dst_unused:UNUSED_PAD src0_sel:DWORD src1_sel:BYTE_3
	v_sub_u16_sdwa v208, v208, v210 dst_sel:DWORD dst_unused:UNUSED_PAD src0_sel:WORD_1 src1_sel:WORD_1
	v_or_b32_sdwa v212, v212, v214 dst_sel:DWORD dst_unused:UNUSED_PAD src0_sel:BYTE_0 src1_sel:DWORD
	v_or_b32_sdwa v119, v208, v119 dst_sel:WORD_1 dst_unused:UNUSED_PAD src0_sel:BYTE_0 src1_sel:DWORD
	s_nop 0
	v_or_b32_sdwa v210, v212, v119 dst_sel:DWORD dst_unused:UNUSED_PAD src0_sel:WORD_0 src1_sel:DWORD
	v_ashrrev_i32_e32 v119, s23, v211
	v_ashrrev_i32_e32 v211, s20, v213
	v_lshlrev_b32_e32 v211, 2, v211
	v_and_b32_e32 v208, 0x3030303, v119
	v_bfe_u32 v119, v119, 24, 2
	v_and_b32_e32 v211, 0x4040404, v211
	v_sub_u16_e32 v212, v208, v211
	v_sub_u16_sdwa v213, v208, v211 dst_sel:BYTE_1 dst_unused:UNUSED_PAD src0_sel:BYTE_1 src1_sel:BYTE_1
	v_sub_u16_sdwa v119, v119, v211 dst_sel:BYTE_1 dst_unused:UNUSED_PAD src0_sel:DWORD src1_sel:BYTE_3
	v_sub_u16_sdwa v208, v208, v211 dst_sel:DWORD dst_unused:UNUSED_PAD src0_sel:WORD_1 src1_sel:WORD_1
	v_or_b32_sdwa v212, v212, v213 dst_sel:DWORD dst_unused:UNUSED_PAD src0_sel:BYTE_0 src1_sel:DWORD
	v_or_b32_sdwa v119, v208, v119 dst_sel:WORD_1 dst_unused:UNUSED_PAD src0_sel:BYTE_0 src1_sel:DWORD
	s_add_i32 s20, s20, 1
	v_or_b32_sdwa v211, v212, v119 dst_sel:DWORD dst_unused:UNUSED_PAD src0_sel:WORD_0 src1_sel:DWORD
	v_add_u32_e32 v119, s26, v139
	ds_read_b32 v208, v119
	v_mov_b32_e32 v119, 0
	v_dot4c_i32_i8_e32 v119, v202, v4
	ds_read_u16 v4, v118 offset:36594
	v_dot4c_i32_i8_e32 v119, v204, v5
	v_dot4c_i32_i8_e32 v119, v205, v6
	v_mov_b32_e32 v6, 0
	v_dot4c_i32_i8_e32 v6, v207, v0
	v_dot4c_i32_i8_e32 v6, v209, v1
	;; [unrolled: 1-line block ×3, first 2 shown]
	s_waitcnt lgkmcnt(0)
	v_lshrrev_b16_e32 v5, 8, v4
	v_bfe_i32 v212, v4, 0, 8
	v_dot4c_i32_i8_e32 v6, v210, v2
	v_mul_lo_u32 v4, v119, v212
	v_dot4c_i32_i8_e32 v6, v211, v3
	v_bfe_i32 v213, v5, 0, 8
	v_mov_b32_e32 v118, 0
	s_cmp_lt_u32 s21, 22
	v_mad_u64_u32 v[0:1], s[22:23], v6, v213, v[4:5]
	v_cvt_f32_i32_e32 v0, v0
	v_mul_f32_e32 v1, v116, v208
	v_mov_b32_e32 v116, 0
	v_fmac_f32_e32 v81, v1, v0
	ds_read_b128 v[0:3], v168 offset:1024
	ds_read_b128 v[4:7], v168 offset:1040
	s_waitcnt lgkmcnt(1)
	v_dot4c_i32_i8_e32 v116, v170, v0
	v_dot4c_i32_i8_e32 v116, v171, v1
	s_waitcnt lgkmcnt(0)
	v_dot4c_i32_i8_e32 v118, v175, v4
	v_dot4c_i32_i8_e32 v116, v172, v2
	;; [unrolled: 1-line block ×6, first 2 shown]
	s_nop 0
	v_mul_lo_u32 v116, v116, v179
	s_nop 0
	v_mad_u64_u32 v[118:119], s[22:23], v118, v181, v[116:117]
	v_cvt_f32_i32_e32 v118, v118
	v_mul_f32_e32 v116, v174, v117
	v_fmac_f32_e32 v79, v116, v118
	v_mov_b32_e32 v116, 0
	v_dot4c_i32_i8_e32 v116, v180, v0
	v_mov_b32_e32 v118, 0
	v_dot4c_i32_i8_e32 v116, v182, v1
	v_dot4c_i32_i8_e32 v118, v185, v4
	;; [unrolled: 1-line block ×7, first 2 shown]
	s_nop 0
	v_mul_lo_u32 v116, v116, v190
	s_nop 0
	v_mad_u64_u32 v[118:119], s[22:23], v118, v192, v[116:117]
	v_cvt_f32_i32_e32 v118, v118
	v_mul_f32_e32 v116, v186, v117
	v_fmac_f32_e32 v73, v116, v118
	v_mov_b32_e32 v116, 0
	v_dot4c_i32_i8_e32 v116, v191, v0
	v_mov_b32_e32 v118, 0
	v_dot4c_i32_i8_e32 v116, v193, v1
	v_dot4c_i32_i8_e32 v118, v196, v4
	;; [unrolled: 1-line block ×7, first 2 shown]
	s_nop 0
	v_mul_lo_u32 v116, v116, v201
	s_nop 0
	v_mad_u64_u32 v[118:119], s[22:23], v118, v203, v[116:117]
	v_cvt_f32_i32_e32 v118, v118
	v_mul_f32_e32 v116, v197, v117
	v_mov_b32_e32 v119, 0
	v_fmac_f32_e32 v69, v116, v118
	v_mov_b32_e32 v116, 0
	v_dot4c_i32_i8_e32 v116, v202, v0
	v_dot4c_i32_i8_e32 v116, v204, v1
	v_mov_b32_e32 v1, 0
	v_dot4c_i32_i8_e32 v1, v207, v4
	v_dot4c_i32_i8_e32 v116, v205, v2
	;; [unrolled: 1-line block ×6, first 2 shown]
	v_mov_b32_e32 v118, 0
	v_mul_lo_u32 v0, v116, v212
	s_nop 0
	v_mad_u64_u32 v[0:1], s[22:23], v1, v213, v[0:1]
	v_cvt_f32_i32_e32 v0, v0
	v_mul_f32_e32 v1, v208, v117
	v_fmac_f32_e32 v67, v1, v0
	ds_read2_b32 v[116:117], v169 offset0:64 offset1:96
	ds_read_b128 v[0:3], v168 offset:2048
	ds_read_b128 v[4:7], v168 offset:2064
	s_waitcnt lgkmcnt(1)
	v_dot4c_i32_i8_e32 v118, v170, v0
	v_dot4c_i32_i8_e32 v118, v171, v1
	s_waitcnt lgkmcnt(0)
	v_dot4c_i32_i8_e32 v119, v175, v4
	v_dot4c_i32_i8_e32 v118, v172, v2
	v_dot4c_i32_i8_e32 v119, v176, v5
	v_dot4c_i32_i8_e32 v118, v173, v3
	v_dot4c_i32_i8_e32 v119, v177, v6
	v_dot4c_i32_i8_e32 v119, v178, v7
	s_nop 0
	v_mul_lo_u32 v118, v118, v179
	s_nop 0
	v_mad_u64_u32 v[118:119], s[22:23], v119, v181, v[118:119]
	v_cvt_f32_i32_e32 v118, v118
	v_mul_f32_e32 v119, v174, v116
	v_fmac_f32_e32 v65, v119, v118
	v_mov_b32_e32 v118, 0
	v_dot4c_i32_i8_e32 v118, v180, v0
	v_mov_b32_e32 v119, 0
	v_dot4c_i32_i8_e32 v118, v182, v1
	v_dot4c_i32_i8_e32 v119, v185, v4
	;; [unrolled: 1-line block ×7, first 2 shown]
	s_nop 0
	v_mul_lo_u32 v118, v118, v190
	s_nop 0
	v_mad_u64_u32 v[118:119], s[22:23], v119, v192, v[118:119]
	v_cvt_f32_i32_e32 v118, v118
	v_mul_f32_e32 v119, v186, v116
	v_fmac_f32_e32 v63, v119, v118
	v_mov_b32_e32 v118, 0
	v_dot4c_i32_i8_e32 v118, v191, v0
	v_mov_b32_e32 v119, 0
	v_dot4c_i32_i8_e32 v118, v193, v1
	v_dot4c_i32_i8_e32 v119, v196, v4
	;; [unrolled: 1-line block ×7, first 2 shown]
	s_nop 0
	v_mul_lo_u32 v118, v118, v201
	s_nop 0
	v_mad_u64_u32 v[118:119], s[22:23], v119, v203, v[118:119]
	v_cvt_f32_i32_e32 v118, v118
	v_mul_f32_e32 v119, v197, v116
	v_fmac_f32_e32 v61, v119, v118
	v_mov_b32_e32 v118, 0
	v_dot4c_i32_i8_e32 v118, v202, v0
	v_dot4c_i32_i8_e32 v118, v204, v1
	v_mov_b32_e32 v1, 0
	v_dot4c_i32_i8_e32 v1, v207, v4
	v_dot4c_i32_i8_e32 v118, v205, v2
	;; [unrolled: 1-line block ×6, first 2 shown]
	s_nop 0
	v_mul_lo_u32 v0, v118, v212
	v_mov_b32_e32 v118, 0
	v_mad_u64_u32 v[0:1], s[22:23], v1, v213, v[0:1]
	v_cvt_f32_i32_e32 v0, v0
	v_mul_f32_e32 v1, v208, v116
	v_mov_b32_e32 v116, 0
	v_fmac_f32_e32 v57, v1, v0
	ds_read_b128 v[0:3], v168 offset:3072
	ds_read_b128 v[4:7], v168 offset:3088
	s_waitcnt lgkmcnt(1)
	v_dot4c_i32_i8_e32 v116, v170, v0
	v_dot4c_i32_i8_e32 v116, v171, v1
	s_waitcnt lgkmcnt(0)
	v_dot4c_i32_i8_e32 v118, v175, v4
	v_dot4c_i32_i8_e32 v116, v172, v2
	;; [unrolled: 1-line block ×6, first 2 shown]
	s_nop 0
	v_mul_lo_u32 v116, v116, v179
	s_nop 0
	v_mad_u64_u32 v[118:119], s[22:23], v118, v181, v[116:117]
	v_cvt_f32_i32_e32 v118, v118
	v_mul_f32_e32 v116, v174, v117
	v_fmac_f32_e32 v53, v116, v118
	v_mov_b32_e32 v116, 0
	v_dot4c_i32_i8_e32 v116, v180, v0
	v_mov_b32_e32 v118, 0
	v_dot4c_i32_i8_e32 v116, v182, v1
	v_dot4c_i32_i8_e32 v118, v185, v4
	v_dot4c_i32_i8_e32 v116, v183, v2
	v_dot4c_i32_i8_e32 v118, v187, v5
	v_dot4c_i32_i8_e32 v116, v184, v3
	v_dot4c_i32_i8_e32 v118, v188, v6
	v_dot4c_i32_i8_e32 v118, v189, v7
	s_nop 0
	v_mul_lo_u32 v116, v116, v190
	s_nop 0
	v_mad_u64_u32 v[118:119], s[22:23], v118, v192, v[116:117]
	v_cvt_f32_i32_e32 v118, v118
	v_mul_f32_e32 v116, v186, v117
	v_fmac_f32_e32 v51, v116, v118
	v_mov_b32_e32 v116, 0
	v_dot4c_i32_i8_e32 v116, v191, v0
	v_mov_b32_e32 v118, 0
	v_dot4c_i32_i8_e32 v116, v193, v1
	v_dot4c_i32_i8_e32 v118, v196, v4
	;; [unrolled: 1-line block ×7, first 2 shown]
	s_nop 0
	v_mul_lo_u32 v116, v116, v201
	s_nop 0
	v_mad_u64_u32 v[118:119], s[22:23], v118, v203, v[116:117]
	v_cvt_f32_i32_e32 v118, v118
	v_mul_f32_e32 v116, v197, v117
	v_mov_b32_e32 v119, 0
	v_fmac_f32_e32 v49, v116, v118
	v_mov_b32_e32 v116, 0
	v_dot4c_i32_i8_e32 v116, v202, v0
	v_dot4c_i32_i8_e32 v116, v204, v1
	v_mov_b32_e32 v1, 0
	v_dot4c_i32_i8_e32 v1, v207, v4
	v_dot4c_i32_i8_e32 v116, v205, v2
	;; [unrolled: 1-line block ×6, first 2 shown]
	v_mov_b32_e32 v118, 0
	v_mul_lo_u32 v0, v116, v212
	s_nop 0
	v_mad_u64_u32 v[0:1], s[22:23], v1, v213, v[0:1]
	v_cvt_f32_i32_e32 v0, v0
	v_mul_f32_e32 v1, v208, v117
	v_fmac_f32_e32 v47, v1, v0
	ds_read2_b32 v[116:117], v169 offset0:128 offset1:160
	ds_read_b128 v[0:3], v168 offset:4096
	ds_read_b128 v[4:7], v168 offset:4112
	s_waitcnt lgkmcnt(1)
	v_dot4c_i32_i8_e32 v118, v170, v0
	v_dot4c_i32_i8_e32 v118, v171, v1
	s_waitcnt lgkmcnt(0)
	v_dot4c_i32_i8_e32 v119, v175, v4
	v_dot4c_i32_i8_e32 v118, v172, v2
	;; [unrolled: 1-line block ×6, first 2 shown]
	s_nop 0
	v_mul_lo_u32 v118, v118, v179
	s_nop 0
	v_mad_u64_u32 v[118:119], s[22:23], v119, v181, v[118:119]
	v_cvt_f32_i32_e32 v118, v118
	v_mul_f32_e32 v119, v174, v116
	v_fmac_f32_e32 v45, v119, v118
	v_mov_b32_e32 v118, 0
	v_dot4c_i32_i8_e32 v118, v180, v0
	v_mov_b32_e32 v119, 0
	v_dot4c_i32_i8_e32 v118, v182, v1
	v_dot4c_i32_i8_e32 v119, v185, v4
	;; [unrolled: 1-line block ×7, first 2 shown]
	s_nop 0
	v_mul_lo_u32 v118, v118, v190
	s_nop 0
	v_mad_u64_u32 v[118:119], s[22:23], v119, v192, v[118:119]
	v_cvt_f32_i32_e32 v118, v118
	v_mul_f32_e32 v119, v186, v116
	v_fmac_f32_e32 v43, v119, v118
	v_mov_b32_e32 v118, 0
	v_dot4c_i32_i8_e32 v118, v191, v0
	v_mov_b32_e32 v119, 0
	v_dot4c_i32_i8_e32 v118, v193, v1
	v_dot4c_i32_i8_e32 v119, v196, v4
	v_dot4c_i32_i8_e32 v118, v194, v2
	v_dot4c_i32_i8_e32 v119, v198, v5
	v_dot4c_i32_i8_e32 v118, v195, v3
	v_dot4c_i32_i8_e32 v119, v199, v6
	v_dot4c_i32_i8_e32 v119, v200, v7
	s_nop 0
	v_mul_lo_u32 v118, v118, v201
	s_nop 0
	v_mad_u64_u32 v[118:119], s[22:23], v119, v203, v[118:119]
	v_cvt_f32_i32_e32 v118, v118
	v_mul_f32_e32 v119, v197, v116
	v_fmac_f32_e32 v41, v119, v118
	v_mov_b32_e32 v118, 0
	v_dot4c_i32_i8_e32 v118, v202, v0
	v_dot4c_i32_i8_e32 v118, v204, v1
	v_mov_b32_e32 v1, 0
	v_dot4c_i32_i8_e32 v1, v207, v4
	v_dot4c_i32_i8_e32 v118, v205, v2
	;; [unrolled: 1-line block ×6, first 2 shown]
	s_nop 0
	v_mul_lo_u32 v0, v118, v212
	v_mov_b32_e32 v118, 0
	v_mad_u64_u32 v[0:1], s[22:23], v1, v213, v[0:1]
	v_cvt_f32_i32_e32 v0, v0
	v_mul_f32_e32 v1, v208, v116
	v_mov_b32_e32 v116, 0
	v_fmac_f32_e32 v39, v1, v0
	ds_read_b128 v[0:3], v168 offset:5120
	ds_read_b128 v[4:7], v168 offset:5136
	s_waitcnt lgkmcnt(1)
	v_dot4c_i32_i8_e32 v116, v170, v0
	v_dot4c_i32_i8_e32 v116, v171, v1
	s_waitcnt lgkmcnt(0)
	v_dot4c_i32_i8_e32 v118, v175, v4
	v_dot4c_i32_i8_e32 v116, v172, v2
	;; [unrolled: 1-line block ×6, first 2 shown]
	s_nop 0
	v_mul_lo_u32 v116, v116, v179
	s_nop 0
	v_mad_u64_u32 v[118:119], s[22:23], v118, v181, v[116:117]
	v_cvt_f32_i32_e32 v118, v118
	v_mul_f32_e32 v116, v174, v117
	v_fmac_f32_e32 v37, v116, v118
	v_mov_b32_e32 v116, 0
	v_dot4c_i32_i8_e32 v116, v180, v0
	v_mov_b32_e32 v118, 0
	v_dot4c_i32_i8_e32 v116, v182, v1
	v_dot4c_i32_i8_e32 v118, v185, v4
	;; [unrolled: 1-line block ×7, first 2 shown]
	s_nop 0
	v_mul_lo_u32 v116, v116, v190
	s_nop 0
	v_mad_u64_u32 v[118:119], s[22:23], v118, v192, v[116:117]
	v_cvt_f32_i32_e32 v118, v118
	v_mul_f32_e32 v116, v186, v117
	v_fmac_f32_e32 v35, v116, v118
	v_mov_b32_e32 v116, 0
	v_dot4c_i32_i8_e32 v116, v191, v0
	v_mov_b32_e32 v118, 0
	v_dot4c_i32_i8_e32 v116, v193, v1
	v_dot4c_i32_i8_e32 v118, v196, v4
	;; [unrolled: 1-line block ×7, first 2 shown]
	s_nop 0
	v_mul_lo_u32 v116, v116, v201
	s_nop 0
	v_mad_u64_u32 v[118:119], s[22:23], v118, v203, v[116:117]
	v_cvt_f32_i32_e32 v118, v118
	v_mul_f32_e32 v116, v197, v117
	v_mov_b32_e32 v119, 0
	v_fmac_f32_e32 v33, v116, v118
	v_mov_b32_e32 v116, 0
	v_dot4c_i32_i8_e32 v116, v202, v0
	v_dot4c_i32_i8_e32 v116, v204, v1
	v_mov_b32_e32 v1, 0
	v_dot4c_i32_i8_e32 v1, v207, v4
	v_dot4c_i32_i8_e32 v116, v205, v2
	;; [unrolled: 1-line block ×6, first 2 shown]
	v_mov_b32_e32 v118, 0
	v_mul_lo_u32 v0, v116, v212
	s_nop 0
	v_mad_u64_u32 v[0:1], s[22:23], v1, v213, v[0:1]
	v_cvt_f32_i32_e32 v0, v0
	v_mul_f32_e32 v1, v208, v117
	v_fmac_f32_e32 v31, v1, v0
	ds_read2_b32 v[116:117], v169 offset0:192 offset1:224
	ds_read_b128 v[4:7], v168 offset:6144
	ds_read_b128 v[0:3], v168 offset:6160
	v_add_u32_e32 v169, 4, v169
	s_waitcnt lgkmcnt(1)
	v_dot4c_i32_i8_e32 v118, v170, v4
	v_dot4c_i32_i8_e32 v118, v171, v5
	s_waitcnt lgkmcnt(0)
	v_dot4c_i32_i8_e32 v119, v175, v0
	v_dot4c_i32_i8_e32 v118, v172, v6
	v_dot4c_i32_i8_e32 v119, v176, v1
	v_dot4c_i32_i8_e32 v118, v173, v7
	v_dot4c_i32_i8_e32 v119, v177, v2
	v_dot4c_i32_i8_e32 v119, v178, v3
	s_nop 0
	v_mul_lo_u32 v118, v118, v179
	s_nop 0
	v_mad_u64_u32 v[118:119], s[22:23], v119, v181, v[118:119]
	v_cvt_f32_i32_e32 v118, v118
	v_mul_f32_e32 v119, v174, v116
	v_fmac_f32_e32 v27, v119, v118
	v_mov_b32_e32 v118, 0
	v_dot4c_i32_i8_e32 v118, v180, v4
	v_mov_b32_e32 v119, 0
	v_dot4c_i32_i8_e32 v118, v182, v5
	v_dot4c_i32_i8_e32 v119, v185, v0
	;; [unrolled: 1-line block ×7, first 2 shown]
	s_nop 0
	v_mul_lo_u32 v118, v118, v190
	s_nop 0
	v_mad_u64_u32 v[118:119], s[22:23], v119, v192, v[118:119]
	v_cvt_f32_i32_e32 v118, v118
	v_mul_f32_e32 v119, v186, v116
	v_fmac_f32_e32 v23, v119, v118
	v_mov_b32_e32 v118, 0
	v_dot4c_i32_i8_e32 v118, v191, v4
	v_mov_b32_e32 v119, 0
	v_dot4c_i32_i8_e32 v118, v193, v5
	v_dot4c_i32_i8_e32 v119, v196, v0
	;; [unrolled: 1-line block ×7, first 2 shown]
	s_nop 0
	v_mul_lo_u32 v118, v118, v201
	s_nop 0
	v_mad_u64_u32 v[118:119], s[22:23], v119, v203, v[118:119]
	v_cvt_f32_i32_e32 v118, v118
	v_mul_f32_e32 v119, v197, v116
	v_fmac_f32_e32 v21, v119, v118
	v_mov_b32_e32 v118, 0
	v_dot4c_i32_i8_e32 v118, v202, v4
	v_dot4c_i32_i8_e32 v118, v204, v5
	v_mov_b32_e32 v5, 0
	v_dot4c_i32_i8_e32 v5, v207, v0
	v_dot4c_i32_i8_e32 v118, v205, v6
	;; [unrolled: 1-line block ×6, first 2 shown]
	s_nop 0
	v_mul_lo_u32 v4, v118, v212
	v_mov_b32_e32 v118, 0
	v_mad_u64_u32 v[0:1], s[22:23], v5, v213, v[4:5]
	v_cvt_f32_i32_e32 v0, v0
	v_mul_f32_e32 v1, v208, v116
	v_mov_b32_e32 v116, 0
	v_fmac_f32_e32 v19, v1, v0
	ds_read_b128 v[0:3], v168 offset:7168
	ds_read_b128 v[4:7], v168 offset:7184
	v_add_u32_e32 v168, 32, v168
	s_waitcnt lgkmcnt(1)
	v_dot4c_i32_i8_e32 v116, v170, v0
	v_dot4c_i32_i8_e32 v116, v171, v1
	s_waitcnt lgkmcnt(0)
	v_dot4c_i32_i8_e32 v118, v175, v4
	v_dot4c_i32_i8_e32 v116, v172, v2
	;; [unrolled: 1-line block ×6, first 2 shown]
	s_nop 0
	v_mul_lo_u32 v116, v116, v179
	s_nop 0
	v_mad_u64_u32 v[118:119], s[22:23], v118, v181, v[116:117]
	v_cvt_f32_i32_e32 v118, v118
	v_mul_f32_e32 v116, v174, v117
	v_fmac_f32_e32 v17, v116, v118
	v_mov_b32_e32 v116, 0
	v_dot4c_i32_i8_e32 v116, v180, v0
	v_mov_b32_e32 v118, 0
	v_dot4c_i32_i8_e32 v116, v182, v1
	v_dot4c_i32_i8_e32 v118, v185, v4
	;; [unrolled: 1-line block ×7, first 2 shown]
	s_nop 0
	v_mul_lo_u32 v116, v116, v190
	s_nop 0
	v_mad_u64_u32 v[118:119], s[22:23], v118, v192, v[116:117]
	v_cvt_f32_i32_e32 v118, v118
	v_mul_f32_e32 v116, v186, v117
	v_fmac_f32_e32 v15, v116, v118
	v_mov_b32_e32 v116, 0
	v_dot4c_i32_i8_e32 v116, v191, v0
	v_mov_b32_e32 v118, 0
	v_dot4c_i32_i8_e32 v116, v193, v1
	v_dot4c_i32_i8_e32 v118, v196, v4
	v_dot4c_i32_i8_e32 v116, v194, v2
	v_dot4c_i32_i8_e32 v118, v198, v5
	v_dot4c_i32_i8_e32 v116, v195, v3
	v_dot4c_i32_i8_e32 v118, v199, v6
	v_dot4c_i32_i8_e32 v118, v200, v7
	s_nop 0
	v_mul_lo_u32 v116, v116, v201
	s_nop 0
	v_mad_u64_u32 v[118:119], s[22:23], v118, v203, v[116:117]
	v_cvt_f32_i32_e32 v118, v118
	v_mul_f32_e32 v116, v197, v117
	v_fmac_f32_e32 v13, v116, v118
	v_mov_b32_e32 v116, 0
	v_dot4c_i32_i8_e32 v116, v202, v0
	v_dot4c_i32_i8_e32 v116, v204, v1
	v_mov_b32_e32 v1, 0
	v_dot4c_i32_i8_e32 v1, v207, v4
	v_dot4c_i32_i8_e32 v116, v205, v2
	;; [unrolled: 1-line block ×6, first 2 shown]
	s_nop 0
	v_mul_lo_u32 v0, v116, v212
	s_nop 0
	v_mad_u64_u32 v[0:1], s[22:23], v1, v213, v[0:1]
	v_cvt_f32_i32_e32 v0, v0
	v_mul_f32_e32 v1, v208, v117
	s_mov_b32 s22, s21
	v_fmac_f32_e32 v9, v1, v0
	s_cbranch_scc1 .LBB130_12
; %bb.13:                               ;   in Loop: Header=BB130_6 Depth=1
	v_add_u32_e32 v170, s18, v142
	v_add_u32_e32 v0, v170, v91
	;; [unrolled: 1-line block ×6, first 2 shown]
	v_mad_i64_i32 v[0:1], s[18:19], v0, 36, v[112:113]
	v_mad_i64_i32 v[2:3], s[18:19], v2, 36, v[112:113]
	;; [unrolled: 1-line block ×4, first 2 shown]
	v_add_u32_e32 v116, v170, v115
	v_add_u32_e32 v118, v170, v121
	;; [unrolled: 1-line block ×4, first 2 shown]
	v_mad_u64_u32 v[172:173], s[18:19], v167, 36, s[2:3]
	s_barrier
	v_mad_i64_i32 v[116:117], s[18:19], v116, 36, v[112:113]
	v_mad_i64_i32 v[118:119], s[18:19], v118, 36, v[112:113]
	;; [unrolled: 1-line block ×4, first 2 shown]
	global_load_dword v172, v[172:173], off
	s_nop 0
	global_load_dword v0, v[0:1], off offset:4
	s_nop 0
	global_load_dword v1, v[2:3], off offset:4
	;; [unrolled: 2-line block ×3, first 2 shown]
	global_load_dword v3, v[6:7], off offset:4
	s_nop 0
	global_load_dword v4, v[116:117], off offset:4
	global_load_dword v5, v[118:119], off offset:4
	;; [unrolled: 1-line block ×4, first 2 shown]
	s_mov_b32 s18, 24
	s_mov_b32 s21, 22
	;; [unrolled: 1-line block ×3, first 2 shown]
	v_mov_b32_e32 v167, v152
	v_mov_b32_e32 v168, v151
	s_waitcnt vmcnt(8)
	v_cvt_f32_f16_e32 v116, v172
	s_waitcnt vmcnt(7)
	ds_write_b32 v95, v0
	s_waitcnt vmcnt(6)
	ds_write_b32 v99, v1
	;; [unrolled: 2-line block ×8, first 2 shown]
	ds_write_b32 v87, v116
	s_waitcnt lgkmcnt(0)
	s_barrier
.LBB130_14:                             ;   Parent Loop BB130_6 Depth=1
                                        ; =>  This Inner Loop Header: Depth=2
	s_add_i32 s20, s21, 2
	s_lshr_b32 s25, s20, 4
	s_and_b32 s24, s20, 0x3ffffff8
	s_lshl_b32 s23, s25, 3
	s_lshl_b32 s24, s24, 2
	v_add_lshl_u32 v178, v128, s23, 2
	v_add_u32_e32 v119, s24, v129
	v_add_u32_e32 v172, 0x4200, v178
	ds_read2_b32 v[116:117], v168 offset1:32
	ds_read_b128 v[4:7], v167
	ds_read_b128 v[0:3], v167 offset:16
	ds_read2_b32 v[170:171], v119 offset1:1
	ds_read2_b32 v[172:173], v172 offset1:1
	s_and_b32 s22, s18, -16
	v_add_u32_e32 v118, s22, v127
	s_sub_i32 s22, s21, 22
	s_waitcnt lgkmcnt(1)
	v_ashrrev_i32_e32 v169, s22, v170
	s_waitcnt lgkmcnt(0)
	v_ashrrev_i32_e32 v172, s19, v172
	v_lshlrev_b32_e32 v172, 2, v172
	v_and_b32_e32 v170, 0x3030303, v169
	v_bfe_u32 v169, v169, 24, 2
	v_and_b32_e32 v172, 0x4040404, v172
	v_sub_u16_e32 v174, v170, v172
	v_sub_u16_sdwa v175, v170, v172 dst_sel:BYTE_1 dst_unused:UNUSED_PAD src0_sel:BYTE_1 src1_sel:BYTE_1
	v_sub_u16_sdwa v169, v169, v172 dst_sel:BYTE_1 dst_unused:UNUSED_PAD src0_sel:DWORD src1_sel:BYTE_3
	v_sub_u16_sdwa v170, v170, v172 dst_sel:DWORD dst_unused:UNUSED_PAD src0_sel:WORD_1 src1_sel:WORD_1
	v_ashrrev_i32_e32 v172, s19, v173
	v_or_b32_sdwa v169, v170, v169 dst_sel:WORD_1 dst_unused:UNUSED_PAD src0_sel:BYTE_0 src1_sel:DWORD
	v_ashrrev_i32_e32 v170, s22, v171
	v_lshlrev_b32_e32 v172, 2, v172
	v_or_b32_sdwa v174, v174, v175 dst_sel:DWORD dst_unused:UNUSED_PAD src0_sel:BYTE_0 src1_sel:DWORD
	v_and_b32_e32 v171, 0x3030303, v170
	v_bfe_u32 v170, v170, 24, 2
	v_and_b32_e32 v172, 0x4040404, v172
	v_or_b32_sdwa v169, v174, v169 dst_sel:DWORD dst_unused:UNUSED_PAD src0_sel:WORD_0 src1_sel:DWORD
	v_sub_u16_e32 v173, v171, v172
	v_sub_u16_sdwa v174, v171, v172 dst_sel:BYTE_1 dst_unused:UNUSED_PAD src0_sel:BYTE_1 src1_sel:BYTE_1
	v_sub_u16_sdwa v170, v170, v172 dst_sel:BYTE_1 dst_unused:UNUSED_PAD src0_sel:DWORD src1_sel:BYTE_3
	v_sub_u16_sdwa v171, v171, v172 dst_sel:DWORD dst_unused:UNUSED_PAD src0_sel:WORD_1 src1_sel:WORD_1
	v_or_b32_sdwa v173, v173, v174 dst_sel:DWORD dst_unused:UNUSED_PAD src0_sel:BYTE_0 src1_sel:DWORD
	v_or_b32_sdwa v170, v171, v170 dst_sel:WORD_1 dst_unused:UNUSED_PAD src0_sel:BYTE_0 src1_sel:DWORD
	v_add_u32_e32 v174, 0x4208, v178
	v_or_b32_sdwa v170, v173, v170 dst_sel:DWORD dst_unused:UNUSED_PAD src0_sel:WORD_0 src1_sel:DWORD
	ds_read2_b32 v[172:173], v119 offset0:2 offset1:3
	ds_read2_b32 v[174:175], v174 offset1:1
	s_lshl_b32 s25, s25, 2
	v_add_lshl_u32 v200, v134, s23, 2
	v_add_lshl_u32 v190, v131, s23, 2
	s_waitcnt lgkmcnt(1)
	v_ashrrev_i32_e32 v171, s22, v172
	s_waitcnt lgkmcnt(0)
	v_ashrrev_i32_e32 v174, s19, v174
	v_lshlrev_b32_e32 v174, 2, v174
	v_and_b32_e32 v172, 0x3030303, v171
	v_bfe_u32 v171, v171, 24, 2
	v_and_b32_e32 v174, 0x4040404, v174
	v_sub_u16_e32 v176, v172, v174
	v_sub_u16_sdwa v177, v172, v174 dst_sel:BYTE_1 dst_unused:UNUSED_PAD src0_sel:BYTE_1 src1_sel:BYTE_1
	v_sub_u16_sdwa v171, v171, v174 dst_sel:BYTE_1 dst_unused:UNUSED_PAD src0_sel:DWORD src1_sel:BYTE_3
	v_sub_u16_sdwa v172, v172, v174 dst_sel:DWORD dst_unused:UNUSED_PAD src0_sel:WORD_1 src1_sel:WORD_1
	v_ashrrev_i32_e32 v174, s19, v175
	v_or_b32_sdwa v171, v172, v171 dst_sel:WORD_1 dst_unused:UNUSED_PAD src0_sel:BYTE_0 src1_sel:DWORD
	v_ashrrev_i32_e32 v172, s22, v173
	v_lshlrev_b32_e32 v174, 2, v174
	v_or_b32_sdwa v176, v176, v177 dst_sel:DWORD dst_unused:UNUSED_PAD src0_sel:BYTE_0 src1_sel:DWORD
	v_and_b32_e32 v173, 0x3030303, v172
	v_bfe_u32 v172, v172, 24, 2
	v_and_b32_e32 v174, 0x4040404, v174
	v_or_b32_sdwa v171, v176, v171 dst_sel:DWORD dst_unused:UNUSED_PAD src0_sel:WORD_0 src1_sel:DWORD
	v_sub_u16_e32 v175, v173, v174
	v_sub_u16_sdwa v176, v173, v174 dst_sel:BYTE_1 dst_unused:UNUSED_PAD src0_sel:BYTE_1 src1_sel:BYTE_1
	v_sub_u16_sdwa v172, v172, v174 dst_sel:BYTE_1 dst_unused:UNUSED_PAD src0_sel:DWORD src1_sel:BYTE_3
	v_sub_u16_sdwa v173, v173, v174 dst_sel:DWORD dst_unused:UNUSED_PAD src0_sel:WORD_1 src1_sel:WORD_1
	v_or_b32_sdwa v175, v175, v176 dst_sel:DWORD dst_unused:UNUSED_PAD src0_sel:BYTE_0 src1_sel:DWORD
	v_or_b32_sdwa v172, v173, v172 dst_sel:WORD_1 dst_unused:UNUSED_PAD src0_sel:BYTE_0 src1_sel:DWORD
	v_add_u32_e32 v176, 0x4210, v178
	v_or_b32_sdwa v172, v175, v172 dst_sel:DWORD dst_unused:UNUSED_PAD src0_sel:WORD_0 src1_sel:DWORD
	ds_read2_b32 v[174:175], v119 offset0:4 offset1:5
	ds_read2_b32 v[176:177], v176 offset1:1
	v_add_u32_e32 v194, 0x4200, v200
	v_add_lshl_u32 v212, v137, s23, 2
	s_add_i32 s18, s18, 2
	s_waitcnt lgkmcnt(1)
	v_ashrrev_i32_e32 v173, s22, v174
	s_waitcnt lgkmcnt(0)
	v_ashrrev_i32_e32 v176, s19, v176
	v_lshlrev_b32_e32 v176, 2, v176
	v_and_b32_e32 v174, 0x3030303, v173
	v_bfe_u32 v173, v173, 24, 2
	v_and_b32_e32 v176, 0x4040404, v176
	v_sub_u16_e32 v179, v174, v176
	v_sub_u16_sdwa v180, v174, v176 dst_sel:BYTE_1 dst_unused:UNUSED_PAD src0_sel:BYTE_1 src1_sel:BYTE_1
	v_sub_u16_sdwa v173, v173, v176 dst_sel:BYTE_1 dst_unused:UNUSED_PAD src0_sel:DWORD src1_sel:BYTE_3
	v_sub_u16_sdwa v174, v174, v176 dst_sel:DWORD dst_unused:UNUSED_PAD src0_sel:WORD_1 src1_sel:WORD_1
	v_or_b32_sdwa v179, v179, v180 dst_sel:DWORD dst_unused:UNUSED_PAD src0_sel:BYTE_0 src1_sel:DWORD
	v_or_b32_sdwa v173, v174, v173 dst_sel:WORD_1 dst_unused:UNUSED_PAD src0_sel:BYTE_0 src1_sel:DWORD
	v_ashrrev_i32_e32 v176, s19, v177
	v_or_b32_sdwa v174, v179, v173 dst_sel:DWORD dst_unused:UNUSED_PAD src0_sel:WORD_0 src1_sel:DWORD
	v_ashrrev_i32_e32 v173, s22, v175
	v_lshlrev_b32_e32 v176, 2, v176
	v_and_b32_e32 v175, 0x3030303, v173
	v_bfe_u32 v173, v173, 24, 2
	v_and_b32_e32 v176, 0x4040404, v176
	v_sub_u16_e32 v177, v175, v176
	v_sub_u16_sdwa v179, v175, v176 dst_sel:BYTE_1 dst_unused:UNUSED_PAD src0_sel:BYTE_1 src1_sel:BYTE_1
	v_sub_u16_sdwa v173, v173, v176 dst_sel:BYTE_1 dst_unused:UNUSED_PAD src0_sel:DWORD src1_sel:BYTE_3
	v_sub_u16_sdwa v175, v175, v176 dst_sel:DWORD dst_unused:UNUSED_PAD src0_sel:WORD_1 src1_sel:WORD_1
	v_or_b32_sdwa v177, v177, v179 dst_sel:DWORD dst_unused:UNUSED_PAD src0_sel:BYTE_0 src1_sel:DWORD
	v_or_b32_sdwa v173, v175, v173 dst_sel:WORD_1 dst_unused:UNUSED_PAD src0_sel:BYTE_0 src1_sel:DWORD
	ds_read2_b32 v[194:195], v194 offset1:1
	v_or_b32_sdwa v175, v177, v173 dst_sel:DWORD dst_unused:UNUSED_PAD src0_sel:WORD_0 src1_sel:DWORD
	ds_read2_b32 v[176:177], v119 offset0:6 offset1:7
	s_waitcnt lgkmcnt(1)
	v_ashrrev_i32_e32 v194, s19, v194
	v_lshlrev_b32_e32 v194, 2, v194
	s_waitcnt lgkmcnt(0)
	v_ashrrev_i32_e32 v119, s22, v176
	v_add_u32_e32 v176, 0x4218, v178
	ds_read2_b32 v[178:179], v176 offset1:1
	v_and_b32_e32 v173, 0x3030303, v119
	v_bfe_u32 v119, v119, 24, 2
	v_and_b32_e32 v194, 0x4040404, v194
	s_waitcnt lgkmcnt(0)
	v_ashrrev_i32_e32 v176, s19, v178
	v_lshlrev_b32_e32 v176, 2, v176
	v_and_b32_e32 v176, 0x4040404, v176
	v_sub_u16_e32 v178, v173, v176
	v_sub_u16_sdwa v180, v173, v176 dst_sel:BYTE_1 dst_unused:UNUSED_PAD src0_sel:BYTE_1 src1_sel:BYTE_1
	v_sub_u16_sdwa v119, v119, v176 dst_sel:BYTE_1 dst_unused:UNUSED_PAD src0_sel:DWORD src1_sel:BYTE_3
	v_sub_u16_sdwa v173, v173, v176 dst_sel:DWORD dst_unused:UNUSED_PAD src0_sel:WORD_1 src1_sel:WORD_1
	v_or_b32_sdwa v178, v178, v180 dst_sel:DWORD dst_unused:UNUSED_PAD src0_sel:BYTE_0 src1_sel:DWORD
	v_or_b32_sdwa v119, v173, v119 dst_sel:WORD_1 dst_unused:UNUSED_PAD src0_sel:BYTE_0 src1_sel:DWORD
	s_nop 0
	v_or_b32_sdwa v176, v178, v119 dst_sel:DWORD dst_unused:UNUSED_PAD src0_sel:WORD_0 src1_sel:DWORD
	v_ashrrev_i32_e32 v119, s22, v177
	v_ashrrev_i32_e32 v177, s19, v179
	v_lshlrev_b32_e32 v177, 2, v177
	v_and_b32_e32 v173, 0x3030303, v119
	v_bfe_u32 v119, v119, 24, 2
	v_and_b32_e32 v177, 0x4040404, v177
	v_sub_u16_e32 v178, v173, v177
	v_sub_u16_sdwa v179, v173, v177 dst_sel:BYTE_1 dst_unused:UNUSED_PAD src0_sel:BYTE_1 src1_sel:BYTE_1
	v_sub_u16_sdwa v119, v119, v177 dst_sel:BYTE_1 dst_unused:UNUSED_PAD src0_sel:DWORD src1_sel:BYTE_3
	v_sub_u16_sdwa v173, v173, v177 dst_sel:DWORD dst_unused:UNUSED_PAD src0_sel:WORD_1 src1_sel:WORD_1
	v_or_b32_sdwa v178, v178, v179 dst_sel:DWORD dst_unused:UNUSED_PAD src0_sel:BYTE_0 src1_sel:DWORD
	v_or_b32_sdwa v119, v173, v119 dst_sel:WORD_1 dst_unused:UNUSED_PAD src0_sel:BYTE_0 src1_sel:DWORD
	v_add_u32_e32 v173, s25, v130
	v_or_b32_sdwa v177, v178, v119 dst_sel:DWORD dst_unused:UNUSED_PAD src0_sel:WORD_0 src1_sel:DWORD
	v_add3_u32 v119, v143, s21, v118
	ds_read_b32 v173, v173
	ds_read_u16 v119, v119 offset:33522
	v_mov_b32_e32 v179, 0
	v_dot4c_i32_i8_e32 v179, v169, v4
	v_dot4c_i32_i8_e32 v179, v170, v5
	;; [unrolled: 1-line block ×3, first 2 shown]
	s_waitcnt lgkmcnt(0)
	v_lshrrev_b16_e32 v180, 8, v119
	v_bfe_i32 v178, v119, 0, 8
	v_mov_b32_e32 v119, 0
	v_dot4c_i32_i8_e32 v119, v174, v0
	v_dot4c_i32_i8_e32 v119, v175, v1
	;; [unrolled: 1-line block ×5, first 2 shown]
	v_bfe_i32 v180, v180, 0, 8
	v_mul_lo_u32 v182, v179, v178
	s_nop 0
	v_mad_u64_u32 v[182:183], s[26:27], v119, v180, v[182:183]
	v_cvt_f32_i32_e32 v179, v182
	v_mul_f32_e32 v119, v116, v173
	v_fmac_f32_e32 v105, v119, v179
	v_add_u32_e32 v119, s24, v132
	ds_read2_b32 v[182:183], v119 offset1:1
	s_waitcnt lgkmcnt(0)
	v_ashrrev_i32_e32 v179, s22, v182
	v_add_u32_e32 v182, 0x4200, v190
	ds_read2_b32 v[184:185], v182 offset1:1
	v_and_b32_e32 v181, 0x3030303, v179
	v_bfe_u32 v179, v179, 24, 2
	s_waitcnt lgkmcnt(0)
	v_ashrrev_i32_e32 v182, s19, v184
	v_lshlrev_b32_e32 v182, 2, v182
	v_and_b32_e32 v182, 0x4040404, v182
	v_sub_u16_e32 v184, v181, v182
	v_sub_u16_sdwa v186, v181, v182 dst_sel:BYTE_1 dst_unused:UNUSED_PAD src0_sel:BYTE_1 src1_sel:BYTE_1
	v_sub_u16_sdwa v179, v179, v182 dst_sel:BYTE_1 dst_unused:UNUSED_PAD src0_sel:DWORD src1_sel:BYTE_3
	v_sub_u16_sdwa v181, v181, v182 dst_sel:DWORD dst_unused:UNUSED_PAD src0_sel:WORD_1 src1_sel:WORD_1
	v_or_b32_sdwa v179, v181, v179 dst_sel:WORD_1 dst_unused:UNUSED_PAD src0_sel:BYTE_0 src1_sel:DWORD
	v_ashrrev_i32_e32 v181, s22, v183
	v_ashrrev_i32_e32 v183, s19, v185
	v_lshlrev_b32_e32 v183, 2, v183
	v_or_b32_sdwa v184, v184, v186 dst_sel:DWORD dst_unused:UNUSED_PAD src0_sel:BYTE_0 src1_sel:DWORD
	v_and_b32_e32 v182, 0x3030303, v181
	v_bfe_u32 v181, v181, 24, 2
	v_and_b32_e32 v183, 0x4040404, v183
	v_or_b32_sdwa v179, v184, v179 dst_sel:DWORD dst_unused:UNUSED_PAD src0_sel:WORD_0 src1_sel:DWORD
	v_sub_u16_e32 v184, v182, v183
	v_sub_u16_sdwa v185, v182, v183 dst_sel:BYTE_1 dst_unused:UNUSED_PAD src0_sel:BYTE_1 src1_sel:BYTE_1
	v_sub_u16_sdwa v181, v181, v183 dst_sel:BYTE_1 dst_unused:UNUSED_PAD src0_sel:DWORD src1_sel:BYTE_3
	v_sub_u16_sdwa v182, v182, v183 dst_sel:DWORD dst_unused:UNUSED_PAD src0_sel:WORD_1 src1_sel:WORD_1
	v_or_b32_sdwa v184, v184, v185 dst_sel:DWORD dst_unused:UNUSED_PAD src0_sel:BYTE_0 src1_sel:DWORD
	v_or_b32_sdwa v181, v182, v181 dst_sel:WORD_1 dst_unused:UNUSED_PAD src0_sel:BYTE_0 src1_sel:DWORD
	ds_read2_b32 v[182:183], v119 offset0:2 offset1:3
	v_or_b32_sdwa v181, v184, v181 dst_sel:DWORD dst_unused:UNUSED_PAD src0_sel:WORD_0 src1_sel:DWORD
	v_add_u32_e32 v184, 0x4208, v190
	ds_read2_b32 v[184:185], v184 offset1:1
	s_waitcnt lgkmcnt(1)
	v_ashrrev_i32_e32 v182, s22, v182
	v_and_b32_e32 v186, 0x3030303, v182
	v_bfe_u32 v182, v182, 24, 2
	s_waitcnt lgkmcnt(0)
	v_ashrrev_i32_e32 v184, s19, v184
	v_lshlrev_b32_e32 v184, 2, v184
	v_and_b32_e32 v184, 0x4040404, v184
	v_ashrrev_i32_e32 v185, s19, v185
	v_sub_u16_e32 v187, v186, v184
	v_sub_u16_sdwa v188, v186, v184 dst_sel:BYTE_1 dst_unused:UNUSED_PAD src0_sel:BYTE_1 src1_sel:BYTE_1
	v_sub_u16_sdwa v182, v182, v184 dst_sel:BYTE_1 dst_unused:UNUSED_PAD src0_sel:DWORD src1_sel:BYTE_3
	v_sub_u16_sdwa v184, v186, v184 dst_sel:DWORD dst_unused:UNUSED_PAD src0_sel:WORD_1 src1_sel:WORD_1
	v_ashrrev_i32_e32 v183, s22, v183
	v_lshlrev_b32_e32 v185, 2, v185
	v_or_b32_sdwa v187, v187, v188 dst_sel:DWORD dst_unused:UNUSED_PAD src0_sel:BYTE_0 src1_sel:DWORD
	v_or_b32_sdwa v182, v184, v182 dst_sel:WORD_1 dst_unused:UNUSED_PAD src0_sel:BYTE_0 src1_sel:DWORD
	v_and_b32_e32 v184, 0x3030303, v183
	v_bfe_u32 v183, v183, 24, 2
	v_and_b32_e32 v185, 0x4040404, v185
	v_or_b32_sdwa v182, v187, v182 dst_sel:DWORD dst_unused:UNUSED_PAD src0_sel:WORD_0 src1_sel:DWORD
	v_sub_u16_e32 v186, v184, v185
	v_sub_u16_sdwa v187, v184, v185 dst_sel:BYTE_1 dst_unused:UNUSED_PAD src0_sel:BYTE_1 src1_sel:BYTE_1
	v_sub_u16_sdwa v183, v183, v185 dst_sel:BYTE_1 dst_unused:UNUSED_PAD src0_sel:DWORD src1_sel:BYTE_3
	v_sub_u16_sdwa v184, v184, v185 dst_sel:DWORD dst_unused:UNUSED_PAD src0_sel:WORD_1 src1_sel:WORD_1
	v_or_b32_sdwa v186, v186, v187 dst_sel:DWORD dst_unused:UNUSED_PAD src0_sel:BYTE_0 src1_sel:DWORD
	v_or_b32_sdwa v183, v184, v183 dst_sel:WORD_1 dst_unused:UNUSED_PAD src0_sel:BYTE_0 src1_sel:DWORD
	ds_read2_b32 v[184:185], v119 offset0:4 offset1:5
	v_or_b32_sdwa v183, v186, v183 dst_sel:DWORD dst_unused:UNUSED_PAD src0_sel:WORD_0 src1_sel:DWORD
	v_add_u32_e32 v186, 0x4210, v190
	ds_read2_b32 v[186:187], v186 offset1:1
	s_waitcnt lgkmcnt(1)
	v_ashrrev_i32_e32 v184, s22, v184
	v_and_b32_e32 v188, 0x3030303, v184
	v_bfe_u32 v184, v184, 24, 2
	s_waitcnt lgkmcnt(0)
	v_ashrrev_i32_e32 v186, s19, v186
	v_lshlrev_b32_e32 v186, 2, v186
	v_and_b32_e32 v186, 0x4040404, v186
	v_ashrrev_i32_e32 v187, s19, v187
	v_sub_u16_e32 v189, v188, v186
	v_sub_u16_sdwa v191, v188, v186 dst_sel:BYTE_1 dst_unused:UNUSED_PAD src0_sel:BYTE_1 src1_sel:BYTE_1
	v_sub_u16_sdwa v184, v184, v186 dst_sel:BYTE_1 dst_unused:UNUSED_PAD src0_sel:DWORD src1_sel:BYTE_3
	v_sub_u16_sdwa v186, v188, v186 dst_sel:DWORD dst_unused:UNUSED_PAD src0_sel:WORD_1 src1_sel:WORD_1
	v_ashrrev_i32_e32 v185, s22, v185
	v_lshlrev_b32_e32 v187, 2, v187
	v_or_b32_sdwa v189, v189, v191 dst_sel:DWORD dst_unused:UNUSED_PAD src0_sel:BYTE_0 src1_sel:DWORD
	v_or_b32_sdwa v184, v186, v184 dst_sel:WORD_1 dst_unused:UNUSED_PAD src0_sel:BYTE_0 src1_sel:DWORD
	v_and_b32_e32 v186, 0x3030303, v185
	v_bfe_u32 v185, v185, 24, 2
	v_and_b32_e32 v187, 0x4040404, v187
	v_or_b32_sdwa v184, v189, v184 dst_sel:DWORD dst_unused:UNUSED_PAD src0_sel:WORD_0 src1_sel:DWORD
	v_sub_u16_e32 v188, v186, v187
	v_sub_u16_sdwa v189, v186, v187 dst_sel:BYTE_1 dst_unused:UNUSED_PAD src0_sel:BYTE_1 src1_sel:BYTE_1
	v_sub_u16_sdwa v185, v185, v187 dst_sel:BYTE_1 dst_unused:UNUSED_PAD src0_sel:DWORD src1_sel:BYTE_3
	v_sub_u16_sdwa v186, v186, v187 dst_sel:DWORD dst_unused:UNUSED_PAD src0_sel:WORD_1 src1_sel:WORD_1
	v_or_b32_sdwa v188, v188, v189 dst_sel:DWORD dst_unused:UNUSED_PAD src0_sel:BYTE_0 src1_sel:DWORD
	v_or_b32_sdwa v185, v186, v185 dst_sel:WORD_1 dst_unused:UNUSED_PAD src0_sel:BYTE_0 src1_sel:DWORD
	v_add_u32_e32 v187, 0x4218, v190
	v_or_b32_sdwa v186, v188, v185 dst_sel:DWORD dst_unused:UNUSED_PAD src0_sel:WORD_0 src1_sel:DWORD
	ds_read2_b32 v[188:189], v119 offset0:6 offset1:7
	ds_read2_b32 v[190:191], v187 offset1:1
	s_waitcnt lgkmcnt(1)
	v_ashrrev_i32_e32 v119, s22, v188
	s_waitcnt lgkmcnt(0)
	v_ashrrev_i32_e32 v187, s19, v190
	v_lshlrev_b32_e32 v187, 2, v187
	v_and_b32_e32 v185, 0x3030303, v119
	v_bfe_u32 v119, v119, 24, 2
	v_and_b32_e32 v187, 0x4040404, v187
	v_sub_u16_e32 v188, v185, v187
	v_sub_u16_sdwa v190, v185, v187 dst_sel:BYTE_1 dst_unused:UNUSED_PAD src0_sel:BYTE_1 src1_sel:BYTE_1
	v_sub_u16_sdwa v119, v119, v187 dst_sel:BYTE_1 dst_unused:UNUSED_PAD src0_sel:DWORD src1_sel:BYTE_3
	v_sub_u16_sdwa v185, v185, v187 dst_sel:DWORD dst_unused:UNUSED_PAD src0_sel:WORD_1 src1_sel:WORD_1
	v_or_b32_sdwa v188, v188, v190 dst_sel:DWORD dst_unused:UNUSED_PAD src0_sel:BYTE_0 src1_sel:DWORD
	v_or_b32_sdwa v119, v185, v119 dst_sel:WORD_1 dst_unused:UNUSED_PAD src0_sel:BYTE_0 src1_sel:DWORD
	s_nop 0
	v_or_b32_sdwa v187, v188, v119 dst_sel:DWORD dst_unused:UNUSED_PAD src0_sel:WORD_0 src1_sel:DWORD
	v_ashrrev_i32_e32 v188, s19, v191
	v_ashrrev_i32_e32 v119, s22, v189
	v_lshlrev_b32_e32 v188, 2, v188
	v_and_b32_e32 v185, 0x3030303, v119
	v_bfe_u32 v119, v119, 24, 2
	v_and_b32_e32 v188, 0x4040404, v188
	v_sub_u16_e32 v189, v185, v188
	v_sub_u16_sdwa v190, v185, v188 dst_sel:BYTE_1 dst_unused:UNUSED_PAD src0_sel:BYTE_1 src1_sel:BYTE_1
	v_sub_u16_sdwa v119, v119, v188 dst_sel:BYTE_1 dst_unused:UNUSED_PAD src0_sel:DWORD src1_sel:BYTE_3
	v_sub_u16_sdwa v185, v185, v188 dst_sel:DWORD dst_unused:UNUSED_PAD src0_sel:WORD_1 src1_sel:WORD_1
	v_or_b32_sdwa v189, v189, v190 dst_sel:DWORD dst_unused:UNUSED_PAD src0_sel:BYTE_0 src1_sel:DWORD
	v_or_b32_sdwa v119, v185, v119 dst_sel:WORD_1 dst_unused:UNUSED_PAD src0_sel:BYTE_0 src1_sel:DWORD
	v_add_u32_e32 v185, s25, v133
	v_or_b32_sdwa v188, v189, v119 dst_sel:DWORD dst_unused:UNUSED_PAD src0_sel:WORD_0 src1_sel:DWORD
	v_add3_u32 v119, v145, s21, v118
	ds_read_b32 v185, v185
	ds_read_u16 v119, v119 offset:34546
	v_mov_b32_e32 v190, 0
	v_dot4c_i32_i8_e32 v190, v179, v4
	v_dot4c_i32_i8_e32 v190, v181, v5
	;; [unrolled: 1-line block ×3, first 2 shown]
	s_waitcnt lgkmcnt(0)
	v_lshrrev_b16_e32 v191, 8, v119
	v_bfe_i32 v189, v119, 0, 8
	v_mov_b32_e32 v119, 0
	v_dot4c_i32_i8_e32 v119, v184, v0
	v_dot4c_i32_i8_e32 v119, v186, v1
	;; [unrolled: 1-line block ×5, first 2 shown]
	v_bfe_i32 v191, v191, 0, 8
	v_mul_lo_u32 v190, v190, v189
	s_nop 0
	v_mad_u64_u32 v[192:193], s[26:27], v119, v191, v[190:191]
	v_cvt_f32_i32_e32 v190, v192
	v_mul_f32_e32 v119, v116, v185
	v_fmac_f32_e32 v89, v119, v190
	v_add_u32_e32 v119, s24, v135
	ds_read2_b32 v[192:193], v119 offset1:1
	s_waitcnt lgkmcnt(0)
	v_ashrrev_i32_e32 v190, s22, v192
	v_and_b32_e32 v192, 0x3030303, v190
	v_bfe_u32 v190, v190, 24, 2
	v_sub_u16_e32 v196, v192, v194
	v_sub_u16_sdwa v197, v192, v194 dst_sel:BYTE_1 dst_unused:UNUSED_PAD src0_sel:BYTE_1 src1_sel:BYTE_1
	v_sub_u16_sdwa v190, v190, v194 dst_sel:BYTE_1 dst_unused:UNUSED_PAD src0_sel:DWORD src1_sel:BYTE_3
	v_sub_u16_sdwa v192, v192, v194 dst_sel:DWORD dst_unused:UNUSED_PAD src0_sel:WORD_1 src1_sel:WORD_1
	v_ashrrev_i32_e32 v194, s19, v195
	v_or_b32_sdwa v190, v192, v190 dst_sel:WORD_1 dst_unused:UNUSED_PAD src0_sel:BYTE_0 src1_sel:DWORD
	v_ashrrev_i32_e32 v192, s22, v193
	v_lshlrev_b32_e32 v194, 2, v194
	v_or_b32_sdwa v196, v196, v197 dst_sel:DWORD dst_unused:UNUSED_PAD src0_sel:BYTE_0 src1_sel:DWORD
	v_and_b32_e32 v193, 0x3030303, v192
	v_bfe_u32 v192, v192, 24, 2
	v_and_b32_e32 v194, 0x4040404, v194
	v_or_b32_sdwa v190, v196, v190 dst_sel:DWORD dst_unused:UNUSED_PAD src0_sel:WORD_0 src1_sel:DWORD
	v_sub_u16_e32 v195, v193, v194
	v_sub_u16_sdwa v196, v193, v194 dst_sel:BYTE_1 dst_unused:UNUSED_PAD src0_sel:BYTE_1 src1_sel:BYTE_1
	v_sub_u16_sdwa v192, v192, v194 dst_sel:BYTE_1 dst_unused:UNUSED_PAD src0_sel:DWORD src1_sel:BYTE_3
	v_sub_u16_sdwa v193, v193, v194 dst_sel:DWORD dst_unused:UNUSED_PAD src0_sel:WORD_1 src1_sel:WORD_1
	v_or_b32_sdwa v195, v195, v196 dst_sel:DWORD dst_unused:UNUSED_PAD src0_sel:BYTE_0 src1_sel:DWORD
	v_or_b32_sdwa v192, v193, v192 dst_sel:WORD_1 dst_unused:UNUSED_PAD src0_sel:BYTE_0 src1_sel:DWORD
	v_add_u32_e32 v196, 0x4208, v200
	v_or_b32_sdwa v192, v195, v192 dst_sel:DWORD dst_unused:UNUSED_PAD src0_sel:WORD_0 src1_sel:DWORD
	ds_read2_b32 v[194:195], v119 offset0:2 offset1:3
	ds_read2_b32 v[196:197], v196 offset1:1
	s_waitcnt lgkmcnt(1)
	v_ashrrev_i32_e32 v193, s22, v194
	s_waitcnt lgkmcnt(0)
	v_ashrrev_i32_e32 v196, s19, v196
	v_lshlrev_b32_e32 v196, 2, v196
	v_and_b32_e32 v194, 0x3030303, v193
	v_bfe_u32 v193, v193, 24, 2
	v_and_b32_e32 v196, 0x4040404, v196
	v_sub_u16_e32 v198, v194, v196
	v_sub_u16_sdwa v199, v194, v196 dst_sel:BYTE_1 dst_unused:UNUSED_PAD src0_sel:BYTE_1 src1_sel:BYTE_1
	v_sub_u16_sdwa v193, v193, v196 dst_sel:BYTE_1 dst_unused:UNUSED_PAD src0_sel:DWORD src1_sel:BYTE_3
	v_sub_u16_sdwa v194, v194, v196 dst_sel:DWORD dst_unused:UNUSED_PAD src0_sel:WORD_1 src1_sel:WORD_1
	v_ashrrev_i32_e32 v196, s19, v197
	v_or_b32_sdwa v193, v194, v193 dst_sel:WORD_1 dst_unused:UNUSED_PAD src0_sel:BYTE_0 src1_sel:DWORD
	v_ashrrev_i32_e32 v194, s22, v195
	v_lshlrev_b32_e32 v196, 2, v196
	v_or_b32_sdwa v198, v198, v199 dst_sel:DWORD dst_unused:UNUSED_PAD src0_sel:BYTE_0 src1_sel:DWORD
	v_and_b32_e32 v195, 0x3030303, v194
	v_bfe_u32 v194, v194, 24, 2
	v_and_b32_e32 v196, 0x4040404, v196
	v_or_b32_sdwa v193, v198, v193 dst_sel:DWORD dst_unused:UNUSED_PAD src0_sel:WORD_0 src1_sel:DWORD
	v_sub_u16_e32 v197, v195, v196
	v_sub_u16_sdwa v198, v195, v196 dst_sel:BYTE_1 dst_unused:UNUSED_PAD src0_sel:BYTE_1 src1_sel:BYTE_1
	v_sub_u16_sdwa v194, v194, v196 dst_sel:BYTE_1 dst_unused:UNUSED_PAD src0_sel:DWORD src1_sel:BYTE_3
	v_sub_u16_sdwa v195, v195, v196 dst_sel:DWORD dst_unused:UNUSED_PAD src0_sel:WORD_1 src1_sel:WORD_1
	v_or_b32_sdwa v197, v197, v198 dst_sel:DWORD dst_unused:UNUSED_PAD src0_sel:BYTE_0 src1_sel:DWORD
	v_or_b32_sdwa v194, v195, v194 dst_sel:WORD_1 dst_unused:UNUSED_PAD src0_sel:BYTE_0 src1_sel:DWORD
	v_add_u32_e32 v198, 0x4210, v200
	v_or_b32_sdwa v194, v197, v194 dst_sel:DWORD dst_unused:UNUSED_PAD src0_sel:WORD_0 src1_sel:DWORD
	ds_read2_b32 v[196:197], v119 offset0:4 offset1:5
	ds_read2_b32 v[198:199], v198 offset1:1
	s_waitcnt lgkmcnt(1)
	v_ashrrev_i32_e32 v195, s22, v196
	s_waitcnt lgkmcnt(0)
	v_ashrrev_i32_e32 v198, s19, v198
	v_lshlrev_b32_e32 v198, 2, v198
	v_and_b32_e32 v196, 0x3030303, v195
	v_bfe_u32 v195, v195, 24, 2
	v_and_b32_e32 v198, 0x4040404, v198
	v_sub_u16_e32 v201, v196, v198
	v_sub_u16_sdwa v202, v196, v198 dst_sel:BYTE_1 dst_unused:UNUSED_PAD src0_sel:BYTE_1 src1_sel:BYTE_1
	v_sub_u16_sdwa v195, v195, v198 dst_sel:BYTE_1 dst_unused:UNUSED_PAD src0_sel:DWORD src1_sel:BYTE_3
	v_sub_u16_sdwa v196, v196, v198 dst_sel:DWORD dst_unused:UNUSED_PAD src0_sel:WORD_1 src1_sel:WORD_1
	v_ashrrev_i32_e32 v198, s19, v199
	v_or_b32_sdwa v195, v196, v195 dst_sel:WORD_1 dst_unused:UNUSED_PAD src0_sel:BYTE_0 src1_sel:DWORD
	v_ashrrev_i32_e32 v196, s22, v197
	v_lshlrev_b32_e32 v198, 2, v198
	v_or_b32_sdwa v201, v201, v202 dst_sel:DWORD dst_unused:UNUSED_PAD src0_sel:BYTE_0 src1_sel:DWORD
	v_and_b32_e32 v197, 0x3030303, v196
	v_bfe_u32 v196, v196, 24, 2
	v_and_b32_e32 v198, 0x4040404, v198
	v_or_b32_sdwa v195, v201, v195 dst_sel:DWORD dst_unused:UNUSED_PAD src0_sel:WORD_0 src1_sel:DWORD
	v_sub_u16_e32 v199, v197, v198
	v_sub_u16_sdwa v201, v197, v198 dst_sel:BYTE_1 dst_unused:UNUSED_PAD src0_sel:BYTE_1 src1_sel:BYTE_1
	v_sub_u16_sdwa v196, v196, v198 dst_sel:BYTE_1 dst_unused:UNUSED_PAD src0_sel:DWORD src1_sel:BYTE_3
	v_sub_u16_sdwa v197, v197, v198 dst_sel:DWORD dst_unused:UNUSED_PAD src0_sel:WORD_1 src1_sel:WORD_1
	v_or_b32_sdwa v199, v199, v201 dst_sel:DWORD dst_unused:UNUSED_PAD src0_sel:BYTE_0 src1_sel:DWORD
	v_or_b32_sdwa v196, v197, v196 dst_sel:WORD_1 dst_unused:UNUSED_PAD src0_sel:BYTE_0 src1_sel:DWORD
	s_nop 0
	v_or_b32_sdwa v197, v199, v196 dst_sel:DWORD dst_unused:UNUSED_PAD src0_sel:WORD_0 src1_sel:DWORD
	ds_read2_b32 v[198:199], v119 offset0:6 offset1:7
	s_waitcnt lgkmcnt(0)
	v_ashrrev_i32_e32 v119, s22, v198
	v_add_u32_e32 v198, 0x4218, v200
	ds_read2_b32 v[200:201], v198 offset1:1
	v_and_b32_e32 v196, 0x3030303, v119
	v_bfe_u32 v119, v119, 24, 2
	s_waitcnt lgkmcnt(0)
	v_ashrrev_i32_e32 v198, s19, v200
	v_lshlrev_b32_e32 v198, 2, v198
	v_and_b32_e32 v198, 0x4040404, v198
	v_sub_u16_e32 v200, v196, v198
	v_sub_u16_sdwa v202, v196, v198 dst_sel:BYTE_1 dst_unused:UNUSED_PAD src0_sel:BYTE_1 src1_sel:BYTE_1
	v_sub_u16_sdwa v119, v119, v198 dst_sel:BYTE_1 dst_unused:UNUSED_PAD src0_sel:DWORD src1_sel:BYTE_3
	v_sub_u16_sdwa v196, v196, v198 dst_sel:DWORD dst_unused:UNUSED_PAD src0_sel:WORD_1 src1_sel:WORD_1
	v_or_b32_sdwa v200, v200, v202 dst_sel:DWORD dst_unused:UNUSED_PAD src0_sel:BYTE_0 src1_sel:DWORD
	v_or_b32_sdwa v119, v196, v119 dst_sel:WORD_1 dst_unused:UNUSED_PAD src0_sel:BYTE_0 src1_sel:DWORD
	s_nop 0
	v_or_b32_sdwa v198, v200, v119 dst_sel:DWORD dst_unused:UNUSED_PAD src0_sel:WORD_0 src1_sel:DWORD
	v_ashrrev_i32_e32 v119, s22, v199
	v_ashrrev_i32_e32 v199, s19, v201
	v_lshlrev_b32_e32 v199, 2, v199
	v_and_b32_e32 v196, 0x3030303, v119
	v_bfe_u32 v119, v119, 24, 2
	v_and_b32_e32 v199, 0x4040404, v199
	v_sub_u16_e32 v200, v196, v199
	v_sub_u16_sdwa v201, v196, v199 dst_sel:BYTE_1 dst_unused:UNUSED_PAD src0_sel:BYTE_1 src1_sel:BYTE_1
	v_sub_u16_sdwa v119, v119, v199 dst_sel:BYTE_1 dst_unused:UNUSED_PAD src0_sel:DWORD src1_sel:BYTE_3
	v_sub_u16_sdwa v196, v196, v199 dst_sel:DWORD dst_unused:UNUSED_PAD src0_sel:WORD_1 src1_sel:WORD_1
	v_or_b32_sdwa v200, v200, v201 dst_sel:DWORD dst_unused:UNUSED_PAD src0_sel:BYTE_0 src1_sel:DWORD
	v_or_b32_sdwa v119, v196, v119 dst_sel:WORD_1 dst_unused:UNUSED_PAD src0_sel:BYTE_0 src1_sel:DWORD
	v_add_u32_e32 v196, s25, v136
	v_or_b32_sdwa v199, v200, v119 dst_sel:DWORD dst_unused:UNUSED_PAD src0_sel:WORD_0 src1_sel:DWORD
	v_add3_u32 v119, v147, s21, v118
	ds_read_b32 v196, v196
	ds_read_u16 v119, v119 offset:35570
	v_mov_b32_e32 v201, 0
	v_dot4c_i32_i8_e32 v201, v190, v4
	v_dot4c_i32_i8_e32 v201, v192, v5
	;; [unrolled: 1-line block ×3, first 2 shown]
	s_waitcnt lgkmcnt(0)
	v_lshrrev_b16_e32 v202, 8, v119
	v_bfe_i32 v200, v119, 0, 8
	v_mov_b32_e32 v119, 0
	v_dot4c_i32_i8_e32 v119, v195, v0
	v_dot4c_i32_i8_e32 v119, v197, v1
	;; [unrolled: 1-line block ×5, first 2 shown]
	v_bfe_i32 v202, v202, 0, 8
	v_mul_lo_u32 v204, v201, v200
	v_add3_u32 v118, v149, s21, v118
	v_mad_u64_u32 v[204:205], s[26:27], v119, v202, v[204:205]
	v_cvt_f32_i32_e32 v201, v204
	v_mul_f32_e32 v119, v116, v196
	s_mov_b32 s21, s20
	v_fmac_f32_e32 v85, v119, v201
	v_add_u32_e32 v119, s24, v138
	ds_read2_b32 v[204:205], v119 offset1:1
	s_waitcnt lgkmcnt(0)
	v_ashrrev_i32_e32 v201, s22, v204
	v_add_u32_e32 v204, 0x4200, v212
	ds_read2_b32 v[206:207], v204 offset1:1
	v_and_b32_e32 v203, 0x3030303, v201
	v_bfe_u32 v201, v201, 24, 2
	s_waitcnt lgkmcnt(0)
	v_ashrrev_i32_e32 v204, s19, v206
	v_lshlrev_b32_e32 v204, 2, v204
	v_and_b32_e32 v204, 0x4040404, v204
	v_sub_u16_e32 v206, v203, v204
	v_sub_u16_sdwa v208, v203, v204 dst_sel:BYTE_1 dst_unused:UNUSED_PAD src0_sel:BYTE_1 src1_sel:BYTE_1
	v_sub_u16_sdwa v201, v201, v204 dst_sel:BYTE_1 dst_unused:UNUSED_PAD src0_sel:DWORD src1_sel:BYTE_3
	v_sub_u16_sdwa v203, v203, v204 dst_sel:DWORD dst_unused:UNUSED_PAD src0_sel:WORD_1 src1_sel:WORD_1
	v_or_b32_sdwa v201, v203, v201 dst_sel:WORD_1 dst_unused:UNUSED_PAD src0_sel:BYTE_0 src1_sel:DWORD
	v_ashrrev_i32_e32 v203, s22, v205
	v_ashrrev_i32_e32 v205, s19, v207
	v_lshlrev_b32_e32 v205, 2, v205
	v_or_b32_sdwa v206, v206, v208 dst_sel:DWORD dst_unused:UNUSED_PAD src0_sel:BYTE_0 src1_sel:DWORD
	v_and_b32_e32 v204, 0x3030303, v203
	v_bfe_u32 v203, v203, 24, 2
	v_and_b32_e32 v205, 0x4040404, v205
	v_or_b32_sdwa v201, v206, v201 dst_sel:DWORD dst_unused:UNUSED_PAD src0_sel:WORD_0 src1_sel:DWORD
	v_sub_u16_e32 v206, v204, v205
	v_sub_u16_sdwa v207, v204, v205 dst_sel:BYTE_1 dst_unused:UNUSED_PAD src0_sel:BYTE_1 src1_sel:BYTE_1
	v_sub_u16_sdwa v203, v203, v205 dst_sel:BYTE_1 dst_unused:UNUSED_PAD src0_sel:DWORD src1_sel:BYTE_3
	v_sub_u16_sdwa v204, v204, v205 dst_sel:DWORD dst_unused:UNUSED_PAD src0_sel:WORD_1 src1_sel:WORD_1
	v_or_b32_sdwa v206, v206, v207 dst_sel:DWORD dst_unused:UNUSED_PAD src0_sel:BYTE_0 src1_sel:DWORD
	v_or_b32_sdwa v203, v204, v203 dst_sel:WORD_1 dst_unused:UNUSED_PAD src0_sel:BYTE_0 src1_sel:DWORD
	ds_read2_b32 v[204:205], v119 offset0:2 offset1:3
	v_or_b32_sdwa v203, v206, v203 dst_sel:DWORD dst_unused:UNUSED_PAD src0_sel:WORD_0 src1_sel:DWORD
	v_add_u32_e32 v206, 0x4208, v212
	ds_read2_b32 v[206:207], v206 offset1:1
	s_waitcnt lgkmcnt(1)
	v_ashrrev_i32_e32 v204, s22, v204
	v_and_b32_e32 v208, 0x3030303, v204
	v_bfe_u32 v204, v204, 24, 2
	s_waitcnt lgkmcnt(0)
	v_ashrrev_i32_e32 v206, s19, v206
	v_lshlrev_b32_e32 v206, 2, v206
	v_and_b32_e32 v206, 0x4040404, v206
	v_ashrrev_i32_e32 v207, s19, v207
	v_sub_u16_e32 v209, v208, v206
	v_sub_u16_sdwa v210, v208, v206 dst_sel:BYTE_1 dst_unused:UNUSED_PAD src0_sel:BYTE_1 src1_sel:BYTE_1
	v_sub_u16_sdwa v204, v204, v206 dst_sel:BYTE_1 dst_unused:UNUSED_PAD src0_sel:DWORD src1_sel:BYTE_3
	v_sub_u16_sdwa v206, v208, v206 dst_sel:DWORD dst_unused:UNUSED_PAD src0_sel:WORD_1 src1_sel:WORD_1
	v_ashrrev_i32_e32 v205, s22, v205
	v_lshlrev_b32_e32 v207, 2, v207
	v_or_b32_sdwa v209, v209, v210 dst_sel:DWORD dst_unused:UNUSED_PAD src0_sel:BYTE_0 src1_sel:DWORD
	v_or_b32_sdwa v204, v206, v204 dst_sel:WORD_1 dst_unused:UNUSED_PAD src0_sel:BYTE_0 src1_sel:DWORD
	v_and_b32_e32 v206, 0x3030303, v205
	v_bfe_u32 v205, v205, 24, 2
	v_and_b32_e32 v207, 0x4040404, v207
	v_or_b32_sdwa v204, v209, v204 dst_sel:DWORD dst_unused:UNUSED_PAD src0_sel:WORD_0 src1_sel:DWORD
	v_sub_u16_e32 v208, v206, v207
	v_sub_u16_sdwa v209, v206, v207 dst_sel:BYTE_1 dst_unused:UNUSED_PAD src0_sel:BYTE_1 src1_sel:BYTE_1
	v_sub_u16_sdwa v205, v205, v207 dst_sel:BYTE_1 dst_unused:UNUSED_PAD src0_sel:DWORD src1_sel:BYTE_3
	v_sub_u16_sdwa v206, v206, v207 dst_sel:DWORD dst_unused:UNUSED_PAD src0_sel:WORD_1 src1_sel:WORD_1
	v_or_b32_sdwa v208, v208, v209 dst_sel:DWORD dst_unused:UNUSED_PAD src0_sel:BYTE_0 src1_sel:DWORD
	v_or_b32_sdwa v205, v206, v205 dst_sel:WORD_1 dst_unused:UNUSED_PAD src0_sel:BYTE_0 src1_sel:DWORD
	ds_read2_b32 v[206:207], v119 offset0:4 offset1:5
	v_or_b32_sdwa v205, v208, v205 dst_sel:DWORD dst_unused:UNUSED_PAD src0_sel:WORD_0 src1_sel:DWORD
	v_add_u32_e32 v208, 0x4210, v212
	ds_read2_b32 v[208:209], v208 offset1:1
	s_waitcnt lgkmcnt(1)
	v_ashrrev_i32_e32 v206, s22, v206
	v_and_b32_e32 v210, 0x3030303, v206
	v_bfe_u32 v206, v206, 24, 2
	s_waitcnt lgkmcnt(0)
	v_ashrrev_i32_e32 v208, s19, v208
	v_lshlrev_b32_e32 v208, 2, v208
	v_and_b32_e32 v208, 0x4040404, v208
	v_ashrrev_i32_e32 v209, s19, v209
	v_sub_u16_e32 v211, v210, v208
	v_sub_u16_sdwa v213, v210, v208 dst_sel:BYTE_1 dst_unused:UNUSED_PAD src0_sel:BYTE_1 src1_sel:BYTE_1
	v_sub_u16_sdwa v206, v206, v208 dst_sel:BYTE_1 dst_unused:UNUSED_PAD src0_sel:DWORD src1_sel:BYTE_3
	v_sub_u16_sdwa v208, v210, v208 dst_sel:DWORD dst_unused:UNUSED_PAD src0_sel:WORD_1 src1_sel:WORD_1
	v_ashrrev_i32_e32 v207, s22, v207
	v_lshlrev_b32_e32 v209, 2, v209
	v_or_b32_sdwa v211, v211, v213 dst_sel:DWORD dst_unused:UNUSED_PAD src0_sel:BYTE_0 src1_sel:DWORD
	v_or_b32_sdwa v206, v208, v206 dst_sel:WORD_1 dst_unused:UNUSED_PAD src0_sel:BYTE_0 src1_sel:DWORD
	v_and_b32_e32 v208, 0x3030303, v207
	v_bfe_u32 v207, v207, 24, 2
	v_and_b32_e32 v209, 0x4040404, v209
	v_or_b32_sdwa v206, v211, v206 dst_sel:DWORD dst_unused:UNUSED_PAD src0_sel:WORD_0 src1_sel:DWORD
	v_sub_u16_e32 v210, v208, v209
	v_sub_u16_sdwa v211, v208, v209 dst_sel:BYTE_1 dst_unused:UNUSED_PAD src0_sel:BYTE_1 src1_sel:BYTE_1
	v_sub_u16_sdwa v207, v207, v209 dst_sel:BYTE_1 dst_unused:UNUSED_PAD src0_sel:DWORD src1_sel:BYTE_3
	v_sub_u16_sdwa v208, v208, v209 dst_sel:DWORD dst_unused:UNUSED_PAD src0_sel:WORD_1 src1_sel:WORD_1
	v_or_b32_sdwa v210, v210, v211 dst_sel:DWORD dst_unused:UNUSED_PAD src0_sel:BYTE_0 src1_sel:DWORD
	v_or_b32_sdwa v207, v208, v207 dst_sel:WORD_1 dst_unused:UNUSED_PAD src0_sel:BYTE_0 src1_sel:DWORD
	v_add_u32_e32 v209, 0x4218, v212
	v_or_b32_sdwa v208, v210, v207 dst_sel:DWORD dst_unused:UNUSED_PAD src0_sel:WORD_0 src1_sel:DWORD
	ds_read2_b32 v[210:211], v119 offset0:6 offset1:7
	ds_read2_b32 v[212:213], v209 offset1:1
	s_waitcnt lgkmcnt(1)
	v_ashrrev_i32_e32 v119, s22, v210
	s_waitcnt lgkmcnt(0)
	v_ashrrev_i32_e32 v209, s19, v212
	v_lshlrev_b32_e32 v209, 2, v209
	v_and_b32_e32 v207, 0x3030303, v119
	v_bfe_u32 v119, v119, 24, 2
	v_and_b32_e32 v209, 0x4040404, v209
	v_sub_u16_e32 v210, v207, v209
	v_sub_u16_sdwa v212, v207, v209 dst_sel:BYTE_1 dst_unused:UNUSED_PAD src0_sel:BYTE_1 src1_sel:BYTE_1
	v_sub_u16_sdwa v119, v119, v209 dst_sel:BYTE_1 dst_unused:UNUSED_PAD src0_sel:DWORD src1_sel:BYTE_3
	v_sub_u16_sdwa v207, v207, v209 dst_sel:DWORD dst_unused:UNUSED_PAD src0_sel:WORD_1 src1_sel:WORD_1
	v_or_b32_sdwa v210, v210, v212 dst_sel:DWORD dst_unused:UNUSED_PAD src0_sel:BYTE_0 src1_sel:DWORD
	v_or_b32_sdwa v119, v207, v119 dst_sel:WORD_1 dst_unused:UNUSED_PAD src0_sel:BYTE_0 src1_sel:DWORD
	s_nop 0
	v_or_b32_sdwa v209, v210, v119 dst_sel:DWORD dst_unused:UNUSED_PAD src0_sel:WORD_0 src1_sel:DWORD
	v_ashrrev_i32_e32 v210, s19, v213
	v_ashrrev_i32_e32 v119, s22, v211
	v_lshlrev_b32_e32 v210, 2, v210
	v_and_b32_e32 v207, 0x3030303, v119
	v_bfe_u32 v119, v119, 24, 2
	v_and_b32_e32 v210, 0x4040404, v210
	v_sub_u16_e32 v211, v207, v210
	v_sub_u16_sdwa v212, v207, v210 dst_sel:BYTE_1 dst_unused:UNUSED_PAD src0_sel:BYTE_1 src1_sel:BYTE_1
	v_sub_u16_sdwa v119, v119, v210 dst_sel:BYTE_1 dst_unused:UNUSED_PAD src0_sel:DWORD src1_sel:BYTE_3
	v_sub_u16_sdwa v207, v207, v210 dst_sel:DWORD dst_unused:UNUSED_PAD src0_sel:WORD_1 src1_sel:WORD_1
	v_or_b32_sdwa v211, v211, v212 dst_sel:DWORD dst_unused:UNUSED_PAD src0_sel:BYTE_0 src1_sel:DWORD
	v_or_b32_sdwa v119, v207, v119 dst_sel:WORD_1 dst_unused:UNUSED_PAD src0_sel:BYTE_0 src1_sel:DWORD
	s_add_i32 s19, s19, 1
	v_or_b32_sdwa v210, v211, v119 dst_sel:DWORD dst_unused:UNUSED_PAD src0_sel:WORD_0 src1_sel:DWORD
	v_add_u32_e32 v119, s25, v139
	ds_read_b32 v207, v119
	v_mov_b32_e32 v119, 0
	v_dot4c_i32_i8_e32 v119, v201, v4
	ds_read_u16 v4, v118 offset:36594
	v_dot4c_i32_i8_e32 v119, v203, v5
	v_dot4c_i32_i8_e32 v119, v204, v6
	v_mov_b32_e32 v6, 0
	v_dot4c_i32_i8_e32 v6, v206, v0
	v_dot4c_i32_i8_e32 v6, v208, v1
	;; [unrolled: 1-line block ×3, first 2 shown]
	s_waitcnt lgkmcnt(0)
	v_lshrrev_b16_e32 v5, 8, v4
	v_bfe_i32 v211, v4, 0, 8
	v_dot4c_i32_i8_e32 v6, v209, v2
	v_mul_lo_u32 v4, v119, v211
	v_dot4c_i32_i8_e32 v6, v210, v3
	v_bfe_i32 v212, v5, 0, 8
	v_mov_b32_e32 v118, 0
	s_cmp_lt_u32 s20, 30
	v_mad_u64_u32 v[0:1], s[22:23], v6, v212, v[4:5]
	v_cvt_f32_i32_e32 v0, v0
	v_mul_f32_e32 v1, v116, v207
	v_mov_b32_e32 v116, 0
	v_fmac_f32_e32 v81, v1, v0
	ds_read_b128 v[0:3], v167 offset:1024
	ds_read_b128 v[4:7], v167 offset:1040
	s_waitcnt lgkmcnt(1)
	v_dot4c_i32_i8_e32 v116, v169, v0
	v_dot4c_i32_i8_e32 v116, v170, v1
	s_waitcnt lgkmcnt(0)
	v_dot4c_i32_i8_e32 v118, v174, v4
	v_dot4c_i32_i8_e32 v116, v171, v2
	;; [unrolled: 1-line block ×6, first 2 shown]
	s_nop 0
	v_mul_lo_u32 v116, v116, v178
	s_nop 0
	v_mad_u64_u32 v[118:119], s[22:23], v118, v180, v[116:117]
	v_cvt_f32_i32_e32 v118, v118
	v_mul_f32_e32 v116, v173, v117
	v_fmac_f32_e32 v79, v116, v118
	v_mov_b32_e32 v116, 0
	v_dot4c_i32_i8_e32 v116, v179, v0
	v_mov_b32_e32 v118, 0
	v_dot4c_i32_i8_e32 v116, v181, v1
	v_dot4c_i32_i8_e32 v118, v184, v4
	;; [unrolled: 1-line block ×7, first 2 shown]
	s_nop 0
	v_mul_lo_u32 v116, v116, v189
	s_nop 0
	v_mad_u64_u32 v[118:119], s[22:23], v118, v191, v[116:117]
	v_cvt_f32_i32_e32 v118, v118
	v_mul_f32_e32 v116, v185, v117
	v_fmac_f32_e32 v73, v116, v118
	v_mov_b32_e32 v116, 0
	v_dot4c_i32_i8_e32 v116, v190, v0
	v_mov_b32_e32 v118, 0
	v_dot4c_i32_i8_e32 v116, v192, v1
	v_dot4c_i32_i8_e32 v118, v195, v4
	;; [unrolled: 1-line block ×7, first 2 shown]
	s_nop 0
	v_mul_lo_u32 v116, v116, v200
	s_nop 0
	v_mad_u64_u32 v[118:119], s[22:23], v118, v202, v[116:117]
	v_cvt_f32_i32_e32 v118, v118
	v_mul_f32_e32 v116, v196, v117
	v_mov_b32_e32 v119, 0
	v_fmac_f32_e32 v69, v116, v118
	v_mov_b32_e32 v116, 0
	v_dot4c_i32_i8_e32 v116, v201, v0
	v_dot4c_i32_i8_e32 v116, v203, v1
	v_mov_b32_e32 v1, 0
	v_dot4c_i32_i8_e32 v1, v206, v4
	v_dot4c_i32_i8_e32 v116, v204, v2
	;; [unrolled: 1-line block ×6, first 2 shown]
	v_mov_b32_e32 v118, 0
	v_mul_lo_u32 v0, v116, v211
	s_nop 0
	v_mad_u64_u32 v[0:1], s[22:23], v1, v212, v[0:1]
	v_cvt_f32_i32_e32 v0, v0
	v_mul_f32_e32 v1, v207, v117
	v_fmac_f32_e32 v67, v1, v0
	ds_read2_b32 v[116:117], v168 offset0:64 offset1:96
	ds_read_b128 v[0:3], v167 offset:2048
	ds_read_b128 v[4:7], v167 offset:2064
	s_waitcnt lgkmcnt(1)
	v_dot4c_i32_i8_e32 v118, v169, v0
	v_dot4c_i32_i8_e32 v118, v170, v1
	s_waitcnt lgkmcnt(0)
	v_dot4c_i32_i8_e32 v119, v174, v4
	v_dot4c_i32_i8_e32 v118, v171, v2
	;; [unrolled: 1-line block ×6, first 2 shown]
	s_nop 0
	v_mul_lo_u32 v118, v118, v178
	s_nop 0
	v_mad_u64_u32 v[118:119], s[22:23], v119, v180, v[118:119]
	v_cvt_f32_i32_e32 v118, v118
	v_mul_f32_e32 v119, v173, v116
	v_fmac_f32_e32 v65, v119, v118
	v_mov_b32_e32 v118, 0
	v_dot4c_i32_i8_e32 v118, v179, v0
	v_mov_b32_e32 v119, 0
	v_dot4c_i32_i8_e32 v118, v181, v1
	v_dot4c_i32_i8_e32 v119, v184, v4
	;; [unrolled: 1-line block ×7, first 2 shown]
	s_nop 0
	v_mul_lo_u32 v118, v118, v189
	s_nop 0
	v_mad_u64_u32 v[118:119], s[22:23], v119, v191, v[118:119]
	v_cvt_f32_i32_e32 v118, v118
	v_mul_f32_e32 v119, v185, v116
	v_fmac_f32_e32 v63, v119, v118
	v_mov_b32_e32 v118, 0
	v_dot4c_i32_i8_e32 v118, v190, v0
	v_mov_b32_e32 v119, 0
	v_dot4c_i32_i8_e32 v118, v192, v1
	v_dot4c_i32_i8_e32 v119, v195, v4
	;; [unrolled: 1-line block ×7, first 2 shown]
	s_nop 0
	v_mul_lo_u32 v118, v118, v200
	s_nop 0
	v_mad_u64_u32 v[118:119], s[22:23], v119, v202, v[118:119]
	v_cvt_f32_i32_e32 v118, v118
	v_mul_f32_e32 v119, v196, v116
	v_fmac_f32_e32 v61, v119, v118
	v_mov_b32_e32 v118, 0
	v_dot4c_i32_i8_e32 v118, v201, v0
	v_dot4c_i32_i8_e32 v118, v203, v1
	v_mov_b32_e32 v1, 0
	v_dot4c_i32_i8_e32 v1, v206, v4
	v_dot4c_i32_i8_e32 v118, v204, v2
	;; [unrolled: 1-line block ×6, first 2 shown]
	s_nop 0
	v_mul_lo_u32 v0, v118, v211
	v_mov_b32_e32 v118, 0
	v_mad_u64_u32 v[0:1], s[22:23], v1, v212, v[0:1]
	v_cvt_f32_i32_e32 v0, v0
	v_mul_f32_e32 v1, v207, v116
	v_mov_b32_e32 v116, 0
	v_fmac_f32_e32 v57, v1, v0
	ds_read_b128 v[0:3], v167 offset:3072
	ds_read_b128 v[4:7], v167 offset:3088
	s_waitcnt lgkmcnt(1)
	v_dot4c_i32_i8_e32 v116, v169, v0
	v_dot4c_i32_i8_e32 v116, v170, v1
	s_waitcnt lgkmcnt(0)
	v_dot4c_i32_i8_e32 v118, v174, v4
	v_dot4c_i32_i8_e32 v116, v171, v2
	;; [unrolled: 1-line block ×6, first 2 shown]
	s_nop 0
	v_mul_lo_u32 v116, v116, v178
	s_nop 0
	v_mad_u64_u32 v[118:119], s[22:23], v118, v180, v[116:117]
	v_cvt_f32_i32_e32 v118, v118
	v_mul_f32_e32 v116, v173, v117
	v_fmac_f32_e32 v53, v116, v118
	v_mov_b32_e32 v116, 0
	v_dot4c_i32_i8_e32 v116, v179, v0
	v_mov_b32_e32 v118, 0
	v_dot4c_i32_i8_e32 v116, v181, v1
	v_dot4c_i32_i8_e32 v118, v184, v4
	v_dot4c_i32_i8_e32 v116, v182, v2
	v_dot4c_i32_i8_e32 v118, v186, v5
	v_dot4c_i32_i8_e32 v116, v183, v3
	v_dot4c_i32_i8_e32 v118, v187, v6
	v_dot4c_i32_i8_e32 v118, v188, v7
	s_nop 0
	v_mul_lo_u32 v116, v116, v189
	s_nop 0
	v_mad_u64_u32 v[118:119], s[22:23], v118, v191, v[116:117]
	v_cvt_f32_i32_e32 v118, v118
	v_mul_f32_e32 v116, v185, v117
	v_fmac_f32_e32 v51, v116, v118
	v_mov_b32_e32 v116, 0
	v_dot4c_i32_i8_e32 v116, v190, v0
	v_mov_b32_e32 v118, 0
	v_dot4c_i32_i8_e32 v116, v192, v1
	v_dot4c_i32_i8_e32 v118, v195, v4
	v_dot4c_i32_i8_e32 v116, v193, v2
	v_dot4c_i32_i8_e32 v118, v197, v5
	v_dot4c_i32_i8_e32 v116, v194, v3
	v_dot4c_i32_i8_e32 v118, v198, v6
	v_dot4c_i32_i8_e32 v118, v199, v7
	s_nop 0
	v_mul_lo_u32 v116, v116, v200
	s_nop 0
	v_mad_u64_u32 v[118:119], s[22:23], v118, v202, v[116:117]
	v_cvt_f32_i32_e32 v118, v118
	v_mul_f32_e32 v116, v196, v117
	v_mov_b32_e32 v119, 0
	v_fmac_f32_e32 v49, v116, v118
	v_mov_b32_e32 v116, 0
	v_dot4c_i32_i8_e32 v116, v201, v0
	v_dot4c_i32_i8_e32 v116, v203, v1
	v_mov_b32_e32 v1, 0
	v_dot4c_i32_i8_e32 v1, v206, v4
	v_dot4c_i32_i8_e32 v116, v204, v2
	;; [unrolled: 1-line block ×6, first 2 shown]
	v_mov_b32_e32 v118, 0
	v_mul_lo_u32 v0, v116, v211
	s_nop 0
	v_mad_u64_u32 v[0:1], s[22:23], v1, v212, v[0:1]
	v_cvt_f32_i32_e32 v0, v0
	v_mul_f32_e32 v1, v207, v117
	v_fmac_f32_e32 v47, v1, v0
	ds_read2_b32 v[116:117], v168 offset0:128 offset1:160
	ds_read_b128 v[0:3], v167 offset:4096
	ds_read_b128 v[4:7], v167 offset:4112
	s_waitcnt lgkmcnt(1)
	v_dot4c_i32_i8_e32 v118, v169, v0
	v_dot4c_i32_i8_e32 v118, v170, v1
	s_waitcnt lgkmcnt(0)
	v_dot4c_i32_i8_e32 v119, v174, v4
	v_dot4c_i32_i8_e32 v118, v171, v2
	;; [unrolled: 1-line block ×6, first 2 shown]
	s_nop 0
	v_mul_lo_u32 v118, v118, v178
	s_nop 0
	v_mad_u64_u32 v[118:119], s[22:23], v119, v180, v[118:119]
	v_cvt_f32_i32_e32 v118, v118
	v_mul_f32_e32 v119, v173, v116
	v_fmac_f32_e32 v45, v119, v118
	v_mov_b32_e32 v118, 0
	v_dot4c_i32_i8_e32 v118, v179, v0
	v_mov_b32_e32 v119, 0
	v_dot4c_i32_i8_e32 v118, v181, v1
	v_dot4c_i32_i8_e32 v119, v184, v4
	;; [unrolled: 1-line block ×7, first 2 shown]
	s_nop 0
	v_mul_lo_u32 v118, v118, v189
	s_nop 0
	v_mad_u64_u32 v[118:119], s[22:23], v119, v191, v[118:119]
	v_cvt_f32_i32_e32 v118, v118
	v_mul_f32_e32 v119, v185, v116
	v_fmac_f32_e32 v43, v119, v118
	v_mov_b32_e32 v118, 0
	v_dot4c_i32_i8_e32 v118, v190, v0
	v_mov_b32_e32 v119, 0
	v_dot4c_i32_i8_e32 v118, v192, v1
	v_dot4c_i32_i8_e32 v119, v195, v4
	;; [unrolled: 1-line block ×7, first 2 shown]
	s_nop 0
	v_mul_lo_u32 v118, v118, v200
	s_nop 0
	v_mad_u64_u32 v[118:119], s[22:23], v119, v202, v[118:119]
	v_cvt_f32_i32_e32 v118, v118
	v_mul_f32_e32 v119, v196, v116
	v_fmac_f32_e32 v41, v119, v118
	v_mov_b32_e32 v118, 0
	v_dot4c_i32_i8_e32 v118, v201, v0
	v_dot4c_i32_i8_e32 v118, v203, v1
	v_mov_b32_e32 v1, 0
	v_dot4c_i32_i8_e32 v1, v206, v4
	v_dot4c_i32_i8_e32 v118, v204, v2
	;; [unrolled: 1-line block ×6, first 2 shown]
	s_nop 0
	v_mul_lo_u32 v0, v118, v211
	v_mov_b32_e32 v118, 0
	v_mad_u64_u32 v[0:1], s[22:23], v1, v212, v[0:1]
	v_cvt_f32_i32_e32 v0, v0
	v_mul_f32_e32 v1, v207, v116
	v_mov_b32_e32 v116, 0
	v_fmac_f32_e32 v39, v1, v0
	ds_read_b128 v[0:3], v167 offset:5120
	ds_read_b128 v[4:7], v167 offset:5136
	s_waitcnt lgkmcnt(1)
	v_dot4c_i32_i8_e32 v116, v169, v0
	v_dot4c_i32_i8_e32 v116, v170, v1
	s_waitcnt lgkmcnt(0)
	v_dot4c_i32_i8_e32 v118, v174, v4
	v_dot4c_i32_i8_e32 v116, v171, v2
	v_dot4c_i32_i8_e32 v118, v175, v5
	v_dot4c_i32_i8_e32 v116, v172, v3
	v_dot4c_i32_i8_e32 v118, v176, v6
	v_dot4c_i32_i8_e32 v118, v177, v7
	s_nop 0
	v_mul_lo_u32 v116, v116, v178
	s_nop 0
	v_mad_u64_u32 v[118:119], s[22:23], v118, v180, v[116:117]
	v_cvt_f32_i32_e32 v118, v118
	v_mul_f32_e32 v116, v173, v117
	v_fmac_f32_e32 v37, v116, v118
	v_mov_b32_e32 v116, 0
	v_dot4c_i32_i8_e32 v116, v179, v0
	v_mov_b32_e32 v118, 0
	v_dot4c_i32_i8_e32 v116, v181, v1
	v_dot4c_i32_i8_e32 v118, v184, v4
	;; [unrolled: 1-line block ×7, first 2 shown]
	s_nop 0
	v_mul_lo_u32 v116, v116, v189
	s_nop 0
	v_mad_u64_u32 v[118:119], s[22:23], v118, v191, v[116:117]
	v_cvt_f32_i32_e32 v118, v118
	v_mul_f32_e32 v116, v185, v117
	v_fmac_f32_e32 v35, v116, v118
	v_mov_b32_e32 v116, 0
	v_dot4c_i32_i8_e32 v116, v190, v0
	v_mov_b32_e32 v118, 0
	v_dot4c_i32_i8_e32 v116, v192, v1
	v_dot4c_i32_i8_e32 v118, v195, v4
	;; [unrolled: 1-line block ×7, first 2 shown]
	s_nop 0
	v_mul_lo_u32 v116, v116, v200
	s_nop 0
	v_mad_u64_u32 v[118:119], s[22:23], v118, v202, v[116:117]
	v_cvt_f32_i32_e32 v118, v118
	v_mul_f32_e32 v116, v196, v117
	v_mov_b32_e32 v119, 0
	v_fmac_f32_e32 v33, v116, v118
	v_mov_b32_e32 v116, 0
	v_dot4c_i32_i8_e32 v116, v201, v0
	v_dot4c_i32_i8_e32 v116, v203, v1
	v_mov_b32_e32 v1, 0
	v_dot4c_i32_i8_e32 v1, v206, v4
	v_dot4c_i32_i8_e32 v116, v204, v2
	;; [unrolled: 1-line block ×6, first 2 shown]
	v_mov_b32_e32 v118, 0
	v_mul_lo_u32 v0, v116, v211
	s_nop 0
	v_mad_u64_u32 v[0:1], s[22:23], v1, v212, v[0:1]
	v_cvt_f32_i32_e32 v0, v0
	v_mul_f32_e32 v1, v207, v117
	v_fmac_f32_e32 v31, v1, v0
	ds_read2_b32 v[116:117], v168 offset0:192 offset1:224
	ds_read_b128 v[4:7], v167 offset:6144
	ds_read_b128 v[0:3], v167 offset:6160
	v_add_u32_e32 v168, 4, v168
	s_waitcnt lgkmcnt(1)
	v_dot4c_i32_i8_e32 v118, v169, v4
	v_dot4c_i32_i8_e32 v118, v170, v5
	s_waitcnt lgkmcnt(0)
	v_dot4c_i32_i8_e32 v119, v174, v0
	v_dot4c_i32_i8_e32 v118, v171, v6
	;; [unrolled: 1-line block ×6, first 2 shown]
	s_nop 0
	v_mul_lo_u32 v118, v118, v178
	s_nop 0
	v_mad_u64_u32 v[118:119], s[22:23], v119, v180, v[118:119]
	v_cvt_f32_i32_e32 v118, v118
	v_mul_f32_e32 v119, v173, v116
	v_fmac_f32_e32 v27, v119, v118
	v_mov_b32_e32 v118, 0
	v_dot4c_i32_i8_e32 v118, v179, v4
	v_mov_b32_e32 v119, 0
	v_dot4c_i32_i8_e32 v118, v181, v5
	v_dot4c_i32_i8_e32 v119, v184, v0
	;; [unrolled: 1-line block ×7, first 2 shown]
	s_nop 0
	v_mul_lo_u32 v118, v118, v189
	s_nop 0
	v_mad_u64_u32 v[118:119], s[22:23], v119, v191, v[118:119]
	v_cvt_f32_i32_e32 v118, v118
	v_mul_f32_e32 v119, v185, v116
	v_fmac_f32_e32 v23, v119, v118
	v_mov_b32_e32 v118, 0
	v_dot4c_i32_i8_e32 v118, v190, v4
	v_mov_b32_e32 v119, 0
	v_dot4c_i32_i8_e32 v118, v192, v5
	v_dot4c_i32_i8_e32 v119, v195, v0
	;; [unrolled: 1-line block ×7, first 2 shown]
	s_nop 0
	v_mul_lo_u32 v118, v118, v200
	s_nop 0
	v_mad_u64_u32 v[118:119], s[22:23], v119, v202, v[118:119]
	v_cvt_f32_i32_e32 v118, v118
	v_mul_f32_e32 v119, v196, v116
	v_fmac_f32_e32 v21, v119, v118
	v_mov_b32_e32 v118, 0
	v_dot4c_i32_i8_e32 v118, v201, v4
	v_dot4c_i32_i8_e32 v118, v203, v5
	v_mov_b32_e32 v5, 0
	v_dot4c_i32_i8_e32 v5, v206, v0
	v_dot4c_i32_i8_e32 v118, v204, v6
	;; [unrolled: 1-line block ×6, first 2 shown]
	s_nop 0
	v_mul_lo_u32 v4, v118, v211
	v_mov_b32_e32 v118, 0
	v_mad_u64_u32 v[0:1], s[22:23], v5, v212, v[4:5]
	v_cvt_f32_i32_e32 v0, v0
	v_mul_f32_e32 v1, v207, v116
	v_mov_b32_e32 v116, 0
	v_fmac_f32_e32 v19, v1, v0
	ds_read_b128 v[0:3], v167 offset:7168
	ds_read_b128 v[4:7], v167 offset:7184
	v_add_u32_e32 v167, 32, v167
	s_waitcnt lgkmcnt(1)
	v_dot4c_i32_i8_e32 v116, v169, v0
	v_dot4c_i32_i8_e32 v116, v170, v1
	s_waitcnt lgkmcnt(0)
	v_dot4c_i32_i8_e32 v118, v174, v4
	v_dot4c_i32_i8_e32 v116, v171, v2
	;; [unrolled: 1-line block ×6, first 2 shown]
	s_nop 0
	v_mul_lo_u32 v116, v116, v178
	s_nop 0
	v_mad_u64_u32 v[118:119], s[22:23], v118, v180, v[116:117]
	v_cvt_f32_i32_e32 v118, v118
	v_mul_f32_e32 v116, v173, v117
	v_fmac_f32_e32 v17, v116, v118
	v_mov_b32_e32 v116, 0
	v_dot4c_i32_i8_e32 v116, v179, v0
	v_mov_b32_e32 v118, 0
	v_dot4c_i32_i8_e32 v116, v181, v1
	v_dot4c_i32_i8_e32 v118, v184, v4
	;; [unrolled: 1-line block ×7, first 2 shown]
	s_nop 0
	v_mul_lo_u32 v116, v116, v189
	s_nop 0
	v_mad_u64_u32 v[118:119], s[22:23], v118, v191, v[116:117]
	v_cvt_f32_i32_e32 v118, v118
	v_mul_f32_e32 v116, v185, v117
	v_fmac_f32_e32 v15, v116, v118
	v_mov_b32_e32 v116, 0
	v_dot4c_i32_i8_e32 v116, v190, v0
	v_mov_b32_e32 v118, 0
	v_dot4c_i32_i8_e32 v116, v192, v1
	v_dot4c_i32_i8_e32 v118, v195, v4
	;; [unrolled: 1-line block ×7, first 2 shown]
	s_nop 0
	v_mul_lo_u32 v116, v116, v200
	s_nop 0
	v_mad_u64_u32 v[118:119], s[22:23], v118, v202, v[116:117]
	v_cvt_f32_i32_e32 v118, v118
	v_mul_f32_e32 v116, v196, v117
	v_fmac_f32_e32 v13, v116, v118
	v_mov_b32_e32 v116, 0
	v_dot4c_i32_i8_e32 v116, v201, v0
	v_dot4c_i32_i8_e32 v116, v203, v1
	v_mov_b32_e32 v1, 0
	v_dot4c_i32_i8_e32 v1, v206, v4
	v_dot4c_i32_i8_e32 v116, v204, v2
	;; [unrolled: 1-line block ×6, first 2 shown]
	s_nop 0
	v_mul_lo_u32 v0, v116, v211
	s_nop 0
	v_mad_u64_u32 v[0:1], s[22:23], v1, v212, v[0:1]
	v_cvt_f32_i32_e32 v0, v0
	v_mul_f32_e32 v1, v207, v117
	v_fmac_f32_e32 v9, v1, v0
	s_cbranch_scc1 .LBB130_14
; %bb.15:                               ;   in Loop: Header=BB130_6 Depth=1
	s_barrier
	s_branch .LBB130_5
.LBB130_16:
	v_mov_b32_e32 v1, v29
.LBB130_17:
	v_cmp_gt_u32_e32 vcc, s10, v59
	s_and_saveexec_b64 s[0:1], vcc
	s_cbranch_execz .LBB130_68
; %bb.18:
	v_add_u32_e32 v0, s6, v25
	v_mul_lo_u32 v5, v59, s14
	v_cmp_gt_u32_e32 vcc, s14, v0
	s_and_saveexec_b64 s[0:1], vcc
	s_cbranch_execz .LBB130_20
; %bb.19:
	v_add_u32_e32 v2, v0, v5
	v_mov_b32_e32 v3, 0
	s_waitcnt lgkmcnt(0)
	v_lshl_add_u64 v[2:3], v[2:3], 2, s[12:13]
	global_store_dword v[2:3], v105, off
.LBB130_20:
	s_or_b64 exec, exec, s[0:1]
	v_add_u32_e32 v2, 32, v0
	v_cmp_gt_u32_e64 s[0:1], s14, v2
	s_and_saveexec_b64 s[2:3], s[0:1]
	s_cbranch_execz .LBB130_22
; %bb.21:
	v_add_u32_e32 v6, v2, v5
	v_mov_b32_e32 v7, 0
	s_waitcnt lgkmcnt(0)
	v_lshl_add_u64 v[6:7], v[6:7], 2, s[12:13]
	global_store_dword v[6:7], v89, off
.LBB130_22:
	s_or_b64 exec, exec, s[2:3]
	v_add_u32_e32 v3, 64, v0
	v_cmp_gt_u32_e64 s[2:3], s14, v3
	s_and_saveexec_b64 s[4:5], s[2:3]
	;; [unrolled: 12-line block ×3, first 2 shown]
	s_cbranch_execz .LBB130_26
; %bb.25:
	v_add_u32_e32 v6, v4, v5
	v_mov_b32_e32 v7, 0
	s_waitcnt lgkmcnt(0)
	v_lshl_add_u64 v[6:7], v[6:7], 2, s[12:13]
	global_store_dword v[6:7], v81, off
.LBB130_26:
	s_or_b64 exec, exec, s[6:7]
	v_add3_u32 v5, v1, s15, 8
	v_cmp_gt_u32_e64 s[6:7], s10, v5
	s_and_b64 exec, exec, s[6:7]
	s_cbranch_execz .LBB130_68
; %bb.27:
	v_mul_lo_u32 v5, v5, s14
	s_and_saveexec_b64 s[6:7], vcc
	s_cbranch_execnz .LBB130_69
; %bb.28:
	s_or_b64 exec, exec, s[6:7]
	s_and_saveexec_b64 s[6:7], s[0:1]
	s_cbranch_execnz .LBB130_70
.LBB130_29:
	s_or_b64 exec, exec, s[6:7]
	s_and_saveexec_b64 s[6:7], s[2:3]
	s_cbranch_execnz .LBB130_71
.LBB130_30:
	s_or_b64 exec, exec, s[6:7]
	s_and_saveexec_b64 s[6:7], s[4:5]
	s_cbranch_execz .LBB130_32
.LBB130_31:
	v_add_u32_e32 v6, v5, v4
	v_mov_b32_e32 v7, 0
	s_waitcnt lgkmcnt(0)
	v_lshl_add_u64 v[6:7], v[6:7], 2, s[12:13]
	global_store_dword v[6:7], v67, off
.LBB130_32:
	s_or_b64 exec, exec, s[6:7]
	v_add3_u32 v5, v1, s15, 16
	v_cmp_gt_u32_e64 s[6:7], s10, v5
	s_and_b64 exec, exec, s[6:7]
	s_cbranch_execz .LBB130_68
; %bb.33:
	v_mul_lo_u32 v5, v5, s14
	s_and_saveexec_b64 s[6:7], vcc
	s_cbranch_execnz .LBB130_72
; %bb.34:
	s_or_b64 exec, exec, s[6:7]
	s_and_saveexec_b64 s[6:7], s[0:1]
	s_cbranch_execnz .LBB130_73
.LBB130_35:
	s_or_b64 exec, exec, s[6:7]
	s_and_saveexec_b64 s[6:7], s[2:3]
	s_cbranch_execnz .LBB130_74
.LBB130_36:
	s_or_b64 exec, exec, s[6:7]
	s_and_saveexec_b64 s[6:7], s[4:5]
	s_cbranch_execz .LBB130_38
.LBB130_37:
	v_add_u32_e32 v6, v5, v4
	v_mov_b32_e32 v7, 0
	s_waitcnt lgkmcnt(0)
	v_lshl_add_u64 v[6:7], v[6:7], 2, s[12:13]
	global_store_dword v[6:7], v57, off
.LBB130_38:
	s_or_b64 exec, exec, s[6:7]
	v_add3_u32 v5, v1, s15, 24
	v_cmp_gt_u32_e64 s[6:7], s10, v5
	s_and_b64 exec, exec, s[6:7]
	s_cbranch_execz .LBB130_68
; %bb.39:
	v_mul_lo_u32 v5, v5, s14
	s_and_saveexec_b64 s[6:7], vcc
	s_cbranch_execnz .LBB130_75
; %bb.40:
	s_or_b64 exec, exec, s[6:7]
	s_and_saveexec_b64 s[6:7], s[0:1]
	s_cbranch_execnz .LBB130_76
.LBB130_41:
	s_or_b64 exec, exec, s[6:7]
	s_and_saveexec_b64 s[6:7], s[2:3]
	s_cbranch_execnz .LBB130_77
.LBB130_42:
	s_or_b64 exec, exec, s[6:7]
	s_and_saveexec_b64 s[6:7], s[4:5]
	s_cbranch_execz .LBB130_44
.LBB130_43:
	v_add_u32_e32 v6, v5, v4
	v_mov_b32_e32 v7, 0
	s_waitcnt lgkmcnt(0)
	v_lshl_add_u64 v[6:7], v[6:7], 2, s[12:13]
	global_store_dword v[6:7], v47, off
.LBB130_44:
	s_or_b64 exec, exec, s[6:7]
	v_add3_u32 v5, v1, s15, 32
	v_cmp_gt_u32_e64 s[6:7], s10, v5
	s_and_b64 exec, exec, s[6:7]
	s_cbranch_execz .LBB130_68
; %bb.45:
	v_mul_lo_u32 v5, v5, s14
	s_and_saveexec_b64 s[6:7], vcc
	s_cbranch_execnz .LBB130_78
; %bb.46:
	s_or_b64 exec, exec, s[6:7]
	s_and_saveexec_b64 s[6:7], s[0:1]
	s_cbranch_execnz .LBB130_79
.LBB130_47:
	s_or_b64 exec, exec, s[6:7]
	s_and_saveexec_b64 s[6:7], s[2:3]
	s_cbranch_execnz .LBB130_80
.LBB130_48:
	s_or_b64 exec, exec, s[6:7]
	s_and_saveexec_b64 s[6:7], s[4:5]
	s_cbranch_execz .LBB130_50
.LBB130_49:
	v_add_u32_e32 v6, v5, v4
	v_mov_b32_e32 v7, 0
	s_waitcnt lgkmcnt(0)
	v_lshl_add_u64 v[6:7], v[6:7], 2, s[12:13]
	global_store_dword v[6:7], v39, off
.LBB130_50:
	s_or_b64 exec, exec, s[6:7]
	v_add3_u32 v5, v1, s15, 40
	v_cmp_gt_u32_e64 s[6:7], s10, v5
	s_and_b64 exec, exec, s[6:7]
	s_cbranch_execz .LBB130_68
; %bb.51:
	v_mul_lo_u32 v5, v5, s14
	s_and_saveexec_b64 s[6:7], vcc
	s_cbranch_execnz .LBB130_81
; %bb.52:
	s_or_b64 exec, exec, s[6:7]
	s_and_saveexec_b64 s[6:7], s[0:1]
	s_cbranch_execnz .LBB130_82
.LBB130_53:
	s_or_b64 exec, exec, s[6:7]
	s_and_saveexec_b64 s[6:7], s[2:3]
	s_cbranch_execnz .LBB130_83
.LBB130_54:
	s_or_b64 exec, exec, s[6:7]
	s_and_saveexec_b64 s[6:7], s[4:5]
	s_cbranch_execz .LBB130_56
.LBB130_55:
	v_add_u32_e32 v6, v5, v4
	v_mov_b32_e32 v7, 0
	s_waitcnt lgkmcnt(0)
	v_lshl_add_u64 v[6:7], v[6:7], 2, s[12:13]
	global_store_dword v[6:7], v31, off
.LBB130_56:
	s_or_b64 exec, exec, s[6:7]
	v_add3_u32 v5, v1, s15, 48
	v_cmp_gt_u32_e64 s[6:7], s10, v5
	s_and_b64 exec, exec, s[6:7]
	s_cbranch_execz .LBB130_68
; %bb.57:
	v_mul_lo_u32 v5, v5, s14
	s_and_saveexec_b64 s[6:7], vcc
	s_cbranch_execnz .LBB130_84
; %bb.58:
	s_or_b64 exec, exec, s[6:7]
	s_and_saveexec_b64 s[6:7], s[0:1]
	s_cbranch_execnz .LBB130_85
.LBB130_59:
	s_or_b64 exec, exec, s[6:7]
	s_and_saveexec_b64 s[6:7], s[2:3]
	s_cbranch_execnz .LBB130_86
.LBB130_60:
	s_or_b64 exec, exec, s[6:7]
	s_and_saveexec_b64 s[6:7], s[4:5]
	s_cbranch_execz .LBB130_62
.LBB130_61:
	v_add_u32_e32 v6, v5, v4
	v_mov_b32_e32 v7, 0
	s_waitcnt lgkmcnt(0)
	v_lshl_add_u64 v[6:7], v[6:7], 2, s[12:13]
	global_store_dword v[6:7], v19, off
.LBB130_62:
	s_or_b64 exec, exec, s[6:7]
	v_add3_u32 v1, v1, s15, 56
	v_cmp_gt_u32_e64 s[6:7], s10, v1
	s_and_b64 exec, exec, s[6:7]
	s_cbranch_execz .LBB130_68
; %bb.63:
	v_mul_lo_u32 v1, v1, s14
	s_and_saveexec_b64 s[6:7], vcc
	s_cbranch_execnz .LBB130_87
; %bb.64:
	s_or_b64 exec, exec, s[6:7]
	s_and_saveexec_b64 s[6:7], s[0:1]
	s_cbranch_execnz .LBB130_88
.LBB130_65:
	s_or_b64 exec, exec, s[6:7]
	s_and_saveexec_b64 s[0:1], s[2:3]
	s_cbranch_execnz .LBB130_89
.LBB130_66:
	s_or_b64 exec, exec, s[0:1]
	s_and_b64 exec, exec, s[4:5]
	s_cbranch_execz .LBB130_68
.LBB130_67:
	v_add_u32_e32 v0, v1, v4
	v_mov_b32_e32 v1, 0
	s_waitcnt lgkmcnt(0)
	v_lshl_add_u64 v[0:1], v[0:1], 2, s[12:13]
	global_store_dword v[0:1], v9, off
.LBB130_68:
	s_endpgm
.LBB130_69:
	v_add_u32_e32 v6, v5, v0
	v_mov_b32_e32 v7, 0
	s_waitcnt lgkmcnt(0)
	v_lshl_add_u64 v[6:7], v[6:7], 2, s[12:13]
	global_store_dword v[6:7], v79, off
	s_or_b64 exec, exec, s[6:7]
	s_and_saveexec_b64 s[6:7], s[0:1]
	s_cbranch_execz .LBB130_29
.LBB130_70:
	v_add_u32_e32 v6, v5, v2
	v_mov_b32_e32 v7, 0
	s_waitcnt lgkmcnt(0)
	v_lshl_add_u64 v[6:7], v[6:7], 2, s[12:13]
	global_store_dword v[6:7], v73, off
	s_or_b64 exec, exec, s[6:7]
	s_and_saveexec_b64 s[6:7], s[2:3]
	s_cbranch_execz .LBB130_30
.LBB130_71:
	v_add_u32_e32 v6, v5, v3
	v_mov_b32_e32 v7, 0
	s_waitcnt lgkmcnt(0)
	v_lshl_add_u64 v[6:7], v[6:7], 2, s[12:13]
	global_store_dword v[6:7], v69, off
	s_or_b64 exec, exec, s[6:7]
	s_and_saveexec_b64 s[6:7], s[4:5]
	s_cbranch_execnz .LBB130_31
	s_branch .LBB130_32
.LBB130_72:
	v_add_u32_e32 v6, v5, v0
	v_mov_b32_e32 v7, 0
	s_waitcnt lgkmcnt(0)
	v_lshl_add_u64 v[6:7], v[6:7], 2, s[12:13]
	global_store_dword v[6:7], v65, off
	s_or_b64 exec, exec, s[6:7]
	s_and_saveexec_b64 s[6:7], s[0:1]
	s_cbranch_execz .LBB130_35
.LBB130_73:
	v_add_u32_e32 v6, v5, v2
	v_mov_b32_e32 v7, 0
	s_waitcnt lgkmcnt(0)
	v_lshl_add_u64 v[6:7], v[6:7], 2, s[12:13]
	global_store_dword v[6:7], v63, off
	s_or_b64 exec, exec, s[6:7]
	s_and_saveexec_b64 s[6:7], s[2:3]
	s_cbranch_execz .LBB130_36
.LBB130_74:
	v_add_u32_e32 v6, v5, v3
	v_mov_b32_e32 v7, 0
	s_waitcnt lgkmcnt(0)
	v_lshl_add_u64 v[6:7], v[6:7], 2, s[12:13]
	global_store_dword v[6:7], v61, off
	s_or_b64 exec, exec, s[6:7]
	s_and_saveexec_b64 s[6:7], s[4:5]
	s_cbranch_execnz .LBB130_37
	s_branch .LBB130_38
.LBB130_75:
	v_add_u32_e32 v6, v5, v0
	v_mov_b32_e32 v7, 0
	s_waitcnt lgkmcnt(0)
	v_lshl_add_u64 v[6:7], v[6:7], 2, s[12:13]
	global_store_dword v[6:7], v53, off
	s_or_b64 exec, exec, s[6:7]
	s_and_saveexec_b64 s[6:7], s[0:1]
	s_cbranch_execz .LBB130_41
.LBB130_76:
	v_add_u32_e32 v6, v5, v2
	v_mov_b32_e32 v7, 0
	s_waitcnt lgkmcnt(0)
	v_lshl_add_u64 v[6:7], v[6:7], 2, s[12:13]
	global_store_dword v[6:7], v51, off
	s_or_b64 exec, exec, s[6:7]
	s_and_saveexec_b64 s[6:7], s[2:3]
	s_cbranch_execz .LBB130_42
.LBB130_77:
	v_add_u32_e32 v6, v5, v3
	v_mov_b32_e32 v7, 0
	s_waitcnt lgkmcnt(0)
	v_lshl_add_u64 v[6:7], v[6:7], 2, s[12:13]
	global_store_dword v[6:7], v49, off
	s_or_b64 exec, exec, s[6:7]
	s_and_saveexec_b64 s[6:7], s[4:5]
	s_cbranch_execnz .LBB130_43
	s_branch .LBB130_44
.LBB130_78:
	v_add_u32_e32 v6, v5, v0
	v_mov_b32_e32 v7, 0
	s_waitcnt lgkmcnt(0)
	v_lshl_add_u64 v[6:7], v[6:7], 2, s[12:13]
	global_store_dword v[6:7], v45, off
	s_or_b64 exec, exec, s[6:7]
	s_and_saveexec_b64 s[6:7], s[0:1]
	s_cbranch_execz .LBB130_47
.LBB130_79:
	v_add_u32_e32 v6, v5, v2
	v_mov_b32_e32 v7, 0
	s_waitcnt lgkmcnt(0)
	v_lshl_add_u64 v[6:7], v[6:7], 2, s[12:13]
	global_store_dword v[6:7], v43, off
	s_or_b64 exec, exec, s[6:7]
	s_and_saveexec_b64 s[6:7], s[2:3]
	s_cbranch_execz .LBB130_48
.LBB130_80:
	v_add_u32_e32 v6, v5, v3
	v_mov_b32_e32 v7, 0
	s_waitcnt lgkmcnt(0)
	v_lshl_add_u64 v[6:7], v[6:7], 2, s[12:13]
	global_store_dword v[6:7], v41, off
	s_or_b64 exec, exec, s[6:7]
	s_and_saveexec_b64 s[6:7], s[4:5]
	s_cbranch_execnz .LBB130_49
	s_branch .LBB130_50
.LBB130_81:
	v_add_u32_e32 v6, v5, v0
	v_mov_b32_e32 v7, 0
	s_waitcnt lgkmcnt(0)
	v_lshl_add_u64 v[6:7], v[6:7], 2, s[12:13]
	global_store_dword v[6:7], v37, off
	s_or_b64 exec, exec, s[6:7]
	s_and_saveexec_b64 s[6:7], s[0:1]
	s_cbranch_execz .LBB130_53
.LBB130_82:
	v_add_u32_e32 v6, v5, v2
	v_mov_b32_e32 v7, 0
	s_waitcnt lgkmcnt(0)
	v_lshl_add_u64 v[6:7], v[6:7], 2, s[12:13]
	global_store_dword v[6:7], v35, off
	s_or_b64 exec, exec, s[6:7]
	s_and_saveexec_b64 s[6:7], s[2:3]
	s_cbranch_execz .LBB130_54
.LBB130_83:
	v_add_u32_e32 v6, v5, v3
	v_mov_b32_e32 v7, 0
	s_waitcnt lgkmcnt(0)
	v_lshl_add_u64 v[6:7], v[6:7], 2, s[12:13]
	global_store_dword v[6:7], v33, off
	s_or_b64 exec, exec, s[6:7]
	s_and_saveexec_b64 s[6:7], s[4:5]
	s_cbranch_execnz .LBB130_55
	s_branch .LBB130_56
.LBB130_84:
	v_add_u32_e32 v6, v5, v0
	v_mov_b32_e32 v7, 0
	s_waitcnt lgkmcnt(0)
	v_lshl_add_u64 v[6:7], v[6:7], 2, s[12:13]
	global_store_dword v[6:7], v27, off
	s_or_b64 exec, exec, s[6:7]
	s_and_saveexec_b64 s[6:7], s[0:1]
	s_cbranch_execz .LBB130_59
.LBB130_85:
	v_add_u32_e32 v6, v5, v2
	v_mov_b32_e32 v7, 0
	s_waitcnt lgkmcnt(0)
	v_lshl_add_u64 v[6:7], v[6:7], 2, s[12:13]
	global_store_dword v[6:7], v23, off
	s_or_b64 exec, exec, s[6:7]
	s_and_saveexec_b64 s[6:7], s[2:3]
	s_cbranch_execz .LBB130_60
.LBB130_86:
	v_add_u32_e32 v6, v5, v3
	v_mov_b32_e32 v7, 0
	s_waitcnt lgkmcnt(0)
	v_lshl_add_u64 v[6:7], v[6:7], 2, s[12:13]
	global_store_dword v[6:7], v21, off
	s_or_b64 exec, exec, s[6:7]
	s_and_saveexec_b64 s[6:7], s[4:5]
	s_cbranch_execnz .LBB130_61
	s_branch .LBB130_62
.LBB130_87:
	v_add_u32_e32 v6, v1, v0
	v_mov_b32_e32 v7, 0
	s_waitcnt lgkmcnt(0)
	v_lshl_add_u64 v[6:7], v[6:7], 2, s[12:13]
	global_store_dword v[6:7], v17, off
	s_or_b64 exec, exec, s[6:7]
	s_and_saveexec_b64 s[6:7], s[0:1]
	s_cbranch_execz .LBB130_65
.LBB130_88:
	v_add_u32_e32 v6, v1, v2
	v_mov_b32_e32 v7, 0
	s_waitcnt lgkmcnt(0)
	v_lshl_add_u64 v[6:7], v[6:7], 2, s[12:13]
	global_store_dword v[6:7], v15, off
	s_or_b64 exec, exec, s[6:7]
	s_and_saveexec_b64 s[0:1], s[2:3]
	s_cbranch_execz .LBB130_66
.LBB130_89:
	v_add_u32_e32 v2, v1, v3
	v_mov_b32_e32 v3, 0
	s_waitcnt lgkmcnt(0)
	v_lshl_add_u64 v[2:3], v[2:3], 2, s[12:13]
	global_store_dword v[2:3], v13, off
	s_or_b64 exec, exec, s[0:1]
	s_and_b64 exec, exec, s[4:5]
	s_cbranch_execnz .LBB130_67
	s_branch .LBB130_68
	.section	.rodata,"a",@progbits
	.p2align	6, 0x0
	.amdhsa_kernel _ZL12mul_mat_q3_KIfLb1EEvPKvS1_PT_iiiii
		.amdhsa_group_segment_fixed_size 39840
		.amdhsa_private_segment_fixed_size 0
		.amdhsa_kernarg_size 44
		.amdhsa_user_sgpr_count 2
		.amdhsa_user_sgpr_dispatch_ptr 0
		.amdhsa_user_sgpr_queue_ptr 0
		.amdhsa_user_sgpr_kernarg_segment_ptr 1
		.amdhsa_user_sgpr_dispatch_id 0
		.amdhsa_user_sgpr_kernarg_preload_length 0
		.amdhsa_user_sgpr_kernarg_preload_offset 0
		.amdhsa_user_sgpr_private_segment_size 0
		.amdhsa_uses_dynamic_stack 0
		.amdhsa_enable_private_segment 0
		.amdhsa_system_sgpr_workgroup_id_x 1
		.amdhsa_system_sgpr_workgroup_id_y 1
		.amdhsa_system_sgpr_workgroup_id_z 0
		.amdhsa_system_sgpr_workgroup_info 0
		.amdhsa_system_vgpr_workitem_id 1
		.amdhsa_next_free_vgpr 216
		.amdhsa_next_free_sgpr 30
		.amdhsa_accum_offset 216
		.amdhsa_reserve_vcc 1
		.amdhsa_float_round_mode_32 0
		.amdhsa_float_round_mode_16_64 0
		.amdhsa_float_denorm_mode_32 3
		.amdhsa_float_denorm_mode_16_64 3
		.amdhsa_dx10_clamp 1
		.amdhsa_ieee_mode 1
		.amdhsa_fp16_overflow 0
		.amdhsa_tg_split 0
		.amdhsa_exception_fp_ieee_invalid_op 0
		.amdhsa_exception_fp_denorm_src 0
		.amdhsa_exception_fp_ieee_div_zero 0
		.amdhsa_exception_fp_ieee_overflow 0
		.amdhsa_exception_fp_ieee_underflow 0
		.amdhsa_exception_fp_ieee_inexact 0
		.amdhsa_exception_int_div_zero 0
	.end_amdhsa_kernel
	.section	.text._ZL12mul_mat_q3_KIfLb1EEvPKvS1_PT_iiiii,"axG",@progbits,_ZL12mul_mat_q3_KIfLb1EEvPKvS1_PT_iiiii,comdat
.Lfunc_end130:
	.size	_ZL12mul_mat_q3_KIfLb1EEvPKvS1_PT_iiiii, .Lfunc_end130-_ZL12mul_mat_q3_KIfLb1EEvPKvS1_PT_iiiii
                                        ; -- End function
	.section	.AMDGPU.csdata,"",@progbits
; Kernel info:
; codeLenInByte = 32296
; NumSgprs: 36
; NumVgprs: 216
; NumAgprs: 0
; TotalNumVgprs: 216
; ScratchSize: 0
; MemoryBound: 0
; FloatMode: 240
; IeeeMode: 1
; LDSByteSize: 39840 bytes/workgroup (compile time only)
; SGPRBlocks: 4
; VGPRBlocks: 26
; NumSGPRsForWavesPerEU: 36
; NumVGPRsForWavesPerEU: 216
; AccumOffset: 216
; Occupancy: 1
; WaveLimiterHint : 0
; COMPUTE_PGM_RSRC2:SCRATCH_EN: 0
; COMPUTE_PGM_RSRC2:USER_SGPR: 2
; COMPUTE_PGM_RSRC2:TRAP_HANDLER: 0
; COMPUTE_PGM_RSRC2:TGID_X_EN: 1
; COMPUTE_PGM_RSRC2:TGID_Y_EN: 1
; COMPUTE_PGM_RSRC2:TGID_Z_EN: 0
; COMPUTE_PGM_RSRC2:TIDIG_COMP_CNT: 1
; COMPUTE_PGM_RSRC3_GFX90A:ACCUM_OFFSET: 53
; COMPUTE_PGM_RSRC3_GFX90A:TG_SPLIT: 0
	.section	.text._ZL12mul_mat_q4_KIfLb0EEvPKvS1_PT_iiiii,"axG",@progbits,_ZL12mul_mat_q4_KIfLb0EEvPKvS1_PT_iiiii,comdat
	.globl	_ZL12mul_mat_q4_KIfLb0EEvPKvS1_PT_iiiii ; -- Begin function _ZL12mul_mat_q4_KIfLb0EEvPKvS1_PT_iiiii
	.p2align	8
	.type	_ZL12mul_mat_q4_KIfLb0EEvPKvS1_PT_iiiii,@function
_ZL12mul_mat_q4_KIfLb0EEvPKvS1_PT_iiiii: ; @_ZL12mul_mat_q4_KIfLb0EEvPKvS1_PT_iiiii
; %bb.0:
	s_load_dword s7, s[0:1], 0x18
	s_load_dwordx4 s[8:11], s[0:1], 0x20
	s_waitcnt lgkmcnt(0)
	s_lshl_b32 s11, s3, 6
	v_bfe_u32 v12, v0, 10, 10
	s_cmpk_gt_i32 s7, 0xff
	s_cbranch_scc1 .LBB131_2
; %bb.1:
	v_bfe_u32 v1, v0, 10, 10
	v_and_b32_e32 v49, 0x3ff, v0
	v_add_u32_e32 v2, s11, v1
	s_mov_b64 s[4:5], 0
	s_mov_b32 s3, 0
	s_branch .LBB131_3
.LBB131_2:
	s_mov_b64 s[4:5], -1
                                        ; implicit-def: $sgpr3
                                        ; implicit-def: $vgpr1
                                        ; implicit-def: $vgpr49
                                        ; implicit-def: $vgpr2
.LBB131_3:
	s_load_dwordx2 s[12:13], s[0:1], 0x10
	s_lshl_b32 s6, s2, 7
	s_andn2_b64 vcc, exec, s[4:5]
	v_mov_b32_e32 v21, s3
	v_mov_b32_e32 v20, s3
	;; [unrolled: 1-line block ×32, first 2 shown]
	s_cbranch_vccnz .LBB131_11
; %bb.4:
	s_ashr_i32 s4, s7, 31
	s_lshr_b32 s4, s4, 24
	s_load_dwordx4 s[0:3], s[0:1], 0x0
	s_add_i32 s7, s7, s4
	s_ashr_i32 s4, s9, 31
	s_lshr_b32 s4, s4, 27
	s_ashr_i32 s7, s7, 8
	s_add_i32 s4, s9, s4
	s_ashr_i32 s16, s4, 5
	s_mul_i32 s4, s7, s6
	s_mul_hi_i32 s5, s4, 0x90
	s_mulk_i32 s4, 0x90
	s_waitcnt lgkmcnt(0)
	s_add_u32 s14, s0, s4
	s_addc_u32 s15, s1, s5
	v_and_b32_e32 v49, 0x3ff, v0
	v_mul_i32_i24_e32 v0, s7, v12
	s_lshl_b32 s4, s7, 3
	scratch_store_dwordx2 off, v[0:1], off  ; 8-byte Folded Spill
	v_mov_b32_e32 v0, s4
	v_mad_i32_i24 v58, s7, v12, v0
	v_add_u32_e32 v60, s4, v58
	v_add_u32_e32 v62, s4, v60
	;; [unrolled: 1-line block ×14, first 2 shown]
	v_lshlrev_b32_e32 v93, 5, v12
	scratch_store_dwordx2 off, v[0:1], off offset:8 ; 8-byte Folded Spill
	v_add_u32_e32 v0, v93, v49
	v_and_b32_e32 v1, 0x7f, v0
	v_lshrrev_b32_e32 v0, 3, v0
	v_mul_i32_i24_e32 v2, s7, v1
	v_and_b32_e32 v0, 12, v0
	v_lshlrev_b32_e32 v1, 2, v1
	s_movk_i32 s17, 0x6e40
	v_lshlrev_b32_e32 v3, 2, v49
	v_add3_u32 v119, v1, v0, s17
	v_and_b32_e32 v0, 3, v49
	scratch_store_dwordx2 off, v[2:3], off offset:16 ; 8-byte Folded Spill
	v_add_u32_e32 v2, 0xfe, v0
	v_cmp_gt_u32_e32 vcc, 2, v0
	v_lshlrev_b32_e32 v1, 3, v12
	v_lshrrev_b32_e32 v5, 2, v49
	v_cndmask_b32_e32 v2, v2, v0, vcc
	v_add_u32_e32 v10, v5, v1
	v_and_b32_e32 v6, 0xff, v2
	v_cmp_ne_u32_e32 vcc, 0, v0
	v_add_u16_e32 v1, v5, v1
	v_lshlrev_b32_e32 v123, 1, v6
	v_addc_co_u32_e32 v2, vcc, 0, v6, vcc
	v_and_b32_e32 v6, 0x7f, v10
	v_lshlrev_b32_e32 v11, 2, v0
	v_lshrrev_b16_e32 v1, 1, v1
	v_lshl_or_b32 v7, v6, 4, v11
	v_and_b32_e32 v1, 60, v1
	s_movk_i32 s4, 0x6200
	v_add3_u32 v125, v7, v1, s4
	v_xor_b32_e32 v1, 64, v6
	v_mul_i32_i24_e32 v92, s7, v1
	v_lshl_or_b32 v5, v1, 4, v11
	v_lshrrev_b32_e32 v1, 1, v1
	v_mov_b32_e32 v51, 0
	v_and_b32_e32 v1, 60, v1
	v_add3_u32 v127, v5, v1, s4
	v_and_b32_e32 v8, 28, v3
	v_mov_b32_e32 v9, v51
	v_and_b32_e32 v1, 63, v10
	s_add_i32 s4, s8, -1
	v_lshl_add_u64 v[94:95], s[2:3], 0, v[8:9]
	v_or_b32_e32 v8, s11, v1
	v_min_i32_e32 v8, s4, v8
	v_cmp_lt_u32_e32 vcc, 1, v0
	v_mul_i32_i24_e32 v90, s7, v6
	v_add_u32_e32 v13, s11, v12
	v_cvt_f64_i32_e32 v[6:7], s4
	v_mad_u64_u32 v[96:97], s[4:5], v8, s16, v[0:1]
	v_lshl_or_b32 v0, v1, 4, v11
	v_add_u32_e32 v97, 0x6a40, v0
	v_cvt_f64_u32_e32 v[0:1], v13
	v_min_f64 v[0:1], v[0:1], v[6:7]
	v_and_b32_e32 v5, 31, v49
	v_cvt_i32_f64_e32 v0, v[0:1]
	v_mul_lo_u32 v140, s16, v0
	v_or_b32_e32 v0, v93, v5
	v_mov_b32_e32 v8, 0x4200
	v_lshl_add_u32 v141, v0, 2, v8
	v_add_u32_e32 v0, 8, v13
	v_cvt_f64_u32_e32 v[0:1], v0
	v_min_f64 v[0:1], v[0:1], v[6:7]
	v_cvt_i32_f64_e32 v0, v[0:1]
	v_add_u32_e32 v143, 0x100, v93
	v_mul_lo_u32 v142, s16, v0
	v_or_b32_e32 v0, v143, v5
	v_lshl_add_u32 v144, v0, 2, v8
	v_add_u32_e32 v0, 16, v13
	v_cvt_f64_u32_e32 v[0:1], v0
	v_min_f64 v[0:1], v[0:1], v[6:7]
	v_cvt_i32_f64_e32 v0, v[0:1]
	v_add_u32_e32 v146, 0x200, v93
	v_mul_lo_u32 v145, s16, v0
	v_or_b32_e32 v0, v146, v5
	v_lshl_add_u32 v147, v0, 2, v8
	v_add_u32_e32 v0, 24, v13
	v_cvt_f64_u32_e32 v[0:1], v0
	v_min_f64 v[0:1], v[0:1], v[6:7]
	v_cvt_i32_f64_e32 v0, v[0:1]
	v_add_u32_e32 v149, 0x300, v93
	v_mul_lo_u32 v148, s16, v0
	v_or_b32_e32 v0, v149, v5
	v_lshl_add_u32 v150, v0, 2, v8
	v_add_u32_e32 v0, 32, v13
	v_cvt_f64_u32_e32 v[0:1], v0
	v_min_f64 v[0:1], v[0:1], v[6:7]
	v_cvt_i32_f64_e32 v0, v[0:1]
	v_add_u32_e32 v152, 0x400, v93
	v_mul_lo_u32 v151, s16, v0
	v_or_b32_e32 v0, v152, v5
	v_lshl_add_u32 v153, v0, 2, v8
	v_add_u32_e32 v0, 40, v13
	v_cvt_f64_u32_e32 v[0:1], v0
	v_min_f64 v[0:1], v[0:1], v[6:7]
	v_cvt_i32_f64_e32 v0, v[0:1]
	v_add_u32_e32 v155, 0x500, v93
	v_mul_lo_u32 v154, s16, v0
	v_or_b32_e32 v0, v155, v5
	v_lshl_add_u32 v156, v0, 2, v8
	v_add_u32_e32 v0, 48, v13
	v_cvt_f64_u32_e32 v[0:1], v0
	v_min_f64 v[0:1], v[0:1], v[6:7]
	v_cvt_i32_f64_e32 v0, v[0:1]
	v_add_u32_e32 v158, 0x600, v93
	v_mul_lo_u32 v157, s16, v0
	v_or_b32_e32 v0, v158, v5
	v_lshl_add_u32 v159, v0, 2, v8
	v_add_u32_e32 v0, 56, v13
	v_cvt_f64_u32_e32 v[0:1], v0
	v_min_f64 v[0:1], v[0:1], v[6:7]
	v_cvt_i32_f64_e32 v0, v[0:1]
	v_add_u32_e32 v161, 0x700, v93
	v_lshrrev_b32_e32 v48, 5, v49
	v_mul_lo_u32 v160, s16, v0
	v_or_b32_e32 v0, v161, v5
	v_lshl_add_u32 v162, v0, 2, v8
	v_lshlrev_b32_e32 v0, 2, v48
	v_add3_u32 v163, v0, v3, s17
	v_add_u32_e32 v0, 32, v49
	v_lshrrev_b32_e32 v164, 3, v0
	v_lshlrev_b32_e32 v1, 2, v0
	v_and_b32_e32 v0, 60, v164
	v_add3_u32 v165, v3, v0, s17
	v_add_u32_e32 v0, 64, v49
	v_lshlrev_b32_e32 v5, 2, v0
	v_lshrrev_b32_e32 v0, 3, v0
	v_and_b32_e32 v6, 60, v0
	v_add3_u32 v166, v3, v6, s17
	v_add_u32_e32 v6, 0x60, v49
	v_lshlrev_b32_e32 v7, 2, v6
	v_lshrrev_b32_e32 v6, 3, v6
	v_and_b32_e32 v9, 60, v6
	s_movk_i32 s1, 0x84
	v_add3_u32 v167, v3, v9, s17
	v_mov_b32_e32 v9, 0x1080
	v_mad_u32_u24 v169, v49, s1, v9
	v_mov_b32_e32 v9, 0x2100
	s_mov_b32 s0, 0
	v_mad_u32_u24 v170, v49, s1, v9
	v_mov_b32_e32 v9, 0x3180
	v_mad_u32_u24 v61, v12, s1, v3
	v_and_b32_e32 v4, 4, v3
	v_mad_u32_u24 v171, v49, s1, v9
	v_mad_u32_u24 v172, v49, s1, 64
	s_mov_b32 s1, s0
	v_cndmask_b32_e32 v121, 0, v4, vcc
	v_cndmask_b32_e64 v4, 0, 1, vcc
	v_lshrrev_b32_e32 v129, 3, v49
	v_mov_b32_e32 v9, 0x6a40
	v_mov_b64_e32 v[56:57], s[0:1]
	s_movk_i32 s9, 0x90
	v_and_b32_e32 v50, 0x7c, v3
	v_add_u32_e32 v79, 0x2520, v61
	v_add_u32_e32 v81, 0x2940, v61
	;; [unrolled: 1-line block ×7, first 2 shown]
	v_mul_u32_u24_e32 v168, 0x84, v49
	v_lshl_add_u32 v173, v12, 4, v9
	v_lshl_add_u32 v174, v12, 7, v8
	v_lshlrev_b32_e32 v175, 4, v49
	v_lshlrev_b32_e32 v176, 2, v6
	;; [unrolled: 1-line block ×7, first 2 shown]
	s_mov_b32 s1, 0x30303030
	v_lshlrev_b32_e32 v180, 2, v1
	v_lshlrev_b32_e32 v181, 2, v5
	;; [unrolled: 1-line block ×3, first 2 shown]
	v_mov_b32_e32 v99, v51
	v_mov_b32_e32 v101, v51
	v_lshlrev_b32_e32 v183, 2, v3
	v_mov_b64_e32 v[42:43], v[56:57]
	v_mov_b64_e32 v[34:35], v[56:57]
	;; [unrolled: 1-line block ×15, first 2 shown]
	scratch_store_dword off, v13, off offset:28 ; 4-byte Folded Spill
	scratch_store_dword off, v12, off offset:24 ; 4-byte Folded Spill
.LBB131_5:                              ; =>This Loop Header: Depth=1
                                        ;     Child Loop BB131_6 Depth 2
                                        ;     Child Loop BB131_8 Depth 2
	scratch_load_dwordx2 v[4:5], off, off   ; 8-byte Folded Reload
	s_mul_i32 s4, s0, 0x90
	s_mul_hi_u32 s5, s0, 0x90
	s_add_u32 s4, s14, s4
	s_addc_u32 s5, s15, s5
	v_mov_b64_e32 v[0:1], s[4:5]
	v_mad_u64_u32 v[2:3], s[4:5], v48, s9, v[0:1]
	v_lshl_add_u64 v[2:3], v[2:3], 0, v[50:51]
	v_lshl_add_u64 v[2:3], v[2:3], 0, 16
	v_mad_u64_u32 v[18:19], s[4:5], v70, s9, v[2:3]
	v_mad_u64_u32 v[6:7], s[4:5], v58, s9, v[2:3]
	;; [unrolled: 1-line block ×7, first 2 shown]
	s_lshl_b32 s16, s0, 3
	v_add_u32_e32 v115, s16, v96
	s_mov_b32 s18, 0
	s_waitcnt vmcnt(0)
	v_mad_u64_u32 v[4:5], s[4:5], v4, s9, v[2:3]
	global_load_dword v54, v[4:5], off
	global_load_dword v55, v[6:7], off
	;; [unrolled: 1-line block ×7, first 2 shown]
	s_nop 0
	global_load_dword v18, v[18:19], off
	v_mad_u64_u32 v[4:5], s[4:5], v72, s9, v[2:3]
	scratch_load_dwordx2 v[86:87], off, off offset:8 ; 8-byte Folded Reload
	v_mad_u64_u32 v[6:7], s[4:5], v74, s9, v[2:3]
	v_mad_u64_u32 v[8:9], s[4:5], v76, s9, v[2:3]
	;; [unrolled: 1-line block ×6, first 2 shown]
	s_waitcnt vmcnt(0)
	v_mad_u64_u32 v[2:3], s[4:5], v86, s9, v[2:3]
	global_load_dword v19, v[4:5], off
	global_load_dword v71, v[6:7], off
	;; [unrolled: 1-line block ×6, first 2 shown]
	s_nop 0
	global_load_dword v16, v[16:17], off
	s_nop 0
	global_load_dword v17, v[2:3], off
	s_nop 0
	scratch_load_dwordx2 v[2:3], off, off offset:16 ; 8-byte Folded Reload
	v_mad_u64_u32 v[4:5], s[4:5], v90, s9, v[0:1]
	v_lshl_add_u64 v[4:5], v[4:5], 0, 4
	v_lshl_add_u64 v[6:7], v[4:5], 0, v[98:99]
	;; [unrolled: 1-line block ×3, first 2 shown]
	v_add_u32_e32 v14, s16, v129
	v_add_u32_e32 v10, v14, v154
	;; [unrolled: 1-line block ×3, first 2 shown]
	v_mad_i64_i32 v[10:11], s[4:5], v10, 36, v[94:95]
	v_mad_i64_i32 v[12:13], s[4:5], v12, 36, v[94:95]
	s_waitcnt vmcnt(0)
	v_mad_u64_u32 v[2:3], s[4:5], v2, s9, v[0:1]
	v_mad_u64_u32 v[0:1], s[4:5], v92, s9, v[0:1]
	v_lshl_add_u64 v[0:1], v[0:1], 0, 4
	v_lshl_add_u64 v[8:9], v[0:1], 0, v[98:99]
	v_lshl_add_u64 v[0:1], v[0:1], 0, v[100:101]
	global_load_dword v89, v[2:3], off
	global_load_dword v102, v[6:7], off
	;; [unrolled: 1-line block ×5, first 2 shown]
	v_add_u32_e32 v0, v14, v140
	v_add_u32_e32 v2, v14, v142
	;; [unrolled: 1-line block ×5, first 2 shown]
	v_mad_i64_i32 v[0:1], s[4:5], v0, 36, v[94:95]
	v_mad_i64_i32 v[2:3], s[4:5], v2, 36, v[94:95]
	;; [unrolled: 1-line block ×5, first 2 shown]
	v_add_u32_e32 v14, v14, v160
	v_mad_i64_i32 v[14:15], s[4:5], v14, 36, v[94:95]
	global_load_dword v106, v[0:1], off offset:4
	s_nop 0
	global_load_dword v2, v[2:3], off offset:4
	s_nop 0
	global_load_dword v3, v[4:5], off offset:4
	s_nop 0
	global_load_dword v4, v[6:7], off offset:4
	global_load_dword v5, v[8:9], off offset:4
	s_nop 0
	global_load_dword v6, v[10:11], off offset:4
	global_load_dword v7, v[12:13], off offset:4
	;; [unrolled: 1-line block ×3, first 2 shown]
	v_mad_u64_u32 v[0:1], s[4:5], v115, 36, s[2:3]
	global_load_dword v0, v[0:1], off
	v_add_u32_e32 v1, 0x420, v61
	ds_write_b32 v1, v55
	v_add_u32_e32 v1, 0x840, v61
	ds_write_b32 v1, v59
	v_add_u32_e32 v1, 0xc60, v61
	ds_write_b32 v1, v63
	v_add_u32_e32 v1, 0x1080, v61
	ds_write_b32 v1, v65
	v_add_u32_e32 v1, 0x14a0, v61
	ds_write_b32 v61, v54
	ds_write_b32 v1, v67
	v_add_u32_e32 v1, 0x18c0, v61
	ds_write_b32 v1, v69
	v_add_u32_e32 v1, 0x1ce0, v61
	ds_write_b32 v1, v18
	v_add_u32_e32 v1, 0x2100, v61
	s_mov_b64 s[4:5], -1
	ds_write_b32 v1, v19
	ds_write_b32 v79, v71
	;; [unrolled: 1-line block ×8, first 2 shown]
	s_waitcnt vmcnt(13)
	ds_write_b32 v119, v89
	s_waitcnt vmcnt(12)
	v_ashrrev_i32_e32 v1, v121, v102
	v_and_b32_e32 v1, 0xf0f0f0f, v1
	s_waitcnt vmcnt(11)
	v_ashrrev_i32_e32 v9, v123, v103
	v_and_or_b32 v1, v9, s1, v1
	ds_write_b32 v125, v1
	s_waitcnt vmcnt(10)
	v_ashrrev_i32_e32 v1, v121, v104
	v_and_b32_e32 v1, 0xf0f0f0f, v1
	s_waitcnt vmcnt(9)
	v_ashrrev_i32_e32 v9, v123, v105
	v_and_or_b32 v1, v9, s1, v1
	ds_write_b32 v127, v1
	s_waitcnt vmcnt(8)
	ds_write_b32 v141, v106
	s_waitcnt vmcnt(7)
	;; [unrolled: 2-line block ×9, first 2 shown]
	ds_write_b32 v97, v0
	s_waitcnt lgkmcnt(0)
	s_barrier
	ds_read_b32 v0, v163
	ds_read_b32 v1, v165 offset:128
	ds_read_b32 v2, v166 offset:256
	;; [unrolled: 1-line block ×3, first 2 shown]
	s_waitcnt lgkmcnt(3)
	v_cvt_f32_f16_e32 v16, v0
	v_cvt_f32_f16_sdwa v18, v0 dst_sel:DWORD dst_unused:UNUSED_PAD src0_sel:WORD_1
	s_waitcnt lgkmcnt(2)
	v_cvt_f32_f16_e32 v102, v1
	v_cvt_f32_f16_sdwa v104, v1 dst_sel:DWORD dst_unused:UNUSED_PAD src0_sel:WORD_1
	;; [unrolled: 3-line block ×4, first 2 shown]
	v_mov_b32_e32 v17, v16
	v_mov_b32_e32 v19, v18
	;; [unrolled: 1-line block ×8, first 2 shown]
.LBB131_6:                              ;   Parent Loop BB131_5 Depth=1
                                        ; =>  This Inner Loop Header: Depth=2
	s_lshl_b32 s17, s18, 1
	s_lshr_b32 s19, s18, 2
	v_or_b32_e32 v0, s17, v93
	s_lshl_b32 s18, s18, 2
	s_addk_i32 s19, 0x6200
	v_lshlrev_b32_e32 v1, 2, v0
	v_add_u32_e32 v59, s18, v168
	v_lshrrev_b32_e32 v54, 1, v0
	ds_read_b128 v[12:15], v1 offset:16896
	ds_read_b128 v[8:11], v1 offset:16912
	ds_read_b128 v[4:7], v1 offset:16928
	ds_read_b128 v[0:3], v1 offset:16944
	ds_read_b64 v[130:131], v54 offset:27200
	v_add3_u32 v55, s19, v179, v183
	ds_read2_b32 v[116:117], v59 offset1:1
	ds_read2_b32 v[132:133], v59 offset0:2 offset1:3
	ds_read2_b32 v[134:135], v59 offset0:4 offset1:5
	;; [unrolled: 1-line block ×3, first 2 shown]
	ds_read_u16 v59, v55
	ds_read_u8 v63, v55 offset:8
	ds_read_u8 v55, v55 offset:9
	s_waitcnt lgkmcnt(6)
	v_and_b32_e32 v196, 0xf0f0f0f, v116
	v_and_b32_e32 v197, 0xf0f0f0f, v117
	s_waitcnt lgkmcnt(5)
	v_and_b32_e32 v198, 0xf0f0f0f, v132
	s_waitcnt lgkmcnt(1)
	v_cvt_f32_ubyte0_e32 v118, v63
	v_lshrrev_b32_e32 v63, 4, v116
	v_and_b32_e32 v195, 0xf0f0f0f, v63
	v_lshrrev_b32_e32 v63, 4, v117
	v_and_b32_e32 v214, 0xf0f0f0f, v63
	;; [unrolled: 2-line block ×8, first 2 shown]
	s_waitcnt lgkmcnt(0)
	v_cvt_f32_ubyte0_e32 v122, v55
	v_add3_u32 v55, s19, v178, v180
	v_add_u32_e32 v63, s18, v169
	v_and_b32_e32 v199, 0xf0f0f0f, v133
	v_and_b32_e32 v200, 0xf0f0f0f, v134
	;; [unrolled: 1-line block ×5, first 2 shown]
	ds_read2_b32 v[116:117], v63 offset1:1
	ds_read2_b32 v[132:133], v63 offset0:2 offset1:3
	ds_read2_b32 v[134:135], v63 offset0:4 offset1:5
	;; [unrolled: 1-line block ×3, first 2 shown]
	ds_read_u16 v65, v55
	ds_read_u8 v63, v55 offset:8
	ds_read_u8 v67, v55 offset:9
	s_waitcnt lgkmcnt(6)
	v_lshrrev_b32_e32 v69, 4, v117
	v_and_b32_e32 v193, 0xf0f0f0f, v116
	v_and_b32_e32 v206, 0xf0f0f0f, v117
	v_lshrrev_b32_e32 v55, 4, v116
	s_waitcnt lgkmcnt(0)
	v_cvt_f32_ubyte0_e32 v126, v67
	v_add_u32_e32 v67, s18, v170
	v_and_b32_e32 v223, 0xf0f0f0f, v69
	v_lshrrev_b32_e32 v69, 4, v132
	ds_read2_b32 v[116:117], v67 offset1:1
	v_and_b32_e32 v207, 0xf0f0f0f, v132
	v_and_b32_e32 v208, 0xf0f0f0f, v133
	;; [unrolled: 1-line block ×3, first 2 shown]
	v_lshrrev_b32_e32 v69, 4, v133
	ds_read2_b32 v[132:133], v67 offset0:2 offset1:3
	v_and_b32_e32 v225, 0xf0f0f0f, v69
	v_lshrrev_b32_e32 v69, 4, v134
	v_and_b32_e32 v209, 0xf0f0f0f, v134
	v_and_b32_e32 v210, 0xf0f0f0f, v135
	;; [unrolled: 1-line block ×3, first 2 shown]
	v_lshrrev_b32_e32 v69, 4, v135
	ds_read2_b32 v[134:135], v67 offset0:4 offset1:5
	v_and_b32_e32 v229, 0xf0f0f0f, v69
	v_lshrrev_b32_e32 v69, 4, v136
	v_and_b32_e32 v211, 0xf0f0f0f, v136
	v_and_b32_e32 v212, 0xf0f0f0f, v137
	;; [unrolled: 1-line block ×3, first 2 shown]
	v_lshrrev_b32_e32 v69, 4, v137
	ds_read2_b32 v[136:137], v67 offset0:6 offset1:7
	s_waitcnt lgkmcnt(3)
	v_lshrrev_b32_e32 v71, 4, v117
	v_and_b32_e32 v239, 0xf0f0f0f, v71
	s_waitcnt lgkmcnt(2)
	v_lshrrev_b32_e32 v71, 4, v132
	v_and_b32_e32 v240, 0xf0f0f0f, v71
	v_lshrrev_b32_e32 v71, 4, v133
	v_and_b32_e32 v241, 0xf0f0f0f, v71
	s_waitcnt lgkmcnt(1)
	v_lshrrev_b32_e32 v71, 4, v134
	v_and_b32_e32 v242, 0xf0f0f0f, v71
	;; [unrolled: 5-line block ×3, first 2 shown]
	v_lshrrev_b32_e32 v71, 4, v137
	v_and_b32_e32 v204, 0xff, v65
	v_lshrrev_b16_e32 v227, 8, v65
	v_add3_u32 v65, s19, v177, v181
	v_and_b32_e32 v246, 0xf0f0f0f, v71
	v_add_u32_e32 v71, s18, v171
	v_and_b32_e32 v231, 0xf0f0f0f, v69
	v_and_b32_e32 v233, 0xf0f0f0f, v132
	;; [unrolled: 1-line block ×3, first 2 shown]
	ds_read_u16 v69, v65
	ds_read_u8 v67, v65 offset:8
	ds_read_u8 v65, v65 offset:9
	ds_read2_b32 v[132:133], v71 offset1:1
	v_mov_b32_e32 v54, 0
	v_and_b32_e32 v194, 0xff, v59
	v_lshrrev_b16_e32 v213, 8, v59
	v_mov_b32_e32 v59, 0
	v_and_b32_e32 v205, 0xf0f0f0f, v116
	v_mov_b32_e32 v255, 0
	s_waitcnt lgkmcnt(1)
	v_cvt_f32_ubyte0_e32 v128, v65
	s_waitcnt lgkmcnt(0)
	v_and_b32_e32 v228, 0xf0f0f0f, v132
	v_mov_b32_e32 v65, 0
	v_dot4c_i32_i8_e32 v54, v196, v12
	v_dot4c_i32_i8_e32 v59, v193, v12
	;; [unrolled: 1-line block ×3, first 2 shown]
	v_and_b32_e32 v232, 0xf0f0f0f, v117
	v_dot4c_i32_i8_e32 v65, v228, v12
	v_and_b32_e32 v247, 0xf0f0f0f, v133
	v_dot4c_i32_i8_e32 v54, v197, v13
	v_dot4c_i32_i8_e32 v59, v206, v13
	;; [unrolled: 1-line block ×4, first 2 shown]
	ds_read2_b32 v[12:13], v71 offset0:2 offset1:3
	v_dot4c_i32_i8_e32 v54, v198, v14
	v_dot4c_i32_i8_e32 v59, v207, v14
	;; [unrolled: 1-line block ×4, first 2 shown]
	s_waitcnt lgkmcnt(0)
	v_and_b32_e32 v248, 0xf0f0f0f, v12
	v_dot4c_i32_i8_e32 v65, v248, v14
	v_and_b32_e32 v249, 0xf0f0f0f, v13
	v_dot4c_i32_i8_e32 v59, v208, v15
	v_dot4c_i32_i8_e32 v255, v234, v15
	;; [unrolled: 1-line block ×3, first 2 shown]
	ds_read2_b32 v[14:15], v71 offset0:4 offset1:5
	v_and_b32_e32 v235, 0xf0f0f0f, v134
	v_dot4c_i32_i8_e32 v54, v200, v8
	v_dot4c_i32_i8_e32 v59, v209, v8
	;; [unrolled: 1-line block ×3, first 2 shown]
	s_waitcnt lgkmcnt(0)
	v_and_b32_e32 v250, 0xf0f0f0f, v14
	v_and_b32_e32 v236, 0xf0f0f0f, v135
	v_dot4c_i32_i8_e32 v65, v250, v8
	v_and_b32_e32 v251, 0xf0f0f0f, v15
	v_dot4c_i32_i8_e32 v54, v201, v9
	v_dot4c_i32_i8_e32 v59, v210, v9
	;; [unrolled: 1-line block ×4, first 2 shown]
	ds_read2_b32 v[8:9], v71 offset0:6 offset1:7
	v_and_b32_e32 v237, 0xf0f0f0f, v136
	v_dot4c_i32_i8_e32 v54, v202, v10
	v_dot4c_i32_i8_e32 v59, v211, v10
	;; [unrolled: 1-line block ×3, first 2 shown]
	s_waitcnt lgkmcnt(0)
	v_and_b32_e32 v252, 0xf0f0f0f, v8
	v_and_b32_e32 v238, 0xf0f0f0f, v137
	;; [unrolled: 1-line block ×3, first 2 shown]
	v_lshrrev_b16_e32 v243, 8, v69
	v_add3_u32 v69, s19, v176, v182
	v_dot4c_i32_i8_e32 v65, v252, v10
	v_and_b32_e32 v253, 0xf0f0f0f, v9
	v_dot4c_i32_i8_e32 v54, v203, v11
	v_dot4c_i32_i8_e32 v59, v212, v11
	;; [unrolled: 1-line block ×4, first 2 shown]
	ds_read_u16 v10, v69
	ds_read_u8 v11, v69 offset:8
	ds_read_u8 v71, v69 offset:9
	v_cvt_f32_ubyte0_e32 v124, v67
	v_lshrrev_b32_e32 v67, 4, v116
	v_mov_b32_e32 v254, 0
	s_waitcnt lgkmcnt(1)
	v_cvt_f32_ubyte0_e32 v116, v11
	v_lshrrev_b32_e32 v11, 4, v132
	v_cvt_f32_ubyte0_e32 v120, v63
	v_and_b32_e32 v55, 0xf0f0f0f, v55
	v_mov_b32_e32 v63, 0
	v_and_b32_e32 v222, 0xf0f0f0f, v67
	v_mov_b32_e32 v67, 0
	;; [unrolled: 2-line block ×3, first 2 shown]
	v_dot4c_i32_i8_e32 v254, v195, v4
	v_dot4c_i32_i8_e32 v63, v55, v4
	;; [unrolled: 1-line block ×4, first 2 shown]
	v_lshrrev_b32_e32 v4, 4, v133
	v_and_b32_e32 v192, 0xf0f0f0f, v4
	v_lshrrev_b32_e32 v4, 4, v12
	v_dot4c_i32_i8_e32 v254, v214, v5
	v_dot4c_i32_i8_e32 v63, v223, v5
	v_dot4c_i32_i8_e32 v67, v239, v5
	v_dot4c_i32_i8_e32 v69, v192, v5
	v_and_b32_e32 v190, 0xf0f0f0f, v4
	v_lshrrev_b32_e32 v4, 4, v13
	v_dot4c_i32_i8_e32 v254, v215, v6
	v_dot4c_i32_i8_e32 v63, v224, v6
	v_dot4c_i32_i8_e32 v67, v240, v6
	v_dot4c_i32_i8_e32 v69, v190, v6
	;; [unrolled: 6-line block ×3, first 2 shown]
	v_and_b32_e32 v186, 0xf0f0f0f, v4
	v_dot4c_i32_i8_e32 v254, v217, v0
	v_dot4c_i32_i8_e32 v63, v226, v0
	;; [unrolled: 1-line block ×4, first 2 shown]
	v_lshrrev_b32_e32 v0, 4, v15
	v_and_b32_e32 v187, 0xf0f0f0f, v0
	v_lshrrev_b32_e32 v0, 4, v8
	v_and_b32_e32 v188, 0xf0f0f0f, v0
	v_lshrrev_b32_e32 v0, 4, v9
	v_dot4c_i32_i8_e32 v254, v218, v1
	v_dot4c_i32_i8_e32 v63, v229, v1
	v_dot4c_i32_i8_e32 v67, v244, v1
	v_dot4c_i32_i8_e32 v69, v187, v1
	v_and_b32_e32 v189, 0xf0f0f0f, v0
	v_or_b32_e32 v0, s17, v143
	v_dot4c_i32_i8_e32 v254, v219, v2
	v_dot4c_i32_i8_e32 v63, v230, v2
	;; [unrolled: 1-line block ×4, first 2 shown]
	v_lshlrev_b32_e32 v1, 2, v0
	v_dot4c_i32_i8_e32 v254, v220, v3
	v_dot4c_i32_i8_e32 v63, v231, v3
	;; [unrolled: 1-line block ×3, first 2 shown]
	v_and_b32_e32 v117, 0xff, v10
	v_dot4c_i32_i8_e32 v69, v189, v3
	v_lshrrev_b16_e32 v184, 8, v10
	s_waitcnt lgkmcnt(0)
	v_cvt_f32_ubyte0_e32 v114, v71
	v_lshrrev_b32_e32 v71, 1, v0
	ds_read_b128 v[12:15], v1 offset:16896
	ds_read_b128 v[8:11], v1 offset:16912
	;; [unrolled: 1-line block ×4, first 2 shown]
	ds_read_b64 v[134:135], v71 offset:27200
	v_mov_b32_e32 v71, 0
	s_waitcnt lgkmcnt(4)
	v_dot4c_i32_i8_e32 v71, v196, v12
	v_mov_b32_e32 v73, 0
	v_dot4c_i32_i8_e32 v71, v197, v13
	s_waitcnt lgkmcnt(2)
	v_dot4c_i32_i8_e32 v73, v195, v4
	v_dot4c_i32_i8_e32 v71, v198, v14
	v_dot4c_i32_i8_e32 v73, v214, v5
	v_dot4c_i32_i8_e32 v71, v199, v15
	v_dot4c_i32_i8_e32 v73, v215, v6
	v_dot4c_i32_i8_e32 v71, v200, v8
	v_dot4c_i32_i8_e32 v73, v216, v7
	v_mul_lo_u32 v54, v54, v194
	v_dot4c_i32_i8_e32 v71, v201, v9
	s_waitcnt lgkmcnt(1)
	v_dot4c_i32_i8_e32 v73, v217, v0
	v_cvt_f32_f16_e32 v136, v130
	v_cvt_f32_f16_sdwa v138, v130 dst_sel:DWORD dst_unused:UNUSED_PAD src0_sel:WORD_1
	v_cvt_f32_i32_e32 v130, v54
	v_mul_lo_u32 v54, v254, v213
	v_dot4c_i32_i8_e32 v71, v202, v10
	v_dot4c_i32_i8_e32 v73, v218, v1
	v_cvt_f32_i32_e32 v88, v54
	v_mov_b32_e32 v54, 0
	v_dot4c_i32_i8_e32 v71, v203, v11
	v_dot4c_i32_i8_e32 v73, v219, v2
	;; [unrolled: 1-line block ×4, first 2 shown]
	s_waitcnt lgkmcnt(0)
	v_cvt_f32_f16_sdwa v139, v134 dst_sel:DWORD dst_unused:UNUSED_PAD src0_sel:WORD_1
	v_mul_lo_u32 v71, v71, v194
	v_dot4c_i32_i8_e32 v54, v206, v13
	v_cvt_f32_f16_e32 v137, v134
	v_cvt_f32_f16_e32 v133, v135
	;; [unrolled: 1-line block ×3, first 2 shown]
	v_cvt_f32_f16_sdwa v135, v135 dst_sel:DWORD dst_unused:UNUSED_PAD src0_sel:WORD_1
	v_cvt_f32_f16_sdwa v134, v131 dst_sel:DWORD dst_unused:UNUSED_PAD src0_sel:WORD_1
	v_cvt_f32_i32_e32 v131, v71
	v_mul_lo_u32 v71, v73, v213
	v_dot4c_i32_i8_e32 v54, v207, v14
	v_cvt_f32_i32_e32 v89, v71
	v_dot4c_i32_i8_e32 v54, v208, v15
	v_dot4c_i32_i8_e32 v54, v209, v8
	v_mov_b32_e32 v71, 0
	v_pk_fma_f32 v[86:87], v[118:119], v[138:139], 0 op_sel_hi:[0,1,0]
	v_dot4c_i32_i8_e32 v54, v210, v9
	v_dot4c_i32_i8_e32 v71, v55, v4
	v_pk_fma_f32 v[130:131], v[136:137], v[130:131], 0 op_sel_hi:[1,1,0]
	v_pk_fma_f32 v[86:87], v[122:123], v[134:135], v[86:87] op_sel_hi:[0,1,1]
	v_dot4c_i32_i8_e32 v54, v211, v10
	v_dot4c_i32_i8_e32 v71, v223, v5
	v_pk_fma_f32 v[88:89], v[132:133], v[88:89], v[130:131]
	v_pk_mul_f32 v[86:87], v[86:87], v[18:19]
	v_dot4c_i32_i8_e32 v54, v212, v11
	v_dot4c_i32_i8_e32 v71, v224, v6
	v_pk_fma_f32 v[86:87], v[88:89], v[16:17], v[86:87] neg_lo:[0,0,1] neg_hi:[0,0,1]
	v_dot4c_i32_i8_e32 v71, v225, v7
	v_mul_lo_u32 v54, v54, v204
	v_pk_add_f32 v[56:57], v[56:57], v[86:87]
	v_dot4c_i32_i8_e32 v71, v226, v0
	v_cvt_f32_i32_e32 v87, v54
	v_mul_lo_u32 v54, v63, v227
	v_dot4c_i32_i8_e32 v71, v229, v1
	v_cvt_f32_i32_e32 v130, v54
	v_mov_b32_e32 v54, 0
	v_dot4c_i32_i8_e32 v71, v230, v2
	v_dot4c_i32_i8_e32 v54, v205, v12
	;; [unrolled: 1-line block ×3, first 2 shown]
	v_mul_lo_u32 v59, v59, v204
	v_dot4c_i32_i8_e32 v54, v232, v13
	v_cvt_f32_i32_e32 v86, v59
	v_mul_lo_u32 v59, v71, v227
	v_dot4c_i32_i8_e32 v54, v233, v14
	v_cvt_f32_i32_e32 v131, v59
	v_dot4c_i32_i8_e32 v54, v234, v15
	v_dot4c_i32_i8_e32 v54, v235, v8
	v_pk_fma_f32 v[88:89], v[120:121], v[138:139], 0 op_sel_hi:[0,1,0]
	v_dot4c_i32_i8_e32 v54, v236, v9
	v_pk_fma_f32 v[86:87], v[136:137], v[86:87], 0 op_sel_hi:[1,1,0]
	v_pk_fma_f32 v[88:89], v[126:127], v[134:135], v[88:89] op_sel_hi:[0,1,1]
	v_dot4c_i32_i8_e32 v54, v237, v10
	v_pk_fma_f32 v[86:87], v[132:133], v[130:131], v[86:87]
	v_pk_mul_f32 v[88:89], v[88:89], v[104:105]
	v_dot4c_i32_i8_e32 v54, v238, v11
	v_pk_fma_f32 v[86:87], v[86:87], v[102:103], v[88:89] neg_lo:[0,0,1] neg_hi:[0,0,1]
	v_mov_b32_e32 v59, 0
	v_pk_add_f32 v[52:53], v[52:53], v[86:87]
	v_mul_lo_u32 v54, v54, v221
	v_cvt_f32_i32_e32 v87, v54
	v_mul_lo_u32 v54, v67, v243
	v_cvt_f32_i32_e32 v130, v54
	v_mov_b32_e32 v54, 0
	v_dot4c_i32_i8_e32 v54, v228, v12
	v_dot4c_i32_i8_e32 v54, v247, v13
	v_dot4c_i32_i8_e32 v54, v248, v14
	v_dot4c_i32_i8_e32 v54, v249, v15
	v_dot4c_i32_i8_e32 v54, v250, v8
	v_mov_b32_e32 v8, 0
	v_dot4c_i32_i8_e32 v8, v191, v4
	v_dot4c_i32_i8_e32 v8, v192, v5
	v_dot4c_i32_i8_e32 v59, v222, v4
	v_dot4c_i32_i8_e32 v8, v190, v6
	v_dot4c_i32_i8_e32 v59, v239, v5
	v_dot4c_i32_i8_e32 v8, v185, v7
	v_dot4c_i32_i8_e32 v59, v240, v6
	v_dot4c_i32_i8_e32 v54, v251, v9
	v_dot4c_i32_i8_e32 v8, v186, v0
	v_dot4c_i32_i8_e32 v59, v241, v7
	v_dot4c_i32_i8_e32 v54, v252, v10
	v_dot4c_i32_i8_e32 v8, v187, v1
	v_dot4c_i32_i8_e32 v59, v242, v0
	v_dot4c_i32_i8_e32 v54, v253, v11
	v_dot4c_i32_i8_e32 v8, v188, v2
	v_dot4c_i32_i8_e32 v59, v244, v1
	v_dot4c_i32_i8_e32 v8, v189, v3
	v_mul_lo_u32 v0, v65, v117
	v_mul_lo_u32 v1, v54, v117
	v_cvt_f32_i32_e32 v1, v1
	v_cvt_f32_i32_e32 v0, v0
	v_mul_lo_u32 v4, v69, v184
	v_mul_lo_u32 v5, v8, v184
	v_cvt_f32_i32_e32 v5, v5
	v_cvt_f32_i32_e32 v4, v4
	v_dot4c_i32_i8_e32 v59, v245, v2
	v_dot4c_i32_i8_e32 v59, v246, v3
	v_mul_lo_u32 v63, v255, v221
	v_pk_fma_f32 v[2:3], v[116:117], v[138:139], 0 op_sel_hi:[0,1,0]
	v_cvt_f32_i32_e32 v86, v63
	v_mul_lo_u32 v59, v59, v243
	v_pk_fma_f32 v[0:1], v[136:137], v[0:1], 0 op_sel_hi:[1,1,0]
	v_pk_fma_f32 v[2:3], v[114:115], v[134:135], v[2:3] op_sel_hi:[0,1,1]
	v_cvt_f32_i32_e32 v131, v59
	v_pk_fma_f32 v[0:1], v[132:133], v[4:5], v[0:1]
	v_pk_mul_f32 v[2:3], v[2:3], v[112:113]
	v_pk_fma_f32 v[86:87], v[136:137], v[86:87], 0 op_sel_hi:[1,1,0]
	v_pk_fma_f32 v[0:1], v[0:1], v[110:111], v[2:3] neg_lo:[0,0,1] neg_hi:[0,0,1]
	v_pk_fma_f32 v[86:87], v[132:133], v[130:131], v[86:87]
	v_pk_add_f32 v[44:45], v[44:45], v[0:1]
	v_or_b32_e32 v0, s17, v146
	v_lshlrev_b32_e32 v1, 2, v0
	v_lshrrev_b32_e32 v54, 1, v0
	ds_read_b128 v[12:15], v1 offset:16896
	ds_read_b128 v[8:11], v1 offset:16912
	;; [unrolled: 1-line block ×4, first 2 shown]
	ds_read_b64 v[130:131], v54 offset:27200
	v_mov_b32_e32 v67, 0
	v_mov_b32_e32 v69, 0
	;; [unrolled: 1-line block ×8, first 2 shown]
	s_waitcnt lgkmcnt(4)
	v_dot4c_i32_i8_e32 v67, v196, v12
	s_waitcnt lgkmcnt(2)
	v_dot4c_i32_i8_e32 v69, v195, v4
	v_dot4c_i32_i8_e32 v71, v193, v12
	;; [unrolled: 1-line block ×15, first 2 shown]
	v_pk_fma_f32 v[88:89], v[124:125], v[138:139], 0 op_sel_hi:[0,1,0]
	v_dot4c_i32_i8_e32 v67, v198, v14
	v_dot4c_i32_i8_e32 v69, v215, v6
	;; [unrolled: 1-line block ×8, first 2 shown]
	v_pk_fma_f32 v[88:89], v[128:129], v[134:135], v[88:89] op_sel_hi:[0,1,1]
	v_dot4c_i32_i8_e32 v67, v199, v15
	v_dot4c_i32_i8_e32 v69, v216, v7
	;; [unrolled: 1-line block ×8, first 2 shown]
	v_pk_mul_f32 v[88:89], v[88:89], v[108:109]
	v_dot4c_i32_i8_e32 v67, v200, v8
	s_waitcnt lgkmcnt(1)
	v_dot4c_i32_i8_e32 v69, v217, v0
	v_dot4c_i32_i8_e32 v71, v209, v8
	;; [unrolled: 1-line block ×7, first 2 shown]
	v_pk_fma_f32 v[86:87], v[86:87], v[106:107], v[88:89] neg_lo:[0,0,1] neg_hi:[0,0,1]
	v_dot4c_i32_i8_e32 v67, v201, v9
	v_dot4c_i32_i8_e32 v69, v218, v1
	;; [unrolled: 1-line block ×8, first 2 shown]
	v_or_b32_e32 v0, s17, v149
	v_pk_add_f32 v[46:47], v[46:47], v[86:87]
	v_dot4c_i32_i8_e32 v67, v202, v10
	v_dot4c_i32_i8_e32 v69, v219, v2
	;; [unrolled: 1-line block ×8, first 2 shown]
	v_lshlrev_b32_e32 v1, 2, v0
	v_lshrrev_b32_e32 v86, 1, v0
	v_dot4c_i32_i8_e32 v67, v203, v11
	v_dot4c_i32_i8_e32 v69, v220, v3
	v_dot4c_i32_i8_e32 v71, v212, v11
	v_dot4c_i32_i8_e32 v73, v231, v3
	v_dot4c_i32_i8_e32 v63, v238, v11
	v_dot4c_i32_i8_e32 v65, v246, v3
	v_dot4c_i32_i8_e32 v54, v253, v11
	v_dot4c_i32_i8_e32 v59, v189, v3
	ds_read_b128 v[12:15], v1 offset:16896
	ds_read_b128 v[8:11], v1 offset:16912
	;; [unrolled: 1-line block ×4, first 2 shown]
	ds_read_b64 v[86:87], v86 offset:27200
	v_mov_b32_e32 v88, 0
	s_waitcnt lgkmcnt(4)
	v_dot4c_i32_i8_e32 v88, v196, v12
	v_dot4c_i32_i8_e32 v88, v197, v13
	v_mov_b32_e32 v254, 0
	v_dot4c_i32_i8_e32 v88, v198, v14
	s_waitcnt lgkmcnt(2)
	v_dot4c_i32_i8_e32 v254, v195, v4
	v_dot4c_i32_i8_e32 v88, v199, v15
	;; [unrolled: 1-line block ×8, first 2 shown]
	s_waitcnt lgkmcnt(1)
	v_dot4c_i32_i8_e32 v254, v217, v0
	v_dot4c_i32_i8_e32 v88, v203, v11
	;; [unrolled: 1-line block ×4, first 2 shown]
	s_waitcnt lgkmcnt(0)
	v_cvt_f32_f16_e32 v137, v86
	v_cvt_f32_f16_sdwa v139, v86 dst_sel:DWORD dst_unused:UNUSED_PAD src0_sel:WORD_1
	v_mul_lo_u32 v67, v67, v194
	v_mul_lo_u32 v86, v88, v194
	v_dot4c_i32_i8_e32 v254, v220, v3
	v_cvt_f32_f16_e32 v133, v87
	v_cvt_f32_f16_sdwa v135, v87 dst_sel:DWORD dst_unused:UNUSED_PAD src0_sel:WORD_1
	v_cvt_f32_i32_e32 v87, v86
	v_cvt_f32_i32_e32 v86, v67
	v_mul_lo_u32 v67, v69, v213
	v_cvt_f32_f16_e32 v136, v130
	v_cvt_f32_f16_sdwa v138, v130 dst_sel:DWORD dst_unused:UNUSED_PAD src0_sel:WORD_1
	v_mul_lo_u32 v69, v254, v213
	v_cvt_f32_i32_e32 v130, v67
	v_mov_b32_e32 v67, 0
	v_cvt_f32_f16_e32 v132, v131
	v_cvt_f32_f16_sdwa v134, v131 dst_sel:DWORD dst_unused:UNUSED_PAD src0_sel:WORD_1
	v_cvt_f32_i32_e32 v131, v69
	v_dot4c_i32_i8_e32 v67, v193, v12
	v_mov_b32_e32 v69, 0
	v_dot4c_i32_i8_e32 v67, v206, v13
	v_dot4c_i32_i8_e32 v69, v55, v4
	;; [unrolled: 1-line block ×8, first 2 shown]
	v_pk_fma_f32 v[88:89], v[118:119], v[138:139], 0 op_sel_hi:[0,1,0]
	v_dot4c_i32_i8_e32 v67, v210, v9
	v_dot4c_i32_i8_e32 v69, v226, v0
	v_pk_fma_f32 v[86:87], v[86:87], v[136:137], 0 op_sel_hi:[1,1,0]
	v_pk_fma_f32 v[88:89], v[122:123], v[134:135], v[88:89] op_sel_hi:[0,1,1]
	v_dot4c_i32_i8_e32 v67, v211, v10
	v_dot4c_i32_i8_e32 v69, v229, v1
	v_pk_fma_f32 v[86:87], v[130:131], v[132:133], v[86:87]
	v_pk_mul_f32 v[88:89], v[88:89], v[18:19]
	v_dot4c_i32_i8_e32 v67, v212, v11
	v_dot4c_i32_i8_e32 v69, v230, v2
	v_pk_fma_f32 v[86:87], v[86:87], v[16:17], v[88:89] neg_lo:[0,0,1] neg_hi:[0,0,1]
	v_dot4c_i32_i8_e32 v69, v231, v3
	v_mul_lo_u32 v71, v71, v204
	v_mul_lo_u32 v67, v67, v204
	v_pk_add_f32 v[42:43], v[42:43], v[86:87]
	v_cvt_f32_i32_e32 v87, v67
	v_cvt_f32_i32_e32 v86, v71
	v_mul_lo_u32 v67, v73, v227
	v_mul_lo_u32 v69, v69, v227
	v_cvt_f32_i32_e32 v131, v69
	v_cvt_f32_i32_e32 v130, v67
	v_pk_fma_f32 v[88:89], v[120:121], v[138:139], 0 op_sel_hi:[0,1,0]
	v_pk_fma_f32 v[86:87], v[86:87], v[136:137], 0 op_sel_hi:[1,1,0]
	;; [unrolled: 1-line block ×3, first 2 shown]
	v_pk_fma_f32 v[86:87], v[130:131], v[132:133], v[86:87]
	v_pk_mul_f32 v[88:89], v[88:89], v[104:105]
	v_mul_lo_u32 v63, v63, v221
	v_pk_fma_f32 v[86:87], v[86:87], v[102:103], v[88:89] neg_lo:[0,0,1] neg_hi:[0,0,1]
	v_mov_b32_e32 v67, 0
	v_pk_add_f32 v[40:41], v[40:41], v[86:87]
	v_cvt_f32_i32_e32 v86, v63
	v_mul_lo_u32 v63, v65, v243
	v_cvt_f32_i32_e32 v130, v63
	v_mov_b32_e32 v63, 0
	v_dot4c_i32_i8_e32 v67, v205, v12
	v_dot4c_i32_i8_e32 v63, v228, v12
	;; [unrolled: 1-line block ×10, first 2 shown]
	v_mov_b32_e32 v8, 0
	v_dot4c_i32_i8_e32 v8, v191, v4
	v_mov_b32_e32 v69, 0
	v_dot4c_i32_i8_e32 v8, v192, v5
	v_dot4c_i32_i8_e32 v69, v222, v4
	;; [unrolled: 1-line block ×16, first 2 shown]
	v_mul_lo_u32 v0, v54, v117
	v_mul_lo_u32 v1, v63, v117
	v_dot4c_i32_i8_e32 v67, v236, v9
	v_cvt_f32_i32_e32 v1, v1
	v_cvt_f32_i32_e32 v0, v0
	v_mul_lo_u32 v4, v59, v184
	v_mul_lo_u32 v5, v8, v184
	v_dot4c_i32_i8_e32 v67, v237, v10
	v_cvt_f32_i32_e32 v5, v5
	v_cvt_f32_i32_e32 v4, v4
	v_dot4c_i32_i8_e32 v67, v238, v11
	v_dot4c_i32_i8_e32 v69, v245, v2
	;; [unrolled: 1-line block ×3, first 2 shown]
	v_pk_fma_f32 v[2:3], v[116:117], v[138:139], 0 op_sel_hi:[0,1,0]
	v_mul_lo_u32 v67, v67, v221
	v_cvt_f32_i32_e32 v87, v67
	v_mul_lo_u32 v65, v69, v243
	v_pk_fma_f32 v[0:1], v[0:1], v[136:137], 0 op_sel_hi:[1,1,0]
	v_pk_fma_f32 v[2:3], v[114:115], v[134:135], v[2:3] op_sel_hi:[0,1,1]
	v_cvt_f32_i32_e32 v131, v65
	v_pk_fma_f32 v[0:1], v[4:5], v[132:133], v[0:1]
	v_pk_mul_f32 v[2:3], v[2:3], v[112:113]
	v_pk_fma_f32 v[86:87], v[86:87], v[136:137], 0 op_sel_hi:[1,1,0]
	v_pk_fma_f32 v[0:1], v[0:1], v[110:111], v[2:3] neg_lo:[0,0,1] neg_hi:[0,0,1]
	v_pk_fma_f32 v[86:87], v[130:131], v[132:133], v[86:87]
	v_pk_add_f32 v[36:37], v[36:37], v[0:1]
	v_or_b32_e32 v0, s17, v152
	v_lshlrev_b32_e32 v1, 2, v0
	v_lshrrev_b32_e32 v54, 1, v0
	ds_read_b128 v[12:15], v1 offset:16896
	ds_read_b128 v[8:11], v1 offset:16912
	;; [unrolled: 1-line block ×4, first 2 shown]
	ds_read_b64 v[130:131], v54 offset:27200
	v_mov_b32_e32 v67, 0
	v_mov_b32_e32 v69, 0
	;; [unrolled: 1-line block ×8, first 2 shown]
	s_waitcnt lgkmcnt(4)
	v_dot4c_i32_i8_e32 v67, v196, v12
	s_waitcnt lgkmcnt(2)
	v_dot4c_i32_i8_e32 v69, v195, v4
	v_dot4c_i32_i8_e32 v71, v193, v12
	;; [unrolled: 1-line block ×15, first 2 shown]
	v_pk_fma_f32 v[88:89], v[124:125], v[138:139], 0 op_sel_hi:[0,1,0]
	v_dot4c_i32_i8_e32 v67, v198, v14
	v_dot4c_i32_i8_e32 v69, v215, v6
	;; [unrolled: 1-line block ×8, first 2 shown]
	v_pk_fma_f32 v[88:89], v[128:129], v[134:135], v[88:89] op_sel_hi:[0,1,1]
	v_dot4c_i32_i8_e32 v67, v199, v15
	v_dot4c_i32_i8_e32 v69, v216, v7
	;; [unrolled: 1-line block ×8, first 2 shown]
	v_pk_mul_f32 v[88:89], v[88:89], v[108:109]
	v_dot4c_i32_i8_e32 v67, v200, v8
	s_waitcnt lgkmcnt(1)
	v_dot4c_i32_i8_e32 v69, v217, v0
	v_dot4c_i32_i8_e32 v71, v209, v8
	v_dot4c_i32_i8_e32 v73, v226, v0
	v_dot4c_i32_i8_e32 v63, v235, v8
	v_dot4c_i32_i8_e32 v65, v242, v0
	v_dot4c_i32_i8_e32 v54, v250, v8
	v_dot4c_i32_i8_e32 v59, v186, v0
	v_pk_fma_f32 v[86:87], v[86:87], v[106:107], v[88:89] neg_lo:[0,0,1] neg_hi:[0,0,1]
	v_dot4c_i32_i8_e32 v67, v201, v9
	v_dot4c_i32_i8_e32 v69, v218, v1
	v_dot4c_i32_i8_e32 v71, v210, v9
	v_dot4c_i32_i8_e32 v73, v229, v1
	v_dot4c_i32_i8_e32 v63, v236, v9
	v_dot4c_i32_i8_e32 v65, v244, v1
	v_dot4c_i32_i8_e32 v54, v251, v9
	v_dot4c_i32_i8_e32 v59, v187, v1
	v_or_b32_e32 v0, s17, v155
	v_pk_add_f32 v[38:39], v[38:39], v[86:87]
	v_dot4c_i32_i8_e32 v67, v202, v10
	v_dot4c_i32_i8_e32 v69, v219, v2
	;; [unrolled: 1-line block ×8, first 2 shown]
	v_lshlrev_b32_e32 v1, 2, v0
	v_lshrrev_b32_e32 v86, 1, v0
	v_dot4c_i32_i8_e32 v67, v203, v11
	v_dot4c_i32_i8_e32 v69, v220, v3
	;; [unrolled: 1-line block ×8, first 2 shown]
	ds_read_b128 v[12:15], v1 offset:16896
	ds_read_b128 v[8:11], v1 offset:16912
	;; [unrolled: 1-line block ×4, first 2 shown]
	ds_read_b64 v[86:87], v86 offset:27200
	v_mov_b32_e32 v88, 0
	s_waitcnt lgkmcnt(4)
	v_dot4c_i32_i8_e32 v88, v196, v12
	v_dot4c_i32_i8_e32 v88, v197, v13
	v_mov_b32_e32 v254, 0
	v_dot4c_i32_i8_e32 v88, v198, v14
	s_waitcnt lgkmcnt(2)
	v_dot4c_i32_i8_e32 v254, v195, v4
	v_dot4c_i32_i8_e32 v88, v199, v15
	;; [unrolled: 1-line block ×8, first 2 shown]
	s_waitcnt lgkmcnt(1)
	v_dot4c_i32_i8_e32 v254, v217, v0
	v_dot4c_i32_i8_e32 v88, v203, v11
	;; [unrolled: 1-line block ×4, first 2 shown]
	s_waitcnt lgkmcnt(0)
	v_cvt_f32_f16_e32 v137, v86
	v_cvt_f32_f16_sdwa v139, v86 dst_sel:DWORD dst_unused:UNUSED_PAD src0_sel:WORD_1
	v_mul_lo_u32 v67, v67, v194
	v_mul_lo_u32 v86, v88, v194
	v_dot4c_i32_i8_e32 v254, v220, v3
	v_cvt_f32_f16_e32 v133, v87
	v_cvt_f32_f16_sdwa v135, v87 dst_sel:DWORD dst_unused:UNUSED_PAD src0_sel:WORD_1
	v_cvt_f32_i32_e32 v87, v86
	v_cvt_f32_i32_e32 v86, v67
	v_mul_lo_u32 v67, v69, v213
	v_cvt_f32_f16_e32 v136, v130
	v_cvt_f32_f16_sdwa v138, v130 dst_sel:DWORD dst_unused:UNUSED_PAD src0_sel:WORD_1
	v_mul_lo_u32 v69, v254, v213
	v_cvt_f32_i32_e32 v130, v67
	v_mov_b32_e32 v67, 0
	v_cvt_f32_f16_e32 v132, v131
	v_cvt_f32_f16_sdwa v134, v131 dst_sel:DWORD dst_unused:UNUSED_PAD src0_sel:WORD_1
	v_cvt_f32_i32_e32 v131, v69
	v_dot4c_i32_i8_e32 v67, v193, v12
	v_mov_b32_e32 v69, 0
	v_dot4c_i32_i8_e32 v67, v206, v13
	v_dot4c_i32_i8_e32 v69, v55, v4
	;; [unrolled: 1-line block ×8, first 2 shown]
	v_pk_fma_f32 v[88:89], v[118:119], v[138:139], 0 op_sel_hi:[0,1,0]
	v_dot4c_i32_i8_e32 v67, v210, v9
	v_dot4c_i32_i8_e32 v69, v226, v0
	v_pk_fma_f32 v[86:87], v[86:87], v[136:137], 0 op_sel_hi:[1,1,0]
	v_pk_fma_f32 v[88:89], v[122:123], v[134:135], v[88:89] op_sel_hi:[0,1,1]
	v_dot4c_i32_i8_e32 v67, v211, v10
	v_dot4c_i32_i8_e32 v69, v229, v1
	v_pk_fma_f32 v[86:87], v[130:131], v[132:133], v[86:87]
	v_pk_mul_f32 v[88:89], v[88:89], v[18:19]
	v_dot4c_i32_i8_e32 v67, v212, v11
	v_dot4c_i32_i8_e32 v69, v230, v2
	v_pk_fma_f32 v[86:87], v[86:87], v[16:17], v[88:89] neg_lo:[0,0,1] neg_hi:[0,0,1]
	v_dot4c_i32_i8_e32 v69, v231, v3
	v_mul_lo_u32 v71, v71, v204
	v_mul_lo_u32 v67, v67, v204
	v_pk_add_f32 v[34:35], v[34:35], v[86:87]
	v_cvt_f32_i32_e32 v87, v67
	v_cvt_f32_i32_e32 v86, v71
	v_mul_lo_u32 v67, v73, v227
	v_mul_lo_u32 v69, v69, v227
	v_cvt_f32_i32_e32 v131, v69
	v_cvt_f32_i32_e32 v130, v67
	v_pk_fma_f32 v[88:89], v[120:121], v[138:139], 0 op_sel_hi:[0,1,0]
	v_pk_fma_f32 v[86:87], v[86:87], v[136:137], 0 op_sel_hi:[1,1,0]
	;; [unrolled: 1-line block ×3, first 2 shown]
	v_pk_fma_f32 v[86:87], v[130:131], v[132:133], v[86:87]
	v_pk_mul_f32 v[88:89], v[88:89], v[104:105]
	v_mul_lo_u32 v63, v63, v221
	v_pk_fma_f32 v[86:87], v[86:87], v[102:103], v[88:89] neg_lo:[0,0,1] neg_hi:[0,0,1]
	v_mov_b32_e32 v67, 0
	v_pk_add_f32 v[32:33], v[32:33], v[86:87]
	v_cvt_f32_i32_e32 v86, v63
	v_mul_lo_u32 v63, v65, v243
	v_cvt_f32_i32_e32 v130, v63
	v_mov_b32_e32 v63, 0
	v_dot4c_i32_i8_e32 v67, v205, v12
	v_dot4c_i32_i8_e32 v63, v228, v12
	;; [unrolled: 1-line block ×10, first 2 shown]
	v_mov_b32_e32 v8, 0
	v_dot4c_i32_i8_e32 v8, v191, v4
	v_mov_b32_e32 v69, 0
	v_dot4c_i32_i8_e32 v8, v192, v5
	v_dot4c_i32_i8_e32 v69, v222, v4
	;; [unrolled: 1-line block ×16, first 2 shown]
	v_mul_lo_u32 v0, v54, v117
	v_mul_lo_u32 v1, v63, v117
	v_cvt_f32_i32_e32 v1, v1
	v_cvt_f32_i32_e32 v0, v0
	v_mul_lo_u32 v4, v59, v184
	v_mul_lo_u32 v5, v8, v184
	v_cvt_f32_i32_e32 v5, v5
	v_cvt_f32_i32_e32 v4, v4
	v_dot4c_i32_i8_e32 v69, v245, v2
	v_dot4c_i32_i8_e32 v69, v246, v3
	v_pk_fma_f32 v[2:3], v[116:117], v[138:139], 0 op_sel_hi:[0,1,0]
	v_pk_fma_f32 v[0:1], v[0:1], v[136:137], 0 op_sel_hi:[1,1,0]
	;; [unrolled: 1-line block ×3, first 2 shown]
	v_pk_fma_f32 v[0:1], v[4:5], v[132:133], v[0:1]
	v_pk_mul_f32 v[2:3], v[2:3], v[112:113]
	v_dot4c_i32_i8_e32 v67, v236, v9
	v_pk_fma_f32 v[0:1], v[0:1], v[110:111], v[2:3] neg_lo:[0,0,1] neg_hi:[0,0,1]
	v_dot4c_i32_i8_e32 v67, v237, v10
	v_pk_add_f32 v[28:29], v[28:29], v[0:1]
	v_or_b32_e32 v0, s17, v158
	v_lshlrev_b32_e32 v1, 2, v0
	v_dot4c_i32_i8_e32 v67, v238, v11
	v_pk_fma_f32 v[88:89], v[124:125], v[138:139], 0 op_sel_hi:[0,1,0]
	v_lshrrev_b32_e32 v54, 1, v0
	ds_read_b128 v[12:15], v1 offset:16896
	ds_read_b128 v[8:11], v1 offset:16912
	;; [unrolled: 1-line block ×4, first 2 shown]
	ds_read_b64 v[138:139], v54 offset:27200
	v_mul_lo_u32 v67, v67, v221
	v_mul_lo_u32 v65, v69, v243
	v_cvt_f32_i32_e32 v87, v67
	v_cvt_f32_i32_e32 v131, v65
	v_mov_b32_e32 v63, 0
	v_mov_b32_e32 v65, 0
	;; [unrolled: 1-line block ×8, first 2 shown]
	s_waitcnt lgkmcnt(4)
	v_dot4c_i32_i8_e32 v63, v196, v12
	s_waitcnt lgkmcnt(2)
	v_dot4c_i32_i8_e32 v65, v195, v4
	v_dot4c_i32_i8_e32 v67, v193, v12
	;; [unrolled: 1-line block ×31, first 2 shown]
	v_pk_fma_f32 v[86:87], v[86:87], v[136:137], 0 op_sel_hi:[1,1,0]
	v_pk_fma_f32 v[88:89], v[128:129], v[134:135], v[88:89] op_sel_hi:[0,1,1]
	v_dot4c_i32_i8_e32 v63, v200, v8
	s_waitcnt lgkmcnt(1)
	v_dot4c_i32_i8_e32 v65, v217, v0
	v_dot4c_i32_i8_e32 v67, v209, v8
	;; [unrolled: 1-line block ×7, first 2 shown]
	v_pk_fma_f32 v[86:87], v[130:131], v[132:133], v[86:87]
	v_pk_mul_f32 v[88:89], v[88:89], v[108:109]
	v_dot4c_i32_i8_e32 v63, v201, v9
	v_dot4c_i32_i8_e32 v65, v218, v1
	;; [unrolled: 1-line block ×8, first 2 shown]
	v_or_b32_e32 v0, s17, v161
	v_pk_fma_f32 v[86:87], v[86:87], v[106:107], v[88:89] neg_lo:[0,0,1] neg_hi:[0,0,1]
	v_dot4c_i32_i8_e32 v63, v202, v10
	v_dot4c_i32_i8_e32 v65, v219, v2
	;; [unrolled: 1-line block ×8, first 2 shown]
	v_lshlrev_b32_e32 v1, 2, v0
	v_pk_add_f32 v[30:31], v[30:31], v[86:87]
	v_dot4c_i32_i8_e32 v63, v203, v11
	v_dot4c_i32_i8_e32 v65, v220, v3
	;; [unrolled: 1-line block ×8, first 2 shown]
	v_lshrrev_b32_e32 v71, 1, v0
	ds_read_b128 v[12:15], v1 offset:16896
	ds_read_b128 v[8:11], v1 offset:16912
	;; [unrolled: 1-line block ×4, first 2 shown]
	ds_read_b64 v[86:87], v71 offset:27200
	v_mov_b32_e32 v73, 0
	v_mov_b32_e32 v71, 0
	s_waitcnt lgkmcnt(2)
	v_dot4c_i32_i8_e32 v73, v195, v4
	v_dot4c_i32_i8_e32 v71, v196, v12
	;; [unrolled: 1-line block ×8, first 2 shown]
	s_waitcnt lgkmcnt(1)
	v_dot4c_i32_i8_e32 v73, v217, v0
	v_dot4c_i32_i8_e32 v71, v200, v8
	;; [unrolled: 1-line block ×5, first 2 shown]
	v_mul_lo_u32 v63, v63, v194
	v_dot4c_i32_i8_e32 v71, v202, v10
	v_dot4c_i32_i8_e32 v73, v220, v3
	s_waitcnt lgkmcnt(0)
	v_cvt_f32_f16_e32 v137, v86
	v_cvt_f32_f16_sdwa v135, v86 dst_sel:DWORD dst_unused:UNUSED_PAD src0_sel:WORD_1
	v_cvt_f32_i32_e32 v86, v63
	v_mul_lo_u32 v63, v65, v213
	v_dot4c_i32_i8_e32 v71, v203, v11
	v_cvt_f32_f16_e32 v136, v138
	v_cvt_f32_f16_sdwa v134, v138 dst_sel:DWORD dst_unused:UNUSED_PAD src0_sel:WORD_1
	v_mul_lo_u32 v65, v73, v213
	v_cvt_f32_i32_e32 v138, v63
	v_mov_b32_e32 v63, 0
	v_cvt_f32_f16_e32 v132, v139
	v_cvt_f32_f16_sdwa v130, v139 dst_sel:DWORD dst_unused:UNUSED_PAD src0_sel:WORD_1
	v_mul_lo_u32 v71, v71, v194
	v_cvt_f32_i32_e32 v139, v65
	v_dot4c_i32_i8_e32 v63, v193, v12
	v_mov_b32_e32 v65, 0
	v_cvt_f32_f16_e32 v133, v87
	v_cvt_f32_f16_sdwa v131, v87 dst_sel:DWORD dst_unused:UNUSED_PAD src0_sel:WORD_1
	v_cvt_f32_i32_e32 v87, v71
	v_dot4c_i32_i8_e32 v63, v206, v13
	v_dot4c_i32_i8_e32 v65, v55, v4
	;; [unrolled: 1-line block ×6, first 2 shown]
	v_pk_fma_f32 v[88:89], v[118:119], v[134:135], 0 op_sel_hi:[0,1,0]
	v_dot4c_i32_i8_e32 v63, v209, v8
	v_dot4c_i32_i8_e32 v65, v225, v7
	v_pk_fma_f32 v[86:87], v[86:87], v[136:137], 0 op_sel_hi:[1,1,0]
	v_pk_fma_f32 v[88:89], v[122:123], v[130:131], v[88:89] op_sel_hi:[0,1,1]
	v_dot4c_i32_i8_e32 v63, v210, v9
	v_dot4c_i32_i8_e32 v65, v226, v0
	v_pk_fma_f32 v[86:87], v[138:139], v[132:133], v[86:87]
	v_pk_mul_f32 v[88:89], v[88:89], v[18:19]
	v_dot4c_i32_i8_e32 v63, v211, v10
	v_dot4c_i32_i8_e32 v65, v229, v1
	v_pk_fma_f32 v[86:87], v[86:87], v[16:17], v[88:89] neg_lo:[0,0,1] neg_hi:[0,0,1]
	v_dot4c_i32_i8_e32 v63, v212, v11
	v_dot4c_i32_i8_e32 v65, v230, v2
	v_mul_lo_u32 v55, v67, v204
	v_pk_add_f32 v[26:27], v[26:27], v[86:87]
	v_dot4c_i32_i8_e32 v65, v231, v3
	v_mul_lo_u32 v63, v63, v204
	v_cvt_f32_i32_e32 v86, v55
	v_mul_lo_u32 v55, v69, v227
	v_cvt_f32_i32_e32 v87, v63
	v_mul_lo_u32 v63, v65, v227
	v_cvt_f32_i32_e32 v138, v55
	v_mov_b32_e32 v55, 0
	v_cvt_f32_i32_e32 v139, v63
	v_dot4c_i32_i8_e32 v55, v205, v12
	v_mov_b32_e32 v63, 0
	v_dot4c_i32_i8_e32 v55, v232, v13
	v_dot4c_i32_i8_e32 v63, v222, v4
	;; [unrolled: 1-line block ×12, first 2 shown]
	v_pk_fma_f32 v[88:89], v[120:121], v[134:135], 0 op_sel_hi:[0,1,0]
	v_dot4c_i32_i8_e32 v55, v238, v11
	v_dot4c_i32_i8_e32 v63, v245, v2
	v_pk_fma_f32 v[86:87], v[86:87], v[136:137], 0 op_sel_hi:[1,1,0]
	v_pk_fma_f32 v[88:89], v[126:127], v[130:131], v[88:89] op_sel_hi:[0,1,1]
	v_dot4c_i32_i8_e32 v63, v246, v3
	v_mul_lo_u32 v54, v54, v221
	v_mul_lo_u32 v55, v55, v221
	v_pk_fma_f32 v[86:87], v[138:139], v[132:133], v[86:87]
	v_pk_mul_f32 v[88:89], v[88:89], v[104:105]
	v_cvt_f32_i32_e32 v55, v55
	v_cvt_f32_i32_e32 v54, v54
	v_mul_lo_u32 v59, v59, v243
	v_mul_lo_u32 v63, v63, v243
	v_pk_fma_f32 v[86:87], v[86:87], v[102:103], v[88:89] neg_lo:[0,0,1] neg_hi:[0,0,1]
	v_cvt_f32_i32_e32 v89, v63
	v_cvt_f32_i32_e32 v88, v59
	v_pk_add_f32 v[24:25], v[24:25], v[86:87]
	v_pk_fma_f32 v[86:87], v[124:125], v[134:135], 0 op_sel_hi:[0,1,0]
	v_pk_fma_f32 v[54:55], v[54:55], v[136:137], 0 op_sel_hi:[1,1,0]
	;; [unrolled: 1-line block ×3, first 2 shown]
	v_pk_fma_f32 v[54:55], v[88:89], v[132:133], v[54:55]
	v_pk_mul_f32 v[86:87], v[86:87], v[108:109]
	s_mov_b32 s18, 8
	v_pk_fma_f32 v[54:55], v[54:55], v[106:107], v[86:87] neg_lo:[0,0,1] neg_hi:[0,0,1]
	s_and_b64 vcc, exec, s[4:5]
	v_pk_add_f32 v[22:23], v[22:23], v[54:55]
	v_mov_b32_e32 v54, 0
	v_dot4c_i32_i8_e32 v54, v228, v12
	v_dot4c_i32_i8_e32 v54, v247, v13
	;; [unrolled: 1-line block ×5, first 2 shown]
	v_mov_b32_e32 v8, 0
	v_dot4c_i32_i8_e32 v8, v191, v4
	v_dot4c_i32_i8_e32 v8, v192, v5
	v_dot4c_i32_i8_e32 v8, v190, v6
	v_dot4c_i32_i8_e32 v8, v185, v7
	v_dot4c_i32_i8_e32 v54, v251, v9
	v_dot4c_i32_i8_e32 v8, v186, v0
	v_dot4c_i32_i8_e32 v54, v252, v10
	v_dot4c_i32_i8_e32 v8, v187, v1
	v_dot4c_i32_i8_e32 v54, v253, v11
	v_dot4c_i32_i8_e32 v8, v188, v2
	v_dot4c_i32_i8_e32 v8, v189, v3
	v_mul_lo_u32 v0, v255, v117
	v_mul_lo_u32 v1, v54, v117
	v_cvt_f32_i32_e32 v1, v1
	v_cvt_f32_i32_e32 v0, v0
	v_mul_lo_u32 v4, v254, v184
	v_mul_lo_u32 v5, v8, v184
	v_cvt_f32_i32_e32 v5, v5
	v_cvt_f32_i32_e32 v4, v4
	v_pk_fma_f32 v[2:3], v[116:117], v[134:135], 0 op_sel_hi:[0,1,0]
	v_pk_fma_f32 v[0:1], v[0:1], v[136:137], 0 op_sel_hi:[1,1,0]
	;; [unrolled: 1-line block ×3, first 2 shown]
	v_pk_fma_f32 v[0:1], v[4:5], v[132:133], v[0:1]
	v_pk_mul_f32 v[2:3], v[2:3], v[112:113]
	s_mov_b64 s[4:5], 0
	v_pk_fma_f32 v[0:1], v[0:1], v[110:111], v[2:3] neg_lo:[0,0,1] neg_hi:[0,0,1]
	s_nop 0
	v_pk_add_f32 v[20:21], v[20:21], v[0:1]
	s_cbranch_vccnz .LBB131_6
; %bb.7:                                ;   in Loop: Header=BB131_5 Depth=1
	v_add_u32_e32 v14, s16, v164
	v_add_u32_e32 v0, v14, v140
	v_add_u32_e32 v2, v14, v142
	v_add_u32_e32 v4, v14, v145
	v_add_u32_e32 v6, v14, v148
	v_add_u32_e32 v8, v14, v151
	v_mad_i64_i32 v[0:1], s[4:5], v0, 36, v[94:95]
	v_mad_i64_i32 v[2:3], s[4:5], v2, 36, v[94:95]
	;; [unrolled: 1-line block ×5, first 2 shown]
	v_add_u32_e32 v10, v14, v154
	v_add_u32_e32 v12, v14, v157
	;; [unrolled: 1-line block ×3, first 2 shown]
	s_barrier
	v_mad_i64_i32 v[10:11], s[4:5], v10, 36, v[94:95]
	v_mad_i64_i32 v[12:13], s[4:5], v12, 36, v[94:95]
	;; [unrolled: 1-line block ×3, first 2 shown]
	global_load_dword v16, v[0:1], off offset:4
	s_nop 0
	global_load_dword v2, v[2:3], off offset:4
	s_nop 0
	;; [unrolled: 2-line block ×3, first 2 shown]
	global_load_dword v4, v[6:7], off offset:4
	global_load_dword v5, v[8:9], off offset:4
	s_nop 0
	global_load_dword v6, v[10:11], off offset:4
	global_load_dword v7, v[12:13], off offset:4
	;; [unrolled: 1-line block ×3, first 2 shown]
	v_add_u32_e32 v0, 4, v115
	v_mad_u64_u32 v[0:1], s[4:5], v0, 36, s[2:3]
	global_load_dword v0, v[0:1], off
	s_mov_b32 s4, 16
	s_mov_b32 s5, 0
	v_mov_b32_e32 v131, v174
	v_mov_b32_e32 v133, v173
	s_mov_b32 s16, 0
	v_mov_b32_e32 v184, v172
	s_waitcnt vmcnt(8)
	ds_write_b32 v141, v16
	s_waitcnt vmcnt(7)
	ds_write_b32 v144, v2
	s_waitcnt vmcnt(6)
	ds_write_b32 v147, v3
	s_waitcnt vmcnt(5)
	ds_write_b32 v150, v4
	s_waitcnt vmcnt(4)
	ds_write_b32 v153, v5
	s_waitcnt vmcnt(3)
	ds_write_b32 v156, v6
	s_waitcnt vmcnt(2)
	ds_write_b32 v159, v7
	s_waitcnt vmcnt(1)
	ds_write_b32 v162, v8
	s_waitcnt vmcnt(0)
	ds_write_b32 v97, v0
	s_waitcnt lgkmcnt(0)
	s_barrier
	ds_read_b32 v0, v163
	ds_read_b32 v1, v165 offset:128
	ds_read_b32 v2, v166 offset:256
	;; [unrolled: 1-line block ×3, first 2 shown]
	s_waitcnt lgkmcnt(2)
	v_cvt_f32_f16_e32 v106, v1
	v_cvt_f32_f16_e32 v102, v0
	v_cvt_f32_f16_sdwa v104, v0 dst_sel:DWORD dst_unused:UNUSED_PAD src0_sel:WORD_1
	v_cvt_f32_f16_sdwa v108, v1 dst_sel:DWORD dst_unused:UNUSED_PAD src0_sel:WORD_1
	s_waitcnt lgkmcnt(1)
	v_cvt_f32_f16_e32 v110, v2
	v_cvt_f32_f16_sdwa v112, v2 dst_sel:DWORD dst_unused:UNUSED_PAD src0_sel:WORD_1
	s_waitcnt lgkmcnt(0)
	v_cvt_f32_f16_e32 v114, v3
	v_cvt_f32_f16_sdwa v116, v3 dst_sel:DWORD dst_unused:UNUSED_PAD src0_sel:WORD_1
	v_mov_b32_e32 v103, v102
	v_mov_b32_e32 v105, v104
	v_mov_b32_e32 v107, v106
	v_mov_b32_e32 v109, v108
	v_mov_b32_e32 v111, v110
	v_mov_b32_e32 v113, v112
	v_mov_b32_e32 v115, v114
	v_mov_b32_e32 v117, v116
.LBB131_8:                              ;   Parent Loop BB131_5 Depth=1
                                        ; =>  This Inner Loop Header: Depth=2
	ds_read_b128 v[16:19], v131
	ds_read_b128 v[12:15], v131 offset:16
	ds_read_b128 v[8:11], v131 offset:32
	;; [unrolled: 1-line block ×3, first 2 shown]
	ds_read2_b64 v[0:3], v133 offset1:16
	ds_read2_b32 v[86:87], v184 offset1:1
	ds_read2_b32 v[88:89], v184 offset0:2 offset1:3
	ds_read2_b32 v[134:135], v184 offset0:4 offset1:5
	;; [unrolled: 1-line block ×3, first 2 shown]
	s_lshr_b32 s17, s4, 2
	s_and_b32 s17, s17, 0x3ffffffc
	v_add_u32_e32 v69, s5, v175
	s_waitcnt lgkmcnt(3)
	v_lshrrev_b32_e32 v65, 4, v87
	v_add3_u32 v55, v179, s17, v69
	v_and_b32_e32 v225, 0xf0f0f0f, v65
	s_waitcnt lgkmcnt(2)
	v_lshrrev_b32_e32 v65, 4, v88
	ds_read_u16 v59, v55 offset:25088
	ds_read_u16 v55, v55 offset:25096
	v_and_b32_e32 v226, 0xf0f0f0f, v65
	v_lshrrev_b32_e32 v65, 4, v89
	v_and_b32_e32 v227, 0xf0f0f0f, v65
	s_waitcnt lgkmcnt(3)
	v_lshrrev_b32_e32 v65, 4, v134
	v_and_b32_e32 v228, 0xf0f0f0f, v65
	v_lshrrev_b32_e32 v65, 4, v135
	v_and_b32_e32 v229, 0xf0f0f0f, v65
	s_waitcnt lgkmcnt(2)
	v_lshrrev_b32_e32 v65, 4, v136
	s_waitcnt lgkmcnt(1)
	v_and_b32_e32 v211, 0xff, v59
	v_and_b32_e32 v230, 0xf0f0f0f, v65
	v_lshrrev_b32_e32 v65, 4, v137
	v_lshrrev_b16_e32 v224, 8, v59
	v_add_u32_e32 v59, 0x1080, v184
	v_and_b32_e32 v202, 0xf0f0f0f, v86
	v_and_b32_e32 v201, 0xf0f0f0f, v87
	v_lshrrev_b32_e32 v63, 4, v86
	v_and_b32_e32 v233, 0xf0f0f0f, v65
	ds_read2_b32 v[86:87], v59 offset1:1
	v_add_u32_e32 v65, 0x1088, v184
	v_and_b32_e32 v204, 0xf0f0f0f, v88
	v_and_b32_e32 v205, 0xf0f0f0f, v89
	ds_read2_b32 v[88:89], v65 offset1:1
	v_add_u32_e32 v65, 0x1090, v184
	v_and_b32_e32 v208, 0xf0f0f0f, v134
	;; [unrolled: 4-line block ×3, first 2 shown]
	v_and_b32_e32 v214, 0xf0f0f0f, v137
	ds_read2_b32 v[136:137], v65 offset1:1
	s_waitcnt lgkmcnt(3)
	v_lshrrev_b32_e32 v71, 4, v87
	v_and_b32_e32 v235, 0xf0f0f0f, v71
	s_waitcnt lgkmcnt(2)
	v_lshrrev_b32_e32 v71, 4, v88
	v_cvt_f32_ubyte0_e32 v122, v55
	v_cvt_f32_ubyte1_e32 v126, v55
	v_add3_u32 v55, v178, s17, v69
	v_and_b32_e32 v237, 0xf0f0f0f, v71
	v_lshrrev_b32_e32 v71, 4, v89
	ds_read_u16 v65, v55 offset:25600
	ds_read_u16 v55, v55 offset:25608
	v_and_b32_e32 v239, 0xf0f0f0f, v71
	s_waitcnt lgkmcnt(3)
	v_lshrrev_b32_e32 v71, 4, v134
	v_and_b32_e32 v241, 0xf0f0f0f, v71
	v_lshrrev_b32_e32 v71, 4, v135
	v_and_b32_e32 v244, 0xf0f0f0f, v71
	s_waitcnt lgkmcnt(2)
	v_lshrrev_b32_e32 v71, 4, v136
	v_and_b32_e32 v245, 0xf0f0f0f, v71
	v_lshrrev_b32_e32 v71, 4, v137
	s_waitcnt lgkmcnt(1)
	v_and_b32_e32 v218, 0xff, v65
	v_and_b32_e32 v247, 0xf0f0f0f, v71
	v_lshrrev_b16_e32 v242, 8, v65
	v_add_u32_e32 v65, 0x2100, v184
	v_add_u32_e32 v71, 0x2108, v184
	v_and_b32_e32 v203, 0xf0f0f0f, v86
	v_and_b32_e32 v206, 0xf0f0f0f, v87
	;; [unrolled: 1-line block ×4, first 2 shown]
	v_lshrrev_b32_e32 v67, 4, v86
	ds_read2_b32 v[86:87], v65 offset1:1
	ds_read2_b32 v[88:89], v71 offset1:1
	v_add_u32_e32 v71, 0x2110, v184
	v_and_b32_e32 v216, 0xf0f0f0f, v134
	v_and_b32_e32 v217, 0xf0f0f0f, v135
	s_waitcnt lgkmcnt(2)
	v_cvt_f32_ubyte0_e32 v124, v55
	v_cvt_f32_ubyte1_e32 v130, v55
	v_add3_u32 v55, v177, s17, v69
	ds_read2_b32 v[134:135], v71 offset1:1
	v_add_u32_e32 v71, 0x2118, v184
	v_and_b32_e32 v219, 0xf0f0f0f, v136
	v_and_b32_e32 v220, 0xf0f0f0f, v137
	ds_read2_b32 v[136:137], v71 offset1:1
	ds_read_u16 v73, v55 offset:26112
	ds_read_u16 v118, v55 offset:26120
	s_waitcnt lgkmcnt(5)
	v_lshrrev_b32_e32 v55, 4, v86
	v_and_b32_e32 v221, 0xf0f0f0f, v86
	v_and_b32_e32 v223, 0xf0f0f0f, v87
	s_waitcnt lgkmcnt(1)
	v_and_b32_e32 v234, 0xff, v73
	v_lshrrev_b16_e32 v253, 8, v73
	v_add3_u32 v73, v176, s17, v69
	v_add_u32_e32 v69, 0x3180, v184
	v_and_b32_e32 v246, 0xf0f0f0f, v55
	v_lshrrev_b32_e32 v55, 4, v87
	ds_read2_b32 v[86:87], v69 offset1:1
	v_mov_b32_e32 v54, 0
	v_mov_b32_e32 v59, 0
	;; [unrolled: 1-line block ×4, first 2 shown]
	s_waitcnt lgkmcnt(0)
	v_and_b32_e32 v248, 0xf0f0f0f, v86
	v_dot4c_i32_i8_e32 v54, v202, v16
	v_dot4c_i32_i8_e32 v59, v203, v16
	;; [unrolled: 1-line block ×4, first 2 shown]
	v_and_b32_e32 v207, 0xf0f0f0f, v87
	v_add_u32_e32 v16, 0x3188, v184
	v_dot4c_i32_i8_e32 v54, v201, v17
	v_dot4c_i32_i8_e32 v59, v206, v17
	v_dot4c_i32_i8_e32 v65, v223, v17
	v_dot4c_i32_i8_e32 v69, v207, v17
	ds_read2_b32 v[16:17], v16 offset1:1
	v_and_b32_e32 v231, 0xf0f0f0f, v88
	v_dot4c_i32_i8_e32 v54, v204, v18
	v_dot4c_i32_i8_e32 v59, v210, v18
	v_dot4c_i32_i8_e32 v65, v231, v18
	s_waitcnt lgkmcnt(0)
	v_and_b32_e32 v196, 0xf0f0f0f, v16
	v_and_b32_e32 v232, 0xf0f0f0f, v89
	v_dot4c_i32_i8_e32 v69, v196, v18
	v_and_b32_e32 v195, 0xf0f0f0f, v17
	v_add_u32_e32 v18, 0x3190, v184
	v_dot4c_i32_i8_e32 v54, v205, v19
	v_dot4c_i32_i8_e32 v59, v212, v19
	v_dot4c_i32_i8_e32 v65, v232, v19
	v_dot4c_i32_i8_e32 v69, v195, v19
	ds_read2_b32 v[18:19], v18 offset1:1
	v_and_b32_e32 v236, 0xf0f0f0f, v134
	v_dot4c_i32_i8_e32 v54, v208, v12
	v_dot4c_i32_i8_e32 v59, v216, v12
	v_dot4c_i32_i8_e32 v65, v236, v12
	s_waitcnt lgkmcnt(0)
	v_and_b32_e32 v197, 0xf0f0f0f, v18
	v_and_b32_e32 v238, 0xf0f0f0f, v135
	v_dot4c_i32_i8_e32 v69, v197, v12
	;; [unrolled: 15-line block ×3, first 2 shown]
	v_and_b32_e32 v200, 0xf0f0f0f, v13
	v_dot4c_i32_i8_e32 v54, v214, v15
	v_dot4c_i32_i8_e32 v59, v220, v15
	;; [unrolled: 1-line block ×4, first 2 shown]
	ds_read_u16 v14, v73 offset:26624
	ds_read_u16 v15, v73 offset:26632
	v_lshrrev_b32_e32 v73, 4, v86
	v_and_b32_e32 v215, 0xf0f0f0f, v63
	v_mov_b32_e32 v63, 0
	v_and_b32_e32 v222, 0xf0f0f0f, v67
	v_mov_b32_e32 v67, 0
	v_mov_b32_e32 v71, 0
	v_and_b32_e32 v191, 0xf0f0f0f, v73
	v_mov_b32_e32 v73, 0
	v_dot4c_i32_i8_e32 v63, v215, v8
	v_dot4c_i32_i8_e32 v67, v222, v8
	;; [unrolled: 1-line block ×4, first 2 shown]
	v_lshrrev_b32_e32 v8, 4, v87
	v_and_b32_e32 v249, 0xf0f0f0f, v55
	v_lshrrev_b32_e32 v55, 4, v88
	v_and_b32_e32 v194, 0xf0f0f0f, v8
	v_lshrrev_b32_e32 v8, 4, v16
	v_dot4c_i32_i8_e32 v63, v225, v9
	v_dot4c_i32_i8_e32 v67, v235, v9
	;; [unrolled: 1-line block ×3, first 2 shown]
	v_and_b32_e32 v250, 0xf0f0f0f, v55
	v_lshrrev_b32_e32 v55, 4, v89
	v_dot4c_i32_i8_e32 v73, v194, v9
	v_and_b32_e32 v193, 0xf0f0f0f, v8
	v_lshrrev_b32_e32 v8, 4, v17
	v_dot4c_i32_i8_e32 v63, v226, v10
	v_dot4c_i32_i8_e32 v67, v237, v10
	;; [unrolled: 1-line block ×3, first 2 shown]
	v_and_b32_e32 v251, 0xf0f0f0f, v55
	v_lshrrev_b32_e32 v55, 4, v134
	v_dot4c_i32_i8_e32 v73, v193, v10
	v_and_b32_e32 v187, 0xf0f0f0f, v8
	v_lshrrev_b32_e32 v8, 4, v18
	v_dot4c_i32_i8_e32 v63, v227, v11
	v_dot4c_i32_i8_e32 v67, v239, v11
	;; [unrolled: 1-line block ×3, first 2 shown]
	v_and_b32_e32 v252, 0xf0f0f0f, v55
	v_dot4c_i32_i8_e32 v73, v187, v11
	v_and_b32_e32 v188, 0xf0f0f0f, v8
	v_dot4c_i32_i8_e32 v63, v228, v4
	v_dot4c_i32_i8_e32 v67, v241, v4
	;; [unrolled: 1-line block ×3, first 2 shown]
	v_lshrrev_b32_e32 v55, 4, v135
	v_dot4c_i32_i8_e32 v73, v188, v4
	v_lshrrev_b32_e32 v4, 4, v19
	v_and_b32_e32 v254, 0xf0f0f0f, v55
	v_lshrrev_b32_e32 v55, 4, v136
	v_and_b32_e32 v189, 0xf0f0f0f, v4
	v_lshrrev_b32_e32 v4, 4, v12
	v_dot4c_i32_i8_e32 v63, v229, v5
	v_dot4c_i32_i8_e32 v67, v244, v5
	;; [unrolled: 1-line block ×3, first 2 shown]
	v_and_b32_e32 v255, 0xf0f0f0f, v55
	v_lshrrev_b32_e32 v55, 4, v137
	v_dot4c_i32_i8_e32 v73, v189, v5
	v_and_b32_e32 v190, 0xf0f0f0f, v4
	v_lshrrev_b32_e32 v4, 4, v13
	v_dot4c_i32_i8_e32 v63, v230, v6
	v_dot4c_i32_i8_e32 v67, v245, v6
	;; [unrolled: 1-line block ×3, first 2 shown]
	v_and_b32_e32 v55, 0xf0f0f0f, v55
	v_dot4c_i32_i8_e32 v73, v190, v6
	v_and_b32_e32 v192, 0xf0f0f0f, v4
	v_dot4c_i32_i8_e32 v63, v233, v7
	v_dot4c_i32_i8_e32 v67, v247, v7
	v_cvt_f32_ubyte0_e32 v128, v118
	v_dot4c_i32_i8_e32 v71, v55, v7
	v_cvt_f32_ubyte1_e32 v132, v118
	s_waitcnt lgkmcnt(1)
	v_and_b32_e32 v186, 0xff, v14
	s_waitcnt lgkmcnt(0)
	v_cvt_f32_ubyte0_e32 v120, v15
	v_dot4c_i32_i8_e32 v73, v192, v7
	v_lshrrev_b16_e32 v185, 8, v14
	v_cvt_f32_ubyte1_e32 v118, v15
	ds_read_b128 v[16:19], v131 offset:1024
	ds_read_b128 v[12:15], v131 offset:1040
	ds_read_b128 v[8:11], v131 offset:1056
	ds_read_b128 v[4:7], v131 offset:1072
	v_mov_b32_e32 v86, 0
	s_waitcnt lgkmcnt(3)
	v_dot4c_i32_i8_e32 v86, v202, v16
	v_mov_b32_e32 v88, 0
	v_dot4c_i32_i8_e32 v86, v201, v17
	s_waitcnt lgkmcnt(1)
	v_dot4c_i32_i8_e32 v88, v215, v8
	v_dot4c_i32_i8_e32 v86, v204, v18
	v_dot4c_i32_i8_e32 v88, v225, v9
	v_dot4c_i32_i8_e32 v86, v205, v19
	v_dot4c_i32_i8_e32 v88, v226, v10
	v_dot4c_i32_i8_e32 v86, v208, v12
	v_dot4c_i32_i8_e32 v88, v227, v11
	v_dot4c_i32_i8_e32 v86, v209, v13
	s_waitcnt lgkmcnt(0)
	v_dot4c_i32_i8_e32 v88, v228, v4
	v_dot4c_i32_i8_e32 v86, v213, v14
	;; [unrolled: 1-line block ×6, first 2 shown]
	v_cvt_f32_f16_e32 v137, v2
	v_cvt_f32_f16_e32 v136, v0
	v_cvt_f32_f16_sdwa v139, v2 dst_sel:DWORD dst_unused:UNUSED_PAD src0_sel:WORD_1
	v_cvt_f32_f16_sdwa v138, v0 dst_sel:DWORD dst_unused:UNUSED_PAD src0_sel:WORD_1
	v_cvt_f32_f16_e32 v134, v1
	v_cvt_f32_f16_sdwa v2, v1 dst_sel:DWORD dst_unused:UNUSED_PAD src0_sel:WORD_1
	v_mul_lo_u32 v0, v54, v211
	v_mul_lo_u32 v1, v86, v211
	v_cvt_f32_f16_e32 v135, v3
	v_cvt_f32_f16_sdwa v3, v3 dst_sel:DWORD dst_unused:UNUSED_PAD src0_sel:WORD_1
	v_cvt_f32_i32_e32 v1, v1
	v_cvt_f32_i32_e32 v0, v0
	v_mul_lo_u32 v54, v63, v224
	v_mul_lo_u32 v63, v88, v224
	v_cvt_f32_i32_e32 v89, v63
	v_cvt_f32_i32_e32 v88, v54
	v_pk_fma_f32 v[86:87], v[122:123], v[138:139], 0 op_sel_hi:[0,1,0]
	v_pk_fma_f32 v[0:1], v[136:137], v[0:1], 0 op_sel_hi:[1,1,0]
	;; [unrolled: 1-line block ×3, first 2 shown]
	v_pk_fma_f32 v[0:1], v[134:135], v[88:89], v[0:1]
	v_pk_mul_f32 v[86:87], v[86:87], v[104:105]
	v_mov_b32_e32 v54, 0
	v_pk_fma_f32 v[0:1], v[0:1], v[102:103], v[86:87] neg_lo:[0,0,1] neg_hi:[0,0,1]
	v_dot4c_i32_i8_e32 v54, v222, v8
	v_pk_add_f32 v[56:57], v[56:57], v[0:1]
	v_mov_b32_e32 v0, 0
	v_dot4c_i32_i8_e32 v0, v203, v16
	v_dot4c_i32_i8_e32 v0, v206, v17
	;; [unrolled: 1-line block ×15, first 2 shown]
	v_mul_lo_u32 v59, v59, v218
	v_mul_lo_u32 v0, v0, v218
	v_cvt_f32_i32_e32 v1, v0
	v_cvt_f32_i32_e32 v0, v59
	v_mul_lo_u32 v59, v67, v242
	v_mul_lo_u32 v54, v54, v242
	v_cvt_f32_i32_e32 v89, v54
	v_cvt_f32_i32_e32 v88, v59
	v_pk_fma_f32 v[86:87], v[124:125], v[138:139], 0 op_sel_hi:[0,1,0]
	v_pk_fma_f32 v[0:1], v[136:137], v[0:1], 0 op_sel_hi:[1,1,0]
	;; [unrolled: 1-line block ×3, first 2 shown]
	v_pk_fma_f32 v[0:1], v[134:135], v[88:89], v[0:1]
	v_pk_mul_f32 v[86:87], v[86:87], v[108:109]
	v_mov_b32_e32 v54, 0
	v_pk_fma_f32 v[0:1], v[0:1], v[106:107], v[86:87] neg_lo:[0,0,1] neg_hi:[0,0,1]
	v_dot4c_i32_i8_e32 v54, v246, v8
	v_pk_add_f32 v[52:53], v[52:53], v[0:1]
	v_mov_b32_e32 v0, 0
	v_dot4c_i32_i8_e32 v0, v221, v16
	v_dot4c_i32_i8_e32 v0, v223, v17
	;; [unrolled: 1-line block ×15, first 2 shown]
	v_mul_lo_u32 v59, v65, v234
	v_mul_lo_u32 v0, v0, v234
	v_cvt_f32_i32_e32 v1, v0
	v_cvt_f32_i32_e32 v0, v59
	v_mul_lo_u32 v59, v71, v253
	v_mul_lo_u32 v54, v54, v253
	v_cvt_f32_i32_e32 v89, v54
	v_cvt_f32_i32_e32 v88, v59
	v_pk_fma_f32 v[86:87], v[128:129], v[138:139], 0 op_sel_hi:[0,1,0]
	v_pk_fma_f32 v[0:1], v[136:137], v[0:1], 0 op_sel_hi:[1,1,0]
	;; [unrolled: 1-line block ×3, first 2 shown]
	v_pk_fma_f32 v[0:1], v[134:135], v[88:89], v[0:1]
	v_pk_mul_f32 v[86:87], v[86:87], v[112:113]
	v_mov_b32_e32 v65, 0
	v_pk_fma_f32 v[0:1], v[0:1], v[110:111], v[86:87] neg_lo:[0,0,1] neg_hi:[0,0,1]
	v_mov_b32_e32 v67, 0
	v_pk_add_f32 v[46:47], v[46:47], v[0:1]
	v_mov_b32_e32 v0, 0
	v_dot4c_i32_i8_e32 v0, v248, v16
	v_dot4c_i32_i8_e32 v0, v207, v17
	v_dot4c_i32_i8_e32 v0, v196, v18
	v_dot4c_i32_i8_e32 v0, v195, v19
	v_dot4c_i32_i8_e32 v0, v197, v12
	v_mov_b32_e32 v12, 0
	v_dot4c_i32_i8_e32 v12, v191, v8
	v_dot4c_i32_i8_e32 v12, v194, v9
	;; [unrolled: 1-line block ×11, first 2 shown]
	v_mul_lo_u32 v4, v69, v186
	v_mul_lo_u32 v0, v0, v186
	v_cvt_f32_i32_e32 v1, v0
	v_cvt_f32_i32_e32 v0, v4
	v_mul_lo_u32 v6, v73, v185
	v_mul_lo_u32 v7, v12, v185
	v_cvt_f32_i32_e32 v7, v7
	v_cvt_f32_i32_e32 v6, v6
	v_pk_fma_f32 v[4:5], v[120:121], v[138:139], 0 op_sel_hi:[0,1,0]
	v_pk_fma_f32 v[0:1], v[136:137], v[0:1], 0 op_sel_hi:[1,1,0]
	;; [unrolled: 1-line block ×3, first 2 shown]
	v_pk_fma_f32 v[0:1], v[134:135], v[6:7], v[0:1]
	v_pk_mul_f32 v[2:3], v[2:3], v[116:117]
	v_mov_b32_e32 v69, 0
	v_pk_fma_f32 v[0:1], v[0:1], v[114:115], v[2:3] neg_lo:[0,0,1] neg_hi:[0,0,1]
	v_mov_b32_e32 v71, 0
	v_pk_add_f32 v[44:45], v[44:45], v[0:1]
	ds_read_b128 v[8:11], v131 offset:2048
	ds_read_b128 v[12:15], v131 offset:2064
	ds_read2_b64 v[16:19], v133 offset0:32 offset1:48
	ds_read_b128 v[4:7], v131 offset:2080
	ds_read_b128 v[0:3], v131 offset:2096
	v_mov_b32_e32 v63, 0
	v_mov_b32_e32 v73, 0
	;; [unrolled: 1-line block ×4, first 2 shown]
	s_waitcnt lgkmcnt(4)
	v_dot4c_i32_i8_e32 v65, v202, v8
	s_waitcnt lgkmcnt(1)
	v_dot4c_i32_i8_e32 v67, v215, v4
	v_dot4c_i32_i8_e32 v69, v203, v8
	;; [unrolled: 1-line block ×32, first 2 shown]
	s_waitcnt lgkmcnt(0)
	v_dot4c_i32_i8_e32 v67, v228, v0
	v_dot4c_i32_i8_e32 v69, v216, v12
	;; [unrolled: 1-line block ×31, first 2 shown]
	ds_read_b128 v[12:15], v131 offset:3072
	ds_read_b128 v[8:11], v131 offset:3088
	;; [unrolled: 1-line block ×4, first 2 shown]
	v_mov_b32_e32 v86, 0
	s_waitcnt lgkmcnt(3)
	v_dot4c_i32_i8_e32 v86, v202, v12
	v_mov_b32_e32 v88, 0
	v_dot4c_i32_i8_e32 v86, v201, v13
	s_waitcnt lgkmcnt(1)
	v_dot4c_i32_i8_e32 v88, v215, v4
	v_dot4c_i32_i8_e32 v86, v204, v14
	;; [unrolled: 1-line block ×8, first 2 shown]
	s_waitcnt lgkmcnt(0)
	v_dot4c_i32_i8_e32 v88, v228, v0
	v_dot4c_i32_i8_e32 v86, v213, v10
	;; [unrolled: 1-line block ×6, first 2 shown]
	v_cvt_f32_f16_e32 v137, v18
	v_cvt_f32_f16_e32 v136, v16
	v_cvt_f32_f16_sdwa v139, v18 dst_sel:DWORD dst_unused:UNUSED_PAD src0_sel:WORD_1
	v_cvt_f32_f16_sdwa v138, v16 dst_sel:DWORD dst_unused:UNUSED_PAD src0_sel:WORD_1
	v_cvt_f32_f16_e32 v134, v17
	v_cvt_f32_f16_sdwa v18, v17 dst_sel:DWORD dst_unused:UNUSED_PAD src0_sel:WORD_1
	v_mul_lo_u32 v16, v65, v211
	v_mul_lo_u32 v17, v86, v211
	v_cvt_f32_f16_e32 v135, v19
	v_cvt_f32_f16_sdwa v19, v19 dst_sel:DWORD dst_unused:UNUSED_PAD src0_sel:WORD_1
	v_cvt_f32_i32_e32 v17, v17
	v_cvt_f32_i32_e32 v16, v16
	v_mul_lo_u32 v65, v67, v224
	v_mul_lo_u32 v67, v88, v224
	v_cvt_f32_i32_e32 v89, v67
	v_cvt_f32_i32_e32 v88, v65
	v_pk_fma_f32 v[86:87], v[122:123], v[138:139], 0 op_sel_hi:[0,1,0]
	v_pk_fma_f32 v[16:17], v[16:17], v[136:137], 0 op_sel_hi:[1,1,0]
	;; [unrolled: 1-line block ×3, first 2 shown]
	v_pk_fma_f32 v[16:17], v[88:89], v[134:135], v[16:17]
	v_pk_mul_f32 v[86:87], v[86:87], v[104:105]
	v_mov_b32_e32 v65, 0
	v_pk_fma_f32 v[16:17], v[16:17], v[102:103], v[86:87] neg_lo:[0,0,1] neg_hi:[0,0,1]
	v_dot4c_i32_i8_e32 v65, v222, v4
	v_pk_add_f32 v[42:43], v[42:43], v[16:17]
	v_mov_b32_e32 v16, 0
	v_dot4c_i32_i8_e32 v16, v203, v12
	v_dot4c_i32_i8_e32 v16, v206, v13
	;; [unrolled: 1-line block ×15, first 2 shown]
	v_mul_lo_u32 v67, v69, v218
	v_mul_lo_u32 v16, v16, v218
	v_cvt_f32_i32_e32 v17, v16
	v_cvt_f32_i32_e32 v16, v67
	v_mul_lo_u32 v67, v71, v242
	v_mul_lo_u32 v65, v65, v242
	v_cvt_f32_i32_e32 v89, v65
	v_cvt_f32_i32_e32 v88, v67
	v_pk_fma_f32 v[86:87], v[124:125], v[138:139], 0 op_sel_hi:[0,1,0]
	v_pk_fma_f32 v[16:17], v[16:17], v[136:137], 0 op_sel_hi:[1,1,0]
	;; [unrolled: 1-line block ×3, first 2 shown]
	v_pk_fma_f32 v[16:17], v[88:89], v[134:135], v[16:17]
	v_pk_mul_f32 v[86:87], v[86:87], v[108:109]
	v_mov_b32_e32 v65, 0
	v_pk_fma_f32 v[16:17], v[16:17], v[106:107], v[86:87] neg_lo:[0,0,1] neg_hi:[0,0,1]
	v_dot4c_i32_i8_e32 v65, v246, v4
	v_pk_add_f32 v[40:41], v[40:41], v[16:17]
	v_mov_b32_e32 v16, 0
	v_dot4c_i32_i8_e32 v16, v221, v12
	v_dot4c_i32_i8_e32 v16, v223, v13
	;; [unrolled: 1-line block ×15, first 2 shown]
	v_mul_lo_u32 v63, v63, v234
	v_mul_lo_u32 v16, v16, v234
	v_cvt_f32_i32_e32 v17, v16
	v_cvt_f32_i32_e32 v16, v63
	v_mul_lo_u32 v63, v73, v253
	v_mul_lo_u32 v65, v65, v253
	v_cvt_f32_i32_e32 v89, v65
	v_cvt_f32_i32_e32 v88, v63
	v_pk_fma_f32 v[86:87], v[128:129], v[138:139], 0 op_sel_hi:[0,1,0]
	v_pk_fma_f32 v[16:17], v[16:17], v[136:137], 0 op_sel_hi:[1,1,0]
	;; [unrolled: 1-line block ×3, first 2 shown]
	v_pk_fma_f32 v[16:17], v[88:89], v[134:135], v[16:17]
	v_pk_mul_f32 v[86:87], v[86:87], v[112:113]
	v_mov_b32_e32 v67, 0
	v_pk_fma_f32 v[16:17], v[16:17], v[110:111], v[86:87] neg_lo:[0,0,1] neg_hi:[0,0,1]
	v_mov_b32_e32 v69, 0
	v_pk_add_f32 v[38:39], v[38:39], v[16:17]
	v_mov_b32_e32 v16, 0
	v_dot4c_i32_i8_e32 v16, v248, v12
	v_dot4c_i32_i8_e32 v16, v207, v13
	;; [unrolled: 1-line block ×5, first 2 shown]
	v_mov_b32_e32 v8, 0
	v_dot4c_i32_i8_e32 v8, v191, v4
	v_dot4c_i32_i8_e32 v8, v194, v5
	;; [unrolled: 1-line block ×11, first 2 shown]
	v_mul_lo_u32 v0, v54, v186
	v_mul_lo_u32 v1, v16, v186
	v_cvt_f32_i32_e32 v1, v1
	v_cvt_f32_i32_e32 v0, v0
	v_mul_lo_u32 v4, v59, v185
	v_mul_lo_u32 v5, v8, v185
	v_cvt_f32_i32_e32 v5, v5
	v_cvt_f32_i32_e32 v4, v4
	v_pk_fma_f32 v[2:3], v[120:121], v[138:139], 0 op_sel_hi:[0,1,0]
	v_pk_fma_f32 v[0:1], v[0:1], v[136:137], 0 op_sel_hi:[1,1,0]
	;; [unrolled: 1-line block ×3, first 2 shown]
	v_pk_fma_f32 v[0:1], v[4:5], v[134:135], v[0:1]
	v_pk_mul_f32 v[2:3], v[2:3], v[116:117]
	v_mov_b32_e32 v71, 0
	v_pk_fma_f32 v[0:1], v[0:1], v[114:115], v[2:3] neg_lo:[0,0,1] neg_hi:[0,0,1]
	v_mov_b32_e32 v73, 0
	v_pk_add_f32 v[36:37], v[36:37], v[0:1]
	ds_read_b128 v[12:15], v131 offset:4096
	ds_read_b128 v[8:11], v131 offset:4112
	ds_read2_b64 v[16:19], v133 offset0:64 offset1:80
	ds_read_b128 v[4:7], v131 offset:4128
	ds_read_b128 v[0:3], v131 offset:4144
	v_mov_b32_e32 v63, 0
	v_mov_b32_e32 v65, 0
	;; [unrolled: 1-line block ×4, first 2 shown]
	s_waitcnt lgkmcnt(4)
	v_dot4c_i32_i8_e32 v67, v202, v12
	s_waitcnt lgkmcnt(1)
	v_dot4c_i32_i8_e32 v69, v215, v4
	v_dot4c_i32_i8_e32 v71, v203, v12
	;; [unrolled: 1-line block ×32, first 2 shown]
	s_waitcnt lgkmcnt(0)
	v_dot4c_i32_i8_e32 v69, v228, v0
	v_dot4c_i32_i8_e32 v71, v216, v8
	;; [unrolled: 1-line block ×31, first 2 shown]
	ds_read_b128 v[12:15], v131 offset:5120
	ds_read_b128 v[8:11], v131 offset:5136
	;; [unrolled: 1-line block ×4, first 2 shown]
	v_mov_b32_e32 v86, 0
	s_waitcnt lgkmcnt(3)
	v_dot4c_i32_i8_e32 v86, v202, v12
	v_mov_b32_e32 v88, 0
	v_dot4c_i32_i8_e32 v86, v201, v13
	s_waitcnt lgkmcnt(1)
	v_dot4c_i32_i8_e32 v88, v215, v4
	v_dot4c_i32_i8_e32 v86, v204, v14
	;; [unrolled: 1-line block ×8, first 2 shown]
	s_waitcnt lgkmcnt(0)
	v_dot4c_i32_i8_e32 v88, v228, v0
	v_dot4c_i32_i8_e32 v86, v213, v10
	v_dot4c_i32_i8_e32 v88, v229, v1
	v_dot4c_i32_i8_e32 v86, v214, v11
	v_dot4c_i32_i8_e32 v88, v230, v2
	v_dot4c_i32_i8_e32 v88, v233, v3
	v_cvt_f32_f16_e32 v137, v18
	v_cvt_f32_f16_e32 v136, v16
	v_cvt_f32_f16_sdwa v139, v18 dst_sel:DWORD dst_unused:UNUSED_PAD src0_sel:WORD_1
	v_cvt_f32_f16_sdwa v138, v16 dst_sel:DWORD dst_unused:UNUSED_PAD src0_sel:WORD_1
	v_cvt_f32_f16_e32 v134, v17
	v_cvt_f32_f16_sdwa v18, v17 dst_sel:DWORD dst_unused:UNUSED_PAD src0_sel:WORD_1
	v_mul_lo_u32 v16, v67, v211
	v_mul_lo_u32 v17, v86, v211
	v_cvt_f32_f16_e32 v135, v19
	v_cvt_f32_f16_sdwa v19, v19 dst_sel:DWORD dst_unused:UNUSED_PAD src0_sel:WORD_1
	v_cvt_f32_i32_e32 v17, v17
	v_cvt_f32_i32_e32 v16, v16
	v_mul_lo_u32 v67, v69, v224
	v_mul_lo_u32 v69, v88, v224
	v_cvt_f32_i32_e32 v89, v69
	v_cvt_f32_i32_e32 v88, v67
	v_pk_fma_f32 v[86:87], v[122:123], v[138:139], 0 op_sel_hi:[0,1,0]
	v_pk_fma_f32 v[16:17], v[16:17], v[136:137], 0 op_sel_hi:[1,1,0]
	v_pk_fma_f32 v[86:87], v[126:127], v[18:19], v[86:87] op_sel_hi:[0,1,1]
	v_pk_fma_f32 v[16:17], v[88:89], v[134:135], v[16:17]
	v_pk_mul_f32 v[86:87], v[86:87], v[104:105]
	v_mov_b32_e32 v67, 0
	v_pk_fma_f32 v[16:17], v[16:17], v[102:103], v[86:87] neg_lo:[0,0,1] neg_hi:[0,0,1]
	v_dot4c_i32_i8_e32 v67, v222, v4
	v_pk_add_f32 v[34:35], v[34:35], v[16:17]
	v_mov_b32_e32 v16, 0
	v_dot4c_i32_i8_e32 v16, v203, v12
	v_dot4c_i32_i8_e32 v16, v206, v13
	;; [unrolled: 1-line block ×15, first 2 shown]
	v_mul_lo_u32 v69, v71, v218
	v_mul_lo_u32 v16, v16, v218
	v_cvt_f32_i32_e32 v17, v16
	v_cvt_f32_i32_e32 v16, v69
	v_mul_lo_u32 v69, v73, v242
	v_mul_lo_u32 v67, v67, v242
	v_cvt_f32_i32_e32 v89, v67
	v_cvt_f32_i32_e32 v88, v69
	v_pk_fma_f32 v[86:87], v[124:125], v[138:139], 0 op_sel_hi:[0,1,0]
	v_pk_fma_f32 v[16:17], v[16:17], v[136:137], 0 op_sel_hi:[1,1,0]
	v_pk_fma_f32 v[86:87], v[130:131], v[18:19], v[86:87] op_sel_hi:[0,1,1]
	v_pk_fma_f32 v[16:17], v[88:89], v[134:135], v[16:17]
	v_pk_mul_f32 v[86:87], v[86:87], v[108:109]
	v_mov_b32_e32 v67, 0
	v_pk_fma_f32 v[16:17], v[16:17], v[106:107], v[86:87] neg_lo:[0,0,1] neg_hi:[0,0,1]
	v_dot4c_i32_i8_e32 v67, v246, v4
	v_pk_add_f32 v[32:33], v[32:33], v[16:17]
	v_mov_b32_e32 v16, 0
	v_dot4c_i32_i8_e32 v16, v221, v12
	v_dot4c_i32_i8_e32 v16, v223, v13
	;; [unrolled: 1-line block ×15, first 2 shown]
	v_mul_lo_u32 v63, v63, v234
	v_mul_lo_u32 v16, v16, v234
	v_cvt_f32_i32_e32 v17, v16
	v_cvt_f32_i32_e32 v16, v63
	v_mul_lo_u32 v63, v65, v253
	v_mul_lo_u32 v65, v67, v253
	v_cvt_f32_i32_e32 v89, v65
	v_cvt_f32_i32_e32 v88, v63
	v_pk_fma_f32 v[86:87], v[128:129], v[138:139], 0 op_sel_hi:[0,1,0]
	v_pk_fma_f32 v[16:17], v[16:17], v[136:137], 0 op_sel_hi:[1,1,0]
	;; [unrolled: 1-line block ×3, first 2 shown]
	v_pk_fma_f32 v[16:17], v[88:89], v[134:135], v[16:17]
	v_pk_mul_f32 v[86:87], v[86:87], v[112:113]
	v_mov_b32_e32 v71, 0
	v_pk_fma_f32 v[16:17], v[16:17], v[110:111], v[86:87] neg_lo:[0,0,1] neg_hi:[0,0,1]
	v_mov_b32_e32 v73, 0
	v_pk_add_f32 v[30:31], v[30:31], v[16:17]
	v_mov_b32_e32 v16, 0
	v_dot4c_i32_i8_e32 v16, v248, v12
	v_dot4c_i32_i8_e32 v16, v207, v13
	;; [unrolled: 1-line block ×5, first 2 shown]
	v_mov_b32_e32 v8, 0
	v_dot4c_i32_i8_e32 v8, v191, v4
	v_dot4c_i32_i8_e32 v8, v194, v5
	;; [unrolled: 1-line block ×11, first 2 shown]
	v_mul_lo_u32 v0, v54, v186
	v_mul_lo_u32 v1, v16, v186
	v_cvt_f32_i32_e32 v1, v1
	v_cvt_f32_i32_e32 v0, v0
	v_mul_lo_u32 v4, v59, v185
	v_mul_lo_u32 v5, v8, v185
	v_cvt_f32_i32_e32 v5, v5
	v_cvt_f32_i32_e32 v4, v4
	v_pk_fma_f32 v[2:3], v[120:121], v[138:139], 0 op_sel_hi:[0,1,0]
	v_pk_fma_f32 v[0:1], v[0:1], v[136:137], 0 op_sel_hi:[1,1,0]
	v_pk_fma_f32 v[2:3], v[118:119], v[18:19], v[2:3] op_sel_hi:[0,1,1]
	v_pk_fma_f32 v[0:1], v[4:5], v[134:135], v[0:1]
	v_pk_mul_f32 v[2:3], v[2:3], v[116:117]
	v_mov_b32_e32 v67, 0
	v_pk_fma_f32 v[0:1], v[0:1], v[114:115], v[2:3] neg_lo:[0,0,1] neg_hi:[0,0,1]
	v_mov_b32_e32 v69, 0
	v_pk_add_f32 v[28:29], v[28:29], v[0:1]
	ds_read_b128 v[0:3], v131 offset:6144
	ds_read_b128 v[4:7], v131 offset:6160
	ds_read2_b64 v[16:19], v133 offset0:96 offset1:112
	ds_read_b128 v[8:11], v131 offset:6176
	ds_read_b128 v[12:15], v131 offset:6192
	v_mov_b32_e32 v63, 0
	v_mov_b32_e32 v65, 0
	;; [unrolled: 1-line block ×4, first 2 shown]
	s_waitcnt lgkmcnt(4)
	v_dot4c_i32_i8_e32 v71, v202, v0
	s_waitcnt lgkmcnt(1)
	v_dot4c_i32_i8_e32 v73, v215, v8
	v_dot4c_i32_i8_e32 v67, v203, v0
	;; [unrolled: 1-line block ×32, first 2 shown]
	s_waitcnt lgkmcnt(0)
	v_dot4c_i32_i8_e32 v73, v228, v12
	v_dot4c_i32_i8_e32 v67, v216, v4
	;; [unrolled: 1-line block ×31, first 2 shown]
	ds_read_b128 v[8:11], v131 offset:7168
	ds_read_b128 v[12:15], v131 offset:7184
	;; [unrolled: 1-line block ×4, first 2 shown]
	v_mov_b32_e32 v86, 0
	s_waitcnt lgkmcnt(3)
	v_dot4c_i32_i8_e32 v86, v202, v8
	v_mov_b32_e32 v88, 0
	v_dot4c_i32_i8_e32 v86, v201, v9
	s_waitcnt lgkmcnt(1)
	v_dot4c_i32_i8_e32 v88, v215, v4
	v_dot4c_i32_i8_e32 v86, v204, v10
	v_dot4c_i32_i8_e32 v88, v225, v5
	v_dot4c_i32_i8_e32 v86, v205, v11
	v_dot4c_i32_i8_e32 v88, v226, v6
	v_dot4c_i32_i8_e32 v86, v208, v12
	v_dot4c_i32_i8_e32 v88, v227, v7
	v_dot4c_i32_i8_e32 v86, v209, v13
	s_waitcnt lgkmcnt(0)
	v_dot4c_i32_i8_e32 v88, v228, v0
	v_dot4c_i32_i8_e32 v86, v213, v14
	;; [unrolled: 1-line block ×6, first 2 shown]
	v_cvt_f32_f16_e32 v139, v18
	v_cvt_f32_f16_e32 v138, v16
	v_cvt_f32_f16_sdwa v137, v18 dst_sel:DWORD dst_unused:UNUSED_PAD src0_sel:WORD_1
	v_cvt_f32_f16_sdwa v136, v16 dst_sel:DWORD dst_unused:UNUSED_PAD src0_sel:WORD_1
	v_cvt_f32_f16_e32 v134, v17
	v_cvt_f32_f16_sdwa v18, v17 dst_sel:DWORD dst_unused:UNUSED_PAD src0_sel:WORD_1
	v_mul_lo_u32 v16, v71, v211
	v_mul_lo_u32 v17, v86, v211
	v_cvt_f32_f16_e32 v135, v19
	v_cvt_f32_f16_sdwa v19, v19 dst_sel:DWORD dst_unused:UNUSED_PAD src0_sel:WORD_1
	v_cvt_f32_i32_e32 v17, v17
	v_cvt_f32_i32_e32 v16, v16
	v_mul_lo_u32 v71, v73, v224
	v_mul_lo_u32 v73, v88, v224
	v_cvt_f32_i32_e32 v89, v73
	v_cvt_f32_i32_e32 v88, v71
	v_pk_fma_f32 v[86:87], v[122:123], v[136:137], 0 op_sel_hi:[0,1,0]
	v_pk_fma_f32 v[16:17], v[16:17], v[138:139], 0 op_sel_hi:[1,1,0]
	;; [unrolled: 1-line block ×3, first 2 shown]
	v_pk_fma_f32 v[16:17], v[88:89], v[134:135], v[16:17]
	v_pk_mul_f32 v[86:87], v[86:87], v[104:105]
	v_mov_b32_e32 v71, 0
	v_pk_fma_f32 v[16:17], v[16:17], v[102:103], v[86:87] neg_lo:[0,0,1] neg_hi:[0,0,1]
	v_dot4c_i32_i8_e32 v71, v222, v4
	v_pk_add_f32 v[26:27], v[26:27], v[16:17]
	v_mov_b32_e32 v16, 0
	v_dot4c_i32_i8_e32 v16, v203, v8
	v_dot4c_i32_i8_e32 v16, v206, v9
	;; [unrolled: 1-line block ×15, first 2 shown]
	v_mul_lo_u32 v67, v67, v218
	v_mul_lo_u32 v16, v16, v218
	v_cvt_f32_i32_e32 v17, v16
	v_cvt_f32_i32_e32 v16, v67
	v_mul_lo_u32 v67, v69, v242
	v_mul_lo_u32 v69, v71, v242
	v_cvt_f32_i32_e32 v89, v69
	v_cvt_f32_i32_e32 v88, v67
	v_pk_fma_f32 v[86:87], v[124:125], v[136:137], 0 op_sel_hi:[0,1,0]
	v_pk_fma_f32 v[16:17], v[16:17], v[138:139], 0 op_sel_hi:[1,1,0]
	;; [unrolled: 1-line block ×3, first 2 shown]
	v_pk_fma_f32 v[16:17], v[88:89], v[134:135], v[16:17]
	v_pk_mul_f32 v[86:87], v[86:87], v[108:109]
	v_mov_b32_e32 v67, 0
	v_pk_fma_f32 v[16:17], v[16:17], v[106:107], v[86:87] neg_lo:[0,0,1] neg_hi:[0,0,1]
	v_dot4c_i32_i8_e32 v67, v246, v4
	v_pk_add_f32 v[24:25], v[24:25], v[16:17]
	v_mov_b32_e32 v16, 0
	v_dot4c_i32_i8_e32 v16, v221, v8
	v_dot4c_i32_i8_e32 v16, v223, v9
	;; [unrolled: 1-line block ×15, first 2 shown]
	v_mul_lo_u32 v55, v63, v234
	v_mul_lo_u32 v16, v16, v234
	v_cvt_f32_i32_e32 v17, v16
	v_cvt_f32_i32_e32 v16, v55
	v_mul_lo_u32 v55, v65, v253
	v_mul_lo_u32 v63, v67, v253
	v_cvt_f32_i32_e32 v89, v63
	v_cvt_f32_i32_e32 v88, v55
	v_pk_fma_f32 v[86:87], v[128:129], v[136:137], 0 op_sel_hi:[0,1,0]
	v_pk_fma_f32 v[16:17], v[16:17], v[138:139], 0 op_sel_hi:[1,1,0]
	v_pk_fma_f32 v[86:87], v[132:133], v[18:19], v[86:87] op_sel_hi:[0,1,1]
	v_pk_fma_f32 v[16:17], v[88:89], v[134:135], v[16:17]
	v_pk_mul_f32 v[86:87], v[86:87], v[112:113]
	s_add_i32 s4, s4, 8
	v_pk_fma_f32 v[16:17], v[16:17], v[110:111], v[86:87] neg_lo:[0,0,1] neg_hi:[0,0,1]
	s_add_i32 s17, s16, 8
	v_pk_add_f32 v[22:23], v[22:23], v[16:17]
	v_mov_b32_e32 v16, 0
	v_dot4c_i32_i8_e32 v16, v248, v8
	v_mov_b32_e32 v8, 0
	v_dot4c_i32_i8_e32 v16, v207, v9
	v_dot4c_i32_i8_e32 v8, v191, v4
	;; [unrolled: 1-line block ×15, first 2 shown]
	v_mul_lo_u32 v0, v54, v186
	v_mul_lo_u32 v1, v16, v186
	v_cvt_f32_i32_e32 v1, v1
	v_cvt_f32_i32_e32 v0, v0
	v_mul_lo_u32 v4, v59, v185
	v_mul_lo_u32 v5, v8, v185
	v_cvt_f32_i32_e32 v5, v5
	v_cvt_f32_i32_e32 v4, v4
	v_pk_fma_f32 v[2:3], v[120:121], v[136:137], 0 op_sel_hi:[0,1,0]
	v_pk_fma_f32 v[0:1], v[0:1], v[138:139], 0 op_sel_hi:[1,1,0]
	;; [unrolled: 1-line block ×3, first 2 shown]
	v_pk_fma_f32 v[0:1], v[4:5], v[134:135], v[0:1]
	v_pk_mul_f32 v[2:3], v[2:3], v[116:117]
	s_add_i32 s16, s16, 16
	v_pk_fma_f32 v[0:1], v[0:1], v[114:115], v[2:3] neg_lo:[0,0,1] neg_hi:[0,0,1]
	s_add_i32 s5, s5, 2
	v_pk_add_f32 v[20:21], v[20:21], v[0:1]
	v_add_u32_e32 v184, 32, v184
	v_add_u32_e32 v133, 8, v133
	;; [unrolled: 1-line block ×3, first 2 shown]
	s_cmp_lt_u32 s16, 24
	s_mov_b32 s16, s17
	s_cbranch_scc1 .LBB131_8
; %bb.9:                                ;   in Loop: Header=BB131_5 Depth=1
	s_add_i32 s0, s0, 1
	s_cmp_eq_u32 s0, s7
	s_barrier
	s_cbranch_scc0 .LBB131_5
; %bb.10:
	scratch_load_dword v1, off, off offset:24 ; 4-byte Folded Reload
	scratch_load_dword v2, off, off offset:28 ; 4-byte Folded Reload
.LBB131_11:
	s_waitcnt vmcnt(0)
	v_cmp_gt_u32_e32 vcc, s8, v2
	s_and_saveexec_b64 s[0:1], vcc
	s_cbranch_execz .LBB131_62
; %bb.12:
	v_add_u32_e32 v0, s6, v49
	v_mul_lo_u32 v5, v2, s10
	v_cmp_gt_u32_e32 vcc, s10, v0
	s_and_saveexec_b64 s[0:1], vcc
	s_cbranch_execz .LBB131_14
; %bb.13:
	v_add_u32_e32 v2, v0, v5
	v_mov_b32_e32 v3, 0
	s_waitcnt lgkmcnt(0)
	v_lshl_add_u64 v[2:3], v[2:3], 2, s[12:13]
	global_store_dword v[2:3], v56, off
.LBB131_14:
	s_or_b64 exec, exec, s[0:1]
	v_add_u32_e32 v2, 32, v0
	v_cmp_gt_u32_e64 s[0:1], s10, v2
	s_and_saveexec_b64 s[2:3], s[0:1]
	s_cbranch_execz .LBB131_16
; %bb.15:
	v_add_u32_e32 v6, v2, v5
	v_mov_b32_e32 v7, 0
	s_waitcnt lgkmcnt(0)
	v_lshl_add_u64 v[6:7], v[6:7], 2, s[12:13]
	global_store_dword v[6:7], v52, off
.LBB131_16:
	s_or_b64 exec, exec, s[2:3]
	v_add_u32_e32 v3, 64, v0
	v_cmp_gt_u32_e64 s[2:3], s10, v3
	s_and_saveexec_b64 s[4:5], s[2:3]
	;; [unrolled: 12-line block ×3, first 2 shown]
	s_cbranch_execz .LBB131_20
; %bb.19:
	v_add_u32_e32 v6, v4, v5
	v_mov_b32_e32 v7, 0
	s_waitcnt lgkmcnt(0)
	v_lshl_add_u64 v[6:7], v[6:7], 2, s[12:13]
	global_store_dword v[6:7], v44, off
.LBB131_20:
	s_or_b64 exec, exec, s[6:7]
	v_add3_u32 v5, v1, s11, 8
	v_cmp_gt_u32_e64 s[6:7], s8, v5
	s_and_b64 exec, exec, s[6:7]
	s_cbranch_execz .LBB131_62
; %bb.21:
	v_mul_lo_u32 v5, v5, s10
	s_and_saveexec_b64 s[6:7], vcc
	s_cbranch_execnz .LBB131_63
; %bb.22:
	s_or_b64 exec, exec, s[6:7]
	s_and_saveexec_b64 s[6:7], s[0:1]
	s_cbranch_execnz .LBB131_64
.LBB131_23:
	s_or_b64 exec, exec, s[6:7]
	s_and_saveexec_b64 s[6:7], s[2:3]
	s_cbranch_execnz .LBB131_65
.LBB131_24:
	s_or_b64 exec, exec, s[6:7]
	s_and_saveexec_b64 s[6:7], s[4:5]
	s_cbranch_execz .LBB131_26
.LBB131_25:
	v_add_u32_e32 v6, v5, v4
	v_mov_b32_e32 v7, 0
	s_waitcnt lgkmcnt(0)
	v_lshl_add_u64 v[6:7], v[6:7], 2, s[12:13]
	global_store_dword v[6:7], v45, off
.LBB131_26:
	s_or_b64 exec, exec, s[6:7]
	v_add3_u32 v5, v1, s11, 16
	v_cmp_gt_u32_e64 s[6:7], s8, v5
	s_and_b64 exec, exec, s[6:7]
	s_cbranch_execz .LBB131_62
; %bb.27:
	v_mul_lo_u32 v5, v5, s10
	s_and_saveexec_b64 s[6:7], vcc
	s_cbranch_execnz .LBB131_66
; %bb.28:
	s_or_b64 exec, exec, s[6:7]
	s_and_saveexec_b64 s[6:7], s[0:1]
	s_cbranch_execnz .LBB131_67
.LBB131_29:
	s_or_b64 exec, exec, s[6:7]
	s_and_saveexec_b64 s[6:7], s[2:3]
	s_cbranch_execnz .LBB131_68
.LBB131_30:
	s_or_b64 exec, exec, s[6:7]
	s_and_saveexec_b64 s[6:7], s[4:5]
	s_cbranch_execz .LBB131_32
.LBB131_31:
	v_add_u32_e32 v6, v5, v4
	v_mov_b32_e32 v7, 0
	s_waitcnt lgkmcnt(0)
	v_lshl_add_u64 v[6:7], v[6:7], 2, s[12:13]
	global_store_dword v[6:7], v36, off
.LBB131_32:
	s_or_b64 exec, exec, s[6:7]
	v_add3_u32 v5, v1, s11, 24
	v_cmp_gt_u32_e64 s[6:7], s8, v5
	s_and_b64 exec, exec, s[6:7]
	s_cbranch_execz .LBB131_62
; %bb.33:
	v_mul_lo_u32 v5, v5, s10
	s_and_saveexec_b64 s[6:7], vcc
	s_cbranch_execnz .LBB131_69
; %bb.34:
	s_or_b64 exec, exec, s[6:7]
	s_and_saveexec_b64 s[6:7], s[0:1]
	s_cbranch_execnz .LBB131_70
.LBB131_35:
	s_or_b64 exec, exec, s[6:7]
	s_and_saveexec_b64 s[6:7], s[2:3]
	s_cbranch_execnz .LBB131_71
.LBB131_36:
	s_or_b64 exec, exec, s[6:7]
	s_and_saveexec_b64 s[6:7], s[4:5]
	s_cbranch_execz .LBB131_38
.LBB131_37:
	v_add_u32_e32 v6, v5, v4
	v_mov_b32_e32 v7, 0
	s_waitcnt lgkmcnt(0)
	v_lshl_add_u64 v[6:7], v[6:7], 2, s[12:13]
	global_store_dword v[6:7], v37, off
.LBB131_38:
	s_or_b64 exec, exec, s[6:7]
	v_add3_u32 v5, v1, s11, 32
	v_cmp_gt_u32_e64 s[6:7], s8, v5
	s_and_b64 exec, exec, s[6:7]
	s_cbranch_execz .LBB131_62
; %bb.39:
	v_mul_lo_u32 v5, v5, s10
	s_and_saveexec_b64 s[6:7], vcc
	s_cbranch_execnz .LBB131_72
; %bb.40:
	s_or_b64 exec, exec, s[6:7]
	s_and_saveexec_b64 s[6:7], s[0:1]
	s_cbranch_execnz .LBB131_73
.LBB131_41:
	s_or_b64 exec, exec, s[6:7]
	s_and_saveexec_b64 s[6:7], s[2:3]
	s_cbranch_execnz .LBB131_74
.LBB131_42:
	s_or_b64 exec, exec, s[6:7]
	s_and_saveexec_b64 s[6:7], s[4:5]
	s_cbranch_execz .LBB131_44
.LBB131_43:
	v_add_u32_e32 v6, v5, v4
	v_mov_b32_e32 v7, 0
	s_waitcnt lgkmcnt(0)
	v_lshl_add_u64 v[6:7], v[6:7], 2, s[12:13]
	global_store_dword v[6:7], v28, off
.LBB131_44:
	s_or_b64 exec, exec, s[6:7]
	v_add3_u32 v5, v1, s11, 40
	v_cmp_gt_u32_e64 s[6:7], s8, v5
	s_and_b64 exec, exec, s[6:7]
	s_cbranch_execz .LBB131_62
; %bb.45:
	v_mul_lo_u32 v5, v5, s10
	s_and_saveexec_b64 s[6:7], vcc
	s_cbranch_execnz .LBB131_75
; %bb.46:
	s_or_b64 exec, exec, s[6:7]
	s_and_saveexec_b64 s[6:7], s[0:1]
	s_cbranch_execnz .LBB131_76
.LBB131_47:
	s_or_b64 exec, exec, s[6:7]
	s_and_saveexec_b64 s[6:7], s[2:3]
	s_cbranch_execnz .LBB131_77
.LBB131_48:
	s_or_b64 exec, exec, s[6:7]
	s_and_saveexec_b64 s[6:7], s[4:5]
	s_cbranch_execz .LBB131_50
.LBB131_49:
	v_add_u32_e32 v6, v5, v4
	v_mov_b32_e32 v7, 0
	s_waitcnt lgkmcnt(0)
	v_lshl_add_u64 v[6:7], v[6:7], 2, s[12:13]
	global_store_dword v[6:7], v29, off
.LBB131_50:
	s_or_b64 exec, exec, s[6:7]
	v_add3_u32 v5, v1, s11, 48
	v_cmp_gt_u32_e64 s[6:7], s8, v5
	s_and_b64 exec, exec, s[6:7]
	s_cbranch_execz .LBB131_62
; %bb.51:
	v_mul_lo_u32 v5, v5, s10
	s_and_saveexec_b64 s[6:7], vcc
	s_cbranch_execnz .LBB131_78
; %bb.52:
	s_or_b64 exec, exec, s[6:7]
	s_and_saveexec_b64 s[6:7], s[0:1]
	s_cbranch_execnz .LBB131_79
.LBB131_53:
	s_or_b64 exec, exec, s[6:7]
	s_and_saveexec_b64 s[6:7], s[2:3]
	s_cbranch_execnz .LBB131_80
.LBB131_54:
	s_or_b64 exec, exec, s[6:7]
	s_and_saveexec_b64 s[6:7], s[4:5]
	s_cbranch_execz .LBB131_56
.LBB131_55:
	v_add_u32_e32 v6, v5, v4
	v_mov_b32_e32 v7, 0
	s_waitcnt lgkmcnt(0)
	v_lshl_add_u64 v[6:7], v[6:7], 2, s[12:13]
	global_store_dword v[6:7], v20, off
.LBB131_56:
	s_or_b64 exec, exec, s[6:7]
	v_add3_u32 v1, v1, s11, 56
	v_cmp_gt_u32_e64 s[6:7], s8, v1
	s_and_b64 exec, exec, s[6:7]
	s_cbranch_execz .LBB131_62
; %bb.57:
	v_mul_lo_u32 v1, v1, s10
	s_and_saveexec_b64 s[6:7], vcc
	s_cbranch_execnz .LBB131_81
; %bb.58:
	s_or_b64 exec, exec, s[6:7]
	s_and_saveexec_b64 s[6:7], s[0:1]
	s_cbranch_execnz .LBB131_82
.LBB131_59:
	s_or_b64 exec, exec, s[6:7]
	s_and_saveexec_b64 s[0:1], s[2:3]
	s_cbranch_execnz .LBB131_83
.LBB131_60:
	s_or_b64 exec, exec, s[0:1]
	s_and_b64 exec, exec, s[4:5]
	s_cbranch_execz .LBB131_62
.LBB131_61:
	v_add_u32_e32 v0, v1, v4
	v_mov_b32_e32 v1, 0
	s_waitcnt lgkmcnt(0)
	v_lshl_add_u64 v[0:1], v[0:1], 2, s[12:13]
	global_store_dword v[0:1], v21, off
.LBB131_62:
	s_endpgm
.LBB131_63:
	v_add_u32_e32 v6, v5, v0
	v_mov_b32_e32 v7, 0
	s_waitcnt lgkmcnt(0)
	v_lshl_add_u64 v[6:7], v[6:7], 2, s[12:13]
	global_store_dword v[6:7], v57, off
	s_or_b64 exec, exec, s[6:7]
	s_and_saveexec_b64 s[6:7], s[0:1]
	s_cbranch_execz .LBB131_23
.LBB131_64:
	v_add_u32_e32 v6, v5, v2
	v_mov_b32_e32 v7, 0
	s_waitcnt lgkmcnt(0)
	v_lshl_add_u64 v[6:7], v[6:7], 2, s[12:13]
	global_store_dword v[6:7], v53, off
	s_or_b64 exec, exec, s[6:7]
	s_and_saveexec_b64 s[6:7], s[2:3]
	s_cbranch_execz .LBB131_24
.LBB131_65:
	v_add_u32_e32 v6, v5, v3
	v_mov_b32_e32 v7, 0
	s_waitcnt lgkmcnt(0)
	v_lshl_add_u64 v[6:7], v[6:7], 2, s[12:13]
	global_store_dword v[6:7], v47, off
	s_or_b64 exec, exec, s[6:7]
	s_and_saveexec_b64 s[6:7], s[4:5]
	s_cbranch_execnz .LBB131_25
	s_branch .LBB131_26
.LBB131_66:
	v_add_u32_e32 v6, v5, v0
	v_mov_b32_e32 v7, 0
	s_waitcnt lgkmcnt(0)
	v_lshl_add_u64 v[6:7], v[6:7], 2, s[12:13]
	global_store_dword v[6:7], v42, off
	s_or_b64 exec, exec, s[6:7]
	s_and_saveexec_b64 s[6:7], s[0:1]
	s_cbranch_execz .LBB131_29
.LBB131_67:
	v_add_u32_e32 v6, v5, v2
	v_mov_b32_e32 v7, 0
	s_waitcnt lgkmcnt(0)
	v_lshl_add_u64 v[6:7], v[6:7], 2, s[12:13]
	global_store_dword v[6:7], v40, off
	s_or_b64 exec, exec, s[6:7]
	s_and_saveexec_b64 s[6:7], s[2:3]
	s_cbranch_execz .LBB131_30
.LBB131_68:
	v_add_u32_e32 v6, v5, v3
	v_mov_b32_e32 v7, 0
	s_waitcnt lgkmcnt(0)
	v_lshl_add_u64 v[6:7], v[6:7], 2, s[12:13]
	global_store_dword v[6:7], v38, off
	s_or_b64 exec, exec, s[6:7]
	s_and_saveexec_b64 s[6:7], s[4:5]
	s_cbranch_execnz .LBB131_31
	s_branch .LBB131_32
.LBB131_69:
	v_add_u32_e32 v6, v5, v0
	v_mov_b32_e32 v7, 0
	s_waitcnt lgkmcnt(0)
	v_lshl_add_u64 v[6:7], v[6:7], 2, s[12:13]
	global_store_dword v[6:7], v43, off
	s_or_b64 exec, exec, s[6:7]
	s_and_saveexec_b64 s[6:7], s[0:1]
	s_cbranch_execz .LBB131_35
.LBB131_70:
	v_add_u32_e32 v6, v5, v2
	v_mov_b32_e32 v7, 0
	s_waitcnt lgkmcnt(0)
	v_lshl_add_u64 v[6:7], v[6:7], 2, s[12:13]
	global_store_dword v[6:7], v41, off
	s_or_b64 exec, exec, s[6:7]
	s_and_saveexec_b64 s[6:7], s[2:3]
	s_cbranch_execz .LBB131_36
.LBB131_71:
	v_add_u32_e32 v6, v5, v3
	v_mov_b32_e32 v7, 0
	s_waitcnt lgkmcnt(0)
	v_lshl_add_u64 v[6:7], v[6:7], 2, s[12:13]
	global_store_dword v[6:7], v39, off
	s_or_b64 exec, exec, s[6:7]
	s_and_saveexec_b64 s[6:7], s[4:5]
	s_cbranch_execnz .LBB131_37
	s_branch .LBB131_38
.LBB131_72:
	v_add_u32_e32 v6, v5, v0
	v_mov_b32_e32 v7, 0
	s_waitcnt lgkmcnt(0)
	v_lshl_add_u64 v[6:7], v[6:7], 2, s[12:13]
	global_store_dword v[6:7], v34, off
	s_or_b64 exec, exec, s[6:7]
	s_and_saveexec_b64 s[6:7], s[0:1]
	s_cbranch_execz .LBB131_41
.LBB131_73:
	v_add_u32_e32 v6, v5, v2
	v_mov_b32_e32 v7, 0
	s_waitcnt lgkmcnt(0)
	v_lshl_add_u64 v[6:7], v[6:7], 2, s[12:13]
	global_store_dword v[6:7], v32, off
	s_or_b64 exec, exec, s[6:7]
	s_and_saveexec_b64 s[6:7], s[2:3]
	s_cbranch_execz .LBB131_42
.LBB131_74:
	v_add_u32_e32 v6, v5, v3
	v_mov_b32_e32 v7, 0
	s_waitcnt lgkmcnt(0)
	v_lshl_add_u64 v[6:7], v[6:7], 2, s[12:13]
	global_store_dword v[6:7], v30, off
	s_or_b64 exec, exec, s[6:7]
	s_and_saveexec_b64 s[6:7], s[4:5]
	s_cbranch_execnz .LBB131_43
	s_branch .LBB131_44
.LBB131_75:
	v_add_u32_e32 v6, v5, v0
	v_mov_b32_e32 v7, 0
	s_waitcnt lgkmcnt(0)
	v_lshl_add_u64 v[6:7], v[6:7], 2, s[12:13]
	global_store_dword v[6:7], v35, off
	s_or_b64 exec, exec, s[6:7]
	s_and_saveexec_b64 s[6:7], s[0:1]
	s_cbranch_execz .LBB131_47
.LBB131_76:
	v_add_u32_e32 v6, v5, v2
	v_mov_b32_e32 v7, 0
	s_waitcnt lgkmcnt(0)
	v_lshl_add_u64 v[6:7], v[6:7], 2, s[12:13]
	global_store_dword v[6:7], v33, off
	s_or_b64 exec, exec, s[6:7]
	s_and_saveexec_b64 s[6:7], s[2:3]
	s_cbranch_execz .LBB131_48
.LBB131_77:
	v_add_u32_e32 v6, v5, v3
	v_mov_b32_e32 v7, 0
	s_waitcnt lgkmcnt(0)
	v_lshl_add_u64 v[6:7], v[6:7], 2, s[12:13]
	global_store_dword v[6:7], v31, off
	s_or_b64 exec, exec, s[6:7]
	s_and_saveexec_b64 s[6:7], s[4:5]
	s_cbranch_execnz .LBB131_49
	s_branch .LBB131_50
.LBB131_78:
	v_add_u32_e32 v6, v5, v0
	v_mov_b32_e32 v7, 0
	s_waitcnt lgkmcnt(0)
	v_lshl_add_u64 v[6:7], v[6:7], 2, s[12:13]
	global_store_dword v[6:7], v26, off
	s_or_b64 exec, exec, s[6:7]
	s_and_saveexec_b64 s[6:7], s[0:1]
	s_cbranch_execz .LBB131_53
.LBB131_79:
	v_add_u32_e32 v6, v5, v2
	v_mov_b32_e32 v7, 0
	s_waitcnt lgkmcnt(0)
	v_lshl_add_u64 v[6:7], v[6:7], 2, s[12:13]
	global_store_dword v[6:7], v24, off
	s_or_b64 exec, exec, s[6:7]
	s_and_saveexec_b64 s[6:7], s[2:3]
	s_cbranch_execz .LBB131_54
.LBB131_80:
	v_add_u32_e32 v6, v5, v3
	v_mov_b32_e32 v7, 0
	s_waitcnt lgkmcnt(0)
	v_lshl_add_u64 v[6:7], v[6:7], 2, s[12:13]
	global_store_dword v[6:7], v22, off
	s_or_b64 exec, exec, s[6:7]
	s_and_saveexec_b64 s[6:7], s[4:5]
	s_cbranch_execnz .LBB131_55
	s_branch .LBB131_56
.LBB131_81:
	v_add_u32_e32 v6, v1, v0
	v_mov_b32_e32 v7, 0
	s_waitcnt lgkmcnt(0)
	v_lshl_add_u64 v[6:7], v[6:7], 2, s[12:13]
	global_store_dword v[6:7], v27, off
	s_or_b64 exec, exec, s[6:7]
	s_and_saveexec_b64 s[6:7], s[0:1]
	s_cbranch_execz .LBB131_59
.LBB131_82:
	v_add_u32_e32 v6, v1, v2
	v_mov_b32_e32 v7, 0
	s_waitcnt lgkmcnt(0)
	v_lshl_add_u64 v[6:7], v[6:7], 2, s[12:13]
	global_store_dword v[6:7], v25, off
	s_or_b64 exec, exec, s[6:7]
	s_and_saveexec_b64 s[0:1], s[2:3]
	s_cbranch_execz .LBB131_60
.LBB131_83:
	v_add_u32_e32 v2, v1, v3
	v_mov_b32_e32 v3, 0
	s_waitcnt lgkmcnt(0)
	v_lshl_add_u64 v[2:3], v[2:3], 2, s[12:13]
	global_store_dword v[2:3], v23, off
	s_or_b64 exec, exec, s[0:1]
	s_and_b64 exec, exec, s[4:5]
	s_cbranch_execnz .LBB131_61
	s_branch .LBB131_62
	.section	.rodata,"a",@progbits
	.p2align	6, 0x0
	.amdhsa_kernel _ZL12mul_mat_q4_KIfLb0EEvPKvS1_PT_iiiii
		.amdhsa_group_segment_fixed_size 28752
		.amdhsa_private_segment_fixed_size 36
		.amdhsa_kernarg_size 44
		.amdhsa_user_sgpr_count 2
		.amdhsa_user_sgpr_dispatch_ptr 0
		.amdhsa_user_sgpr_queue_ptr 0
		.amdhsa_user_sgpr_kernarg_segment_ptr 1
		.amdhsa_user_sgpr_dispatch_id 0
		.amdhsa_user_sgpr_kernarg_preload_length 0
		.amdhsa_user_sgpr_kernarg_preload_offset 0
		.amdhsa_user_sgpr_private_segment_size 0
		.amdhsa_uses_dynamic_stack 0
		.amdhsa_enable_private_segment 1
		.amdhsa_system_sgpr_workgroup_id_x 1
		.amdhsa_system_sgpr_workgroup_id_y 1
		.amdhsa_system_sgpr_workgroup_id_z 0
		.amdhsa_system_sgpr_workgroup_info 0
		.amdhsa_system_vgpr_workitem_id 1
		.amdhsa_next_free_vgpr 256
		.amdhsa_next_free_sgpr 20
		.amdhsa_accum_offset 256
		.amdhsa_reserve_vcc 1
		.amdhsa_float_round_mode_32 0
		.amdhsa_float_round_mode_16_64 0
		.amdhsa_float_denorm_mode_32 3
		.amdhsa_float_denorm_mode_16_64 3
		.amdhsa_dx10_clamp 1
		.amdhsa_ieee_mode 1
		.amdhsa_fp16_overflow 0
		.amdhsa_tg_split 0
		.amdhsa_exception_fp_ieee_invalid_op 0
		.amdhsa_exception_fp_denorm_src 0
		.amdhsa_exception_fp_ieee_div_zero 0
		.amdhsa_exception_fp_ieee_overflow 0
		.amdhsa_exception_fp_ieee_underflow 0
		.amdhsa_exception_fp_ieee_inexact 0
		.amdhsa_exception_int_div_zero 0
	.end_amdhsa_kernel
	.section	.text._ZL12mul_mat_q4_KIfLb0EEvPKvS1_PT_iiiii,"axG",@progbits,_ZL12mul_mat_q4_KIfLb0EEvPKvS1_PT_iiiii,comdat
.Lfunc_end131:
	.size	_ZL12mul_mat_q4_KIfLb0EEvPKvS1_PT_iiiii, .Lfunc_end131-_ZL12mul_mat_q4_KIfLb0EEvPKvS1_PT_iiiii
                                        ; -- End function
	.section	.AMDGPU.csdata,"",@progbits
; Kernel info:
; codeLenInByte = 16504
; NumSgprs: 26
; NumVgprs: 256
; NumAgprs: 0
; TotalNumVgprs: 256
; ScratchSize: 36
; MemoryBound: 0
; FloatMode: 240
; IeeeMode: 1
; LDSByteSize: 28752 bytes/workgroup (compile time only)
; SGPRBlocks: 3
; VGPRBlocks: 31
; NumSGPRsForWavesPerEU: 26
; NumVGPRsForWavesPerEU: 256
; AccumOffset: 256
; Occupancy: 2
; WaveLimiterHint : 0
; COMPUTE_PGM_RSRC2:SCRATCH_EN: 1
; COMPUTE_PGM_RSRC2:USER_SGPR: 2
; COMPUTE_PGM_RSRC2:TRAP_HANDLER: 0
; COMPUTE_PGM_RSRC2:TGID_X_EN: 1
; COMPUTE_PGM_RSRC2:TGID_Y_EN: 1
; COMPUTE_PGM_RSRC2:TGID_Z_EN: 0
; COMPUTE_PGM_RSRC2:TIDIG_COMP_CNT: 1
; COMPUTE_PGM_RSRC3_GFX90A:ACCUM_OFFSET: 63
; COMPUTE_PGM_RSRC3_GFX90A:TG_SPLIT: 0
	.section	.text._ZL12mul_mat_q4_KIfLb1EEvPKvS1_PT_iiiii,"axG",@progbits,_ZL12mul_mat_q4_KIfLb1EEvPKvS1_PT_iiiii,comdat
	.globl	_ZL12mul_mat_q4_KIfLb1EEvPKvS1_PT_iiiii ; -- Begin function _ZL12mul_mat_q4_KIfLb1EEvPKvS1_PT_iiiii
	.p2align	8
	.type	_ZL12mul_mat_q4_KIfLb1EEvPKvS1_PT_iiiii,@function
_ZL12mul_mat_q4_KIfLb1EEvPKvS1_PT_iiiii: ; @_ZL12mul_mat_q4_KIfLb1EEvPKvS1_PT_iiiii
; %bb.0:
	s_load_dwordx4 s[8:11], s[0:1], 0x18
	s_load_dword s14, s[0:1], 0x28
	s_lshl_b32 s15, s3, 6
	v_bfe_u32 v48, v0, 10, 10
	s_waitcnt lgkmcnt(0)
	s_cmpk_gt_i32 s8, 0xff
	s_cbranch_scc1 .LBB132_2
; %bb.1:
	v_bfe_u32 v1, v0, 10, 10
	v_and_b32_e32 v45, 0x3ff, v0
	v_add_u32_e32 v2, s15, v1
	s_mov_b64 s[4:5], 0
	s_mov_b32 s3, 0
	s_branch .LBB132_3
.LBB132_2:
	s_mov_b64 s[4:5], -1
                                        ; implicit-def: $sgpr3
                                        ; implicit-def: $vgpr1
                                        ; implicit-def: $vgpr45
                                        ; implicit-def: $vgpr2
.LBB132_3:
	s_load_dwordx2 s[12:13], s[0:1], 0x10
	s_lshl_b32 s6, s2, 7
	s_andn2_b64 vcc, exec, s[4:5]
	v_mov_b32_e32 v21, s3
	v_mov_b32_e32 v20, s3
	;; [unrolled: 1-line block ×32, first 2 shown]
	s_cbranch_vccnz .LBB132_11
; %bb.4:
	s_ashr_i32 s4, s8, 31
	s_lshr_b32 s4, s4, 24
	s_load_dwordx4 s[0:3], s[0:1], 0x0
	s_add_i32 s4, s8, s4
	s_ashr_i32 s7, s4, 8
	s_ashr_i32 s4, s11, 31
	s_lshr_b32 s4, s4, 27
	s_add_i32 s4, s11, s4
	s_mul_i32 s5, s7, s6
	s_ashr_i32 s4, s4, 5
	s_mul_hi_i32 s16, s5, 0x90
	s_mulk_i32 s5, 0x90
	s_waitcnt lgkmcnt(0)
	s_add_u32 s11, s0, s5
	s_addc_u32 s16, s1, s16
	s_not_b32 s0, s6
	s_add_i32 s5, s0, s9
	v_and_b32_e32 v45, 0x3ff, v0
	v_lshlrev_b32_e32 v0, 2, v45
	v_min_i32_e32 v1, s5, v48
	s_movk_i32 s1, 0x84
	v_mul_lo_u32 v2, v1, s7
	v_mad_u64_u32 v[52:53], s[18:19], v1, s1, v[0:1]
	v_add_u32_e32 v1, 8, v48
	scratch_store_dwordx2 off, v[2:3], off  ; 8-byte Folded Spill
	v_min_i32_e32 v2, s5, v1
	v_mul_lo_u32 v4, v2, s7
	scratch_store_dwordx2 off, v[4:5], off offset:8 ; 8-byte Folded Spill
	v_add_u32_e32 v5, 16, v48
	v_mad_u64_u32 v[56:57], s[18:19], v2, s1, v[0:1]
	v_min_i32_e32 v2, s5, v5
	v_add_u32_e32 v7, 24, v48
	v_mul_lo_u32 v4, v2, s7
	v_mad_u64_u32 v[60:61], s[18:19], v2, s1, v[0:1]
	v_min_i32_e32 v2, s5, v7
	v_add_u32_e32 v12, 32, v48
	scratch_store_dwordx2 off, v[4:5], off offset:16 ; 8-byte Folded Spill
	v_mul_lo_u32 v4, v2, s7
	v_mad_u64_u32 v[64:65], s[18:19], v2, s1, v[0:1]
	v_min_i32_e32 v2, s5, v12
	v_add_u32_e32 v13, 40, v48
	scratch_store_dwordx2 off, v[4:5], off offset:24 ; 8-byte Folded Spill
	;; [unrolled: 5-line block ×4, first 2 shown]
	v_mul_lo_u32 v4, v2, s7
	v_mad_u64_u32 v[78:79], s[18:19], v2, s1, v[0:1]
	v_min_i32_e32 v2, s5, v15
	scratch_store_dwordx2 off, v[4:5], off offset:48 ; 8-byte Folded Spill
	v_mul_lo_u32 v4, v2, s7
	v_mad_u64_u32 v[82:83], s[18:19], v2, s1, v[0:1]
	v_add_u32_e32 v2, 64, v48
	v_min_i32_e32 v2, s5, v2
	scratch_store_dwordx2 off, v[4:5], off offset:56 ; 8-byte Folded Spill
	v_mul_lo_u32 v4, v2, s7
	v_mad_u64_u32 v[90:91], s[18:19], v2, s1, v[0:1]
	v_add_u32_e32 v2, 0x48, v48
	;; [unrolled: 5-line block ×3, first 2 shown]
	v_min_i32_e32 v2, s5, v2
	v_mul_lo_u32 v96, v2, s7
	v_mad_u64_u32 v[98:99], s[18:19], v2, s1, v[0:1]
	v_add_u32_e32 v2, 0x58, v48
	v_min_i32_e32 v2, s5, v2
	v_mul_lo_u32 v100, v2, s7
	v_mad_u64_u32 v[102:103], s[18:19], v2, s1, v[0:1]
	v_add_u32_e32 v2, 0x60, v48
	;; [unrolled: 4-line block ×5, first 2 shown]
	v_min_i32_e32 v2, s5, v2
	v_lshlrev_b32_e32 v55, 5, v48
	v_mul_lo_u32 v116, v2, s7
	v_mad_u64_u32 v[118:119], s[18:19], v2, s1, v[0:1]
	v_add_u32_e32 v2, v55, v45
	v_and_b32_e32 v2, 0x7f, v2
	v_min_i32_e32 v2, s5, v2
	v_ashrrev_i32_e32 v3, 31, v2
	v_lshrrev_b32_e32 v3, 27, v3
	v_add_u32_e32 v3, v2, v3
	v_ashrrev_i32_e32 v3, 5, v3
	scratch_store_dwordx2 off, v[4:5], off offset:72 ; 8-byte Folded Spill
	v_mul_lo_u32 v4, v2, s7
	v_lshlrev_b32_e32 v3, 2, v3
	v_lshlrev_b32_e32 v2, 2, v2
	s_movk_i32 s9, 0x6e40
	v_add3_u32 v57, v3, v2, s9
	v_lshrrev_b32_e32 v2, 2, v45
	v_lshl_add_u32 v3, v48, 3, v2
	v_and_b32_e32 v2, 3, v45
	scratch_store_dwordx2 off, v[4:5], off offset:80 ; 8-byte Folded Spill
	v_add_u32_e32 v4, 0xfe, v2
	v_cmp_gt_u32_e32 vcc, 2, v2
	v_mov_b32_e32 v47, 0
	v_lshlrev_b32_e32 v16, 2, v2
	v_cndmask_b32_e32 v4, v4, v2, vcc
	v_and_b32_e32 v8, 0xff, v4
	v_cmp_ne_u32_e32 vcc, 0, v2
	v_lshlrev_b32_e32 v61, 1, v8
	s_movk_i32 s17, 0x6200
	v_addc_co_u32_e32 v4, vcc, 0, v8, vcc
	v_and_b32_e32 v8, 0x7f, v3
	v_min_i32_e32 v9, s5, v8
	v_ashrrev_i32_e32 v10, 31, v9
	v_lshrrev_b32_e32 v10, 29, v10
	v_add_u32_e32 v10, v9, v10
	v_xor_b32_e32 v8, 64, v8
	v_ashrrev_i32_e32 v10, 3, v10
	v_min_i32_e32 v8, s5, v8
	v_mul_lo_u32 v122, v9, s7
	v_lshlrev_b32_e32 v10, 2, v10
	v_lshlrev_b32_e32 v18, 4, v9
	v_ashrrev_i32_e32 v9, 31, v8
	v_add3_u32 v17, v10, v16, s17
	v_lshrrev_b32_e32 v9, 29, v9
	v_and_b32_e32 v10, 28, v0
	v_mov_b32_e32 v11, v47
	v_and_b32_e32 v3, 63, v3
	v_add_u32_e32 v9, v8, v9
	s_add_i32 s5, s10, -1
	v_lshl_add_u64 v[126:127], s[2:3], 0, v[10:11]
	v_or_b32_e32 v10, s15, v3
	v_ashrrev_i32_e32 v9, 3, v9
	v_min_i32_e32 v10, s5, v10
	v_cmp_lt_u32_e32 vcc, 1, v2
	v_lshlrev_b32_e32 v9, 2, v9
	v_add_u32_e32 v22, s15, v48
	v_mad_u64_u32 v[128:129], s[18:19], v10, s4, v[2:3]
	v_lshl_or_b32 v2, v3, 4, v16
	v_mul_lo_u32 v124, v8, s7
	v_add3_u32 v19, v9, v16, s17
	v_lshlrev_b32_e32 v20, 4, v8
	v_cvt_f64_i32_e32 v[8:9], s5
	v_add_u32_e32 v63, 0x6a40, v2
	v_cvt_f64_u32_e32 v[2:3], v22
	v_min_f64 v[2:3], v[2:3], v[8:9]
	v_and_b32_e32 v21, 31, v45
	v_cvt_i32_f64_e32 v2, v[2:3]
	v_mul_lo_u32 v69, s4, v2
	v_or_b32_e32 v2, v55, v21
	v_mov_b32_e32 v10, 0x4200
	v_lshl_add_u32 v71, v2, 2, v10
	v_add_u32_e32 v2, 8, v22
	v_cvt_f64_u32_e32 v[2:3], v2
	v_lshlrev_b32_e32 v75, 5, v1
	v_min_f64 v[2:3], v[2:3], v[8:9]
	v_or_b32_e32 v1, v75, v21
	v_cvt_i32_f64_e32 v2, v[2:3]
	v_lshl_add_u32 v77, v1, 2, v10
	v_add_u32_e32 v1, 16, v22
	v_mul_lo_u32 v73, s4, v2
	v_cvt_f64_u32_e32 v[2:3], v1
	v_min_f64 v[2:3], v[2:3], v[8:9]
	v_cvt_i32_f64_e32 v1, v[2:3]
	v_lshlrev_b32_e32 v81, 5, v5
	v_mul_lo_u32 v79, s4, v1
	v_or_b32_e32 v1, v81, v21
	v_lshl_add_u32 v83, v1, 2, v10
	v_add_u32_e32 v1, 24, v22
	v_cvt_f64_u32_e32 v[2:3], v1
	v_min_f64 v[2:3], v[2:3], v[8:9]
	v_cvt_i32_f64_e32 v1, v[2:3]
	v_lshlrev_b32_e32 v91, 5, v7
	v_mul_lo_u32 v87, s4, v1
	v_or_b32_e32 v1, v91, v21
	v_lshl_add_u32 v93, v1, 2, v10
	v_add_u32_e32 v1, 32, v22
	;; [unrolled: 8-line block ×5, first 2 shown]
	v_cvt_f64_u32_e32 v[2:3], v1
	v_min_f64 v[2:3], v[2:3], v[8:9]
	v_cvt_i32_f64_e32 v1, v[2:3]
	v_lshlrev_b32_e32 v115, 5, v15
	v_lshrrev_b32_e32 v44, 5, v45
	v_mul_lo_u32 v113, s4, v1
	v_or_b32_e32 v1, v115, v21
	v_lshl_add_u32 v117, v1, 2, v10
	v_lshlrev_b32_e32 v1, 2, v44
	v_add3_u32 v119, v1, v0, s9
	v_add_u32_e32 v1, 32, v45
	v_lshrrev_b32_e32 v92, 3, v1
	v_lshlrev_b32_e32 v2, 2, v1
	v_and_b32_e32 v1, 60, v92
	v_add3_u32 v123, v0, v1, s9
	v_add_u32_e32 v1, 64, v45
	v_lshlrev_b32_e32 v3, 2, v1
	v_lshrrev_b32_e32 v1, 3, v1
	v_and_b32_e32 v5, 60, v1
	v_add3_u32 v125, v0, v5, s9
	v_add_u32_e32 v5, 0x60, v45
	v_lshlrev_b32_e32 v7, 2, v5
	v_lshrrev_b32_e32 v5, 3, v5
	v_and_b32_e32 v8, 60, v5
	v_add3_u32 v129, v0, v8, s9
	v_mov_b32_e32 v8, 0x1080
	v_mad_u32_u24 v153, v45, s1, v8
	v_mov_b32_e32 v8, 0x2100
	s_mov_b32 s0, 0
	v_mad_u32_u24 v155, v45, s1, v8
	v_mov_b32_e32 v8, 0x3180
	v_and_b32_e32 v6, 4, v0
	v_mad_u32_u24 v157, v45, s1, v8
	v_mad_u32_u24 v159, v45, s1, 64
	s_mov_b32 s1, s0
	v_cndmask_b32_e32 v59, 0, v6, vcc
	v_cndmask_b32_e64 v6, 0, 1, vcc
	v_lshrrev_b32_e32 v65, 3, v45
	v_mov_b32_e32 v8, 0x6a40
	v_mov_b64_e32 v[88:89], s[0:1]
	s_movk_i32 s8, 0x90
	v_and_b32_e32 v46, 0x7c, v0
	scratch_store_dword off, v22, off offset:92 ; 4-byte Folded Spill
	v_mul_u32_u24_e32 v151, 0x84, v45
	v_lshl_add_u32 v161, v48, 4, v8
	v_lshl_add_u32 v172, v48, 7, v10
	v_lshlrev_b32_e32 v173, 4, v45
	v_lshlrev_b32_e32 v174, 2, v5
	;; [unrolled: 1-line block ×7, first 2 shown]
	s_mov_b32 s1, 0x30303030
	v_add_u32_e32 v80, v17, v18
	v_add_u32_e32 v86, v19, v20
	v_lshlrev_b32_e32 v180, 2, v2
	v_lshlrev_b32_e32 v181, 2, v3
	v_lshlrev_b32_e32 v182, 2, v7
	v_mov_b32_e32 v131, v47
	v_mov_b32_e32 v133, v47
	v_lshlrev_b32_e32 v183, 2, v0
	v_mov_b64_e32 v[42:43], v[88:89]
	v_mov_b64_e32 v[34:35], v[88:89]
	;; [unrolled: 1-line block ×15, first 2 shown]
	scratch_store_dword off, v48, off offset:88 ; 4-byte Folded Spill
.LBB132_5:                              ; =>This Loop Header: Depth=1
                                        ;     Child Loop BB132_6 Depth 2
                                        ;     Child Loop BB132_8 Depth 2
	scratch_load_dwordx2 v[4:5], off, off   ; 8-byte Folded Reload
	scratch_load_dwordx2 v[6:7], off, off offset:8 ; 8-byte Folded Reload
	scratch_load_dwordx2 v[8:9], off, off offset:16 ; 8-byte Folded Reload
	;; [unrolled: 1-line block ×7, first 2 shown]
	s_mul_i32 s4, s0, 0x90
	s_mul_hi_u32 s5, s0, 0x90
	s_add_u32 s4, s11, s4
	s_addc_u32 s5, s16, s5
	v_mov_b64_e32 v[0:1], s[4:5]
	v_mad_u64_u32 v[2:3], s[4:5], v44, s8, v[0:1]
	v_lshl_add_u64 v[2:3], v[2:3], 0, v[46:47]
	v_lshl_add_u64 v[2:3], v[2:3], 0, 16
	s_lshl_b32 s9, s0, 3
	v_add_u32_e32 v147, s9, v128
	s_mov_b32 s18, 0
	s_waitcnt vmcnt(7)
	v_mad_i64_i32 v[4:5], s[4:5], v4, s8, v[2:3]
	s_waitcnt vmcnt(6)
	v_mad_i64_i32 v[6:7], s[4:5], v6, s8, v[2:3]
	;; [unrolled: 2-line block ×5, first 2 shown]
	v_mad_i64_i32 v[12:13], s[4:5], v12, s8, v[2:3]
	v_mad_i64_i32 v[14:15], s[4:5], v14, s8, v[2:3]
	;; [unrolled: 1-line block ×3, first 2 shown]
	global_load_dword v48, v[4:5], off
	global_load_dword v49, v[6:7], off
	;; [unrolled: 1-line block ×7, first 2 shown]
	s_nop 0
	global_load_dword v18, v[18:19], off
	s_nop 0
	scratch_load_dwordx2 v[4:5], off, off offset:64 ; 8-byte Folded Reload
	scratch_load_dwordx2 v[6:7], off, off offset:72 ; 8-byte Folded Reload
	v_mad_i64_i32 v[8:9], s[4:5], v96, s8, v[2:3]
	v_mad_i64_i32 v[10:11], s[4:5], v100, s8, v[2:3]
	;; [unrolled: 1-line block ×5, first 2 shown]
	s_waitcnt vmcnt(1)
	v_mad_i64_i32 v[4:5], s[4:5], v4, s8, v[2:3]
	s_waitcnt vmcnt(0)
	v_mad_i64_i32 v[6:7], s[4:5], v6, s8, v[2:3]
	v_mad_i64_i32 v[2:3], s[4:5], v116, s8, v[2:3]
	global_load_dword v19, v[4:5], off
	global_load_dword v72, v[6:7], off
	;; [unrolled: 1-line block ×6, first 2 shown]
	s_nop 0
	global_load_dword v16, v[16:17], off
	s_nop 0
	global_load_dword v17, v[2:3], off
	s_nop 0
	scratch_load_dwordx2 v[2:3], off, off offset:80 ; 8-byte Folded Reload
	v_mad_i64_i32 v[4:5], s[4:5], v122, s8, v[0:1]
	v_lshl_add_u64 v[4:5], v[4:5], 0, 4
	v_lshl_add_u64 v[6:7], v[4:5], 0, v[130:131]
	;; [unrolled: 1-line block ×3, first 2 shown]
	v_add_u32_e32 v14, s9, v65
	v_add_u32_e32 v10, v14, v101
	;; [unrolled: 1-line block ×3, first 2 shown]
	v_mad_i64_i32 v[10:11], s[4:5], v10, 36, v[126:127]
	v_mad_i64_i32 v[12:13], s[4:5], v12, 36, v[126:127]
	s_waitcnt vmcnt(0)
	v_mad_i64_i32 v[2:3], s[4:5], v2, s8, v[0:1]
	v_mad_i64_i32 v[0:1], s[4:5], v124, s8, v[0:1]
	v_lshl_add_u64 v[0:1], v[0:1], 0, 4
	v_lshl_add_u64 v[8:9], v[0:1], 0, v[130:131]
	;; [unrolled: 1-line block ×3, first 2 shown]
	global_load_dword v135, v[2:3], off
	global_load_dword v136, v[6:7], off
	;; [unrolled: 1-line block ×5, first 2 shown]
	v_add_u32_e32 v0, v14, v69
	v_add_u32_e32 v2, v14, v73
	;; [unrolled: 1-line block ×5, first 2 shown]
	v_mad_i64_i32 v[0:1], s[4:5], v0, 36, v[126:127]
	v_mad_i64_i32 v[2:3], s[4:5], v2, 36, v[126:127]
	;; [unrolled: 1-line block ×5, first 2 shown]
	v_add_u32_e32 v14, v14, v113
	v_mad_i64_i32 v[14:15], s[4:5], v14, 36, v[126:127]
	global_load_dword v140, v[0:1], off offset:4
	s_nop 0
	global_load_dword v2, v[2:3], off offset:4
	s_nop 0
	;; [unrolled: 2-line block ×3, first 2 shown]
	global_load_dword v4, v[6:7], off offset:4
	global_load_dword v5, v[8:9], off offset:4
	s_nop 0
	global_load_dword v6, v[10:11], off offset:4
	global_load_dword v7, v[12:13], off offset:4
	;; [unrolled: 1-line block ×3, first 2 shown]
	v_mad_u64_u32 v[0:1], s[4:5], v147, 36, s[2:3]
	global_load_dword v0, v[0:1], off
	s_mov_b64 s[4:5], -1
	ds_write_b32 v52, v48
	ds_write_b32 v56, v49
	;; [unrolled: 1-line block ×16, first 2 shown]
	s_waitcnt vmcnt(13)
	ds_write_b32 v57, v135
	s_waitcnt vmcnt(12)
	v_ashrrev_i32_e32 v1, v59, v136
	v_and_b32_e32 v1, 0xf0f0f0f, v1
	s_waitcnt vmcnt(11)
	v_ashrrev_i32_e32 v9, v61, v137
	v_and_or_b32 v1, v9, s1, v1
	ds_write_b32 v80, v1
	s_waitcnt vmcnt(10)
	v_ashrrev_i32_e32 v1, v59, v138
	v_and_b32_e32 v1, 0xf0f0f0f, v1
	s_waitcnt vmcnt(9)
	v_ashrrev_i32_e32 v9, v61, v139
	v_and_or_b32 v1, v9, s1, v1
	ds_write_b32 v86, v1
	s_waitcnt vmcnt(8)
	ds_write_b32 v71, v140
	s_waitcnt vmcnt(7)
	;; [unrolled: 2-line block ×9, first 2 shown]
	ds_write_b32 v63, v0
	s_waitcnt lgkmcnt(0)
	s_barrier
	ds_read_b32 v0, v119
	ds_read_b32 v1, v123 offset:128
	ds_read_b32 v2, v125 offset:256
	;; [unrolled: 1-line block ×3, first 2 shown]
	s_waitcnt lgkmcnt(3)
	v_cvt_f32_f16_e32 v16, v0
	v_cvt_f32_f16_sdwa v18, v0 dst_sel:DWORD dst_unused:UNUSED_PAD src0_sel:WORD_1
	s_waitcnt lgkmcnt(2)
	v_cvt_f32_f16_e32 v134, v1
	v_cvt_f32_f16_sdwa v136, v1 dst_sel:DWORD dst_unused:UNUSED_PAD src0_sel:WORD_1
	;; [unrolled: 3-line block ×4, first 2 shown]
	v_mov_b32_e32 v17, v16
	v_mov_b32_e32 v19, v18
	;; [unrolled: 1-line block ×8, first 2 shown]
.LBB132_6:                              ;   Parent Loop BB132_5 Depth=1
                                        ; =>  This Inner Loop Header: Depth=2
	s_lshl_b32 s17, s18, 1
	s_lshr_b32 s19, s18, 2
	v_or_b32_e32 v0, s17, v55
	s_lshl_b32 s18, s18, 2
	s_addk_i32 s19, 0x6200
	v_lshlrev_b32_e32 v1, 2, v0
	v_add_u32_e32 v53, s18, v151
	v_lshrrev_b32_e32 v48, 1, v0
	ds_read_b128 v[12:15], v1 offset:16896
	ds_read_b128 v[8:11], v1 offset:16912
	;; [unrolled: 1-line block ×4, first 2 shown]
	ds_read_b64 v[162:163], v48 offset:27200
	v_add3_u32 v49, s19, v177, v183
	ds_read2_b32 v[148:149], v53 offset1:1
	ds_read2_b32 v[164:165], v53 offset0:2 offset1:3
	ds_read2_b32 v[166:167], v53 offset0:4 offset1:5
	;; [unrolled: 1-line block ×3, first 2 shown]
	ds_read_u16 v53, v49
	ds_read_u8 v54, v49 offset:8
	ds_read_u8 v49, v49 offset:9
	s_waitcnt lgkmcnt(6)
	v_and_b32_e32 v196, 0xf0f0f0f, v148
	v_and_b32_e32 v197, 0xf0f0f0f, v149
	s_waitcnt lgkmcnt(5)
	v_and_b32_e32 v198, 0xf0f0f0f, v164
	s_waitcnt lgkmcnt(1)
	v_cvt_f32_ubyte0_e32 v150, v54
	v_lshrrev_b32_e32 v54, 4, v148
	v_and_b32_e32 v195, 0xf0f0f0f, v54
	v_lshrrev_b32_e32 v54, 4, v149
	v_and_b32_e32 v214, 0xf0f0f0f, v54
	;; [unrolled: 2-line block ×8, first 2 shown]
	s_waitcnt lgkmcnt(0)
	v_cvt_f32_ubyte0_e32 v154, v49
	v_add3_u32 v49, s19, v176, v180
	v_add_u32_e32 v54, s18, v153
	v_and_b32_e32 v199, 0xf0f0f0f, v165
	v_and_b32_e32 v200, 0xf0f0f0f, v166
	;; [unrolled: 1-line block ×5, first 2 shown]
	ds_read2_b32 v[148:149], v54 offset1:1
	ds_read2_b32 v[164:165], v54 offset0:2 offset1:3
	ds_read2_b32 v[166:167], v54 offset0:4 offset1:5
	;; [unrolled: 1-line block ×3, first 2 shown]
	ds_read_u16 v58, v49
	ds_read_u8 v54, v49 offset:8
	ds_read_u8 v62, v49 offset:9
	s_waitcnt lgkmcnt(6)
	v_lshrrev_b32_e32 v68, 4, v149
	v_and_b32_e32 v193, 0xf0f0f0f, v148
	v_and_b32_e32 v206, 0xf0f0f0f, v149
	v_lshrrev_b32_e32 v49, 4, v148
	s_waitcnt lgkmcnt(0)
	v_cvt_f32_ubyte0_e32 v158, v62
	v_add_u32_e32 v62, s18, v155
	v_and_b32_e32 v223, 0xf0f0f0f, v68
	v_lshrrev_b32_e32 v68, 4, v164
	ds_read2_b32 v[148:149], v62 offset1:1
	v_and_b32_e32 v207, 0xf0f0f0f, v164
	v_and_b32_e32 v208, 0xf0f0f0f, v165
	;; [unrolled: 1-line block ×3, first 2 shown]
	v_lshrrev_b32_e32 v68, 4, v165
	ds_read2_b32 v[164:165], v62 offset0:2 offset1:3
	v_and_b32_e32 v225, 0xf0f0f0f, v68
	v_lshrrev_b32_e32 v68, 4, v166
	v_and_b32_e32 v209, 0xf0f0f0f, v166
	v_and_b32_e32 v210, 0xf0f0f0f, v167
	;; [unrolled: 1-line block ×3, first 2 shown]
	v_lshrrev_b32_e32 v68, 4, v167
	ds_read2_b32 v[166:167], v62 offset0:4 offset1:5
	v_and_b32_e32 v229, 0xf0f0f0f, v68
	v_lshrrev_b32_e32 v68, 4, v168
	v_and_b32_e32 v211, 0xf0f0f0f, v168
	v_and_b32_e32 v212, 0xf0f0f0f, v169
	;; [unrolled: 1-line block ×3, first 2 shown]
	v_lshrrev_b32_e32 v68, 4, v169
	ds_read2_b32 v[168:169], v62 offset0:6 offset1:7
	s_waitcnt lgkmcnt(3)
	v_lshrrev_b32_e32 v72, 4, v149
	v_and_b32_e32 v239, 0xf0f0f0f, v72
	s_waitcnt lgkmcnt(2)
	v_lshrrev_b32_e32 v72, 4, v164
	v_and_b32_e32 v240, 0xf0f0f0f, v72
	v_lshrrev_b32_e32 v72, 4, v165
	v_and_b32_e32 v241, 0xf0f0f0f, v72
	s_waitcnt lgkmcnt(1)
	v_lshrrev_b32_e32 v72, 4, v166
	v_and_b32_e32 v242, 0xf0f0f0f, v72
	;; [unrolled: 5-line block ×3, first 2 shown]
	v_lshrrev_b32_e32 v72, 4, v169
	v_and_b32_e32 v204, 0xff, v58
	v_lshrrev_b16_e32 v227, 8, v58
	v_add3_u32 v58, s19, v175, v181
	v_and_b32_e32 v246, 0xf0f0f0f, v72
	v_add_u32_e32 v72, s18, v157
	v_and_b32_e32 v231, 0xf0f0f0f, v68
	v_and_b32_e32 v233, 0xf0f0f0f, v164
	;; [unrolled: 1-line block ×3, first 2 shown]
	ds_read_u16 v68, v58
	ds_read_u8 v62, v58 offset:8
	ds_read_u8 v58, v58 offset:9
	ds_read2_b32 v[164:165], v72 offset1:1
	v_mov_b32_e32 v48, 0
	v_and_b32_e32 v194, 0xff, v53
	v_lshrrev_b16_e32 v213, 8, v53
	v_mov_b32_e32 v53, 0
	v_and_b32_e32 v205, 0xf0f0f0f, v148
	v_mov_b32_e32 v255, 0
	s_waitcnt lgkmcnt(1)
	v_cvt_f32_ubyte0_e32 v160, v58
	s_waitcnt lgkmcnt(0)
	v_and_b32_e32 v228, 0xf0f0f0f, v164
	v_mov_b32_e32 v58, 0
	v_dot4c_i32_i8_e32 v48, v196, v12
	v_dot4c_i32_i8_e32 v53, v193, v12
	;; [unrolled: 1-line block ×3, first 2 shown]
	v_and_b32_e32 v232, 0xf0f0f0f, v149
	v_dot4c_i32_i8_e32 v58, v228, v12
	v_and_b32_e32 v247, 0xf0f0f0f, v165
	v_dot4c_i32_i8_e32 v48, v197, v13
	v_dot4c_i32_i8_e32 v53, v206, v13
	;; [unrolled: 1-line block ×4, first 2 shown]
	ds_read2_b32 v[12:13], v72 offset0:2 offset1:3
	v_dot4c_i32_i8_e32 v48, v198, v14
	v_dot4c_i32_i8_e32 v53, v207, v14
	;; [unrolled: 1-line block ×4, first 2 shown]
	s_waitcnt lgkmcnt(0)
	v_and_b32_e32 v248, 0xf0f0f0f, v12
	v_dot4c_i32_i8_e32 v58, v248, v14
	v_and_b32_e32 v249, 0xf0f0f0f, v13
	v_dot4c_i32_i8_e32 v53, v208, v15
	v_dot4c_i32_i8_e32 v255, v234, v15
	;; [unrolled: 1-line block ×3, first 2 shown]
	ds_read2_b32 v[14:15], v72 offset0:4 offset1:5
	v_and_b32_e32 v235, 0xf0f0f0f, v166
	v_dot4c_i32_i8_e32 v48, v200, v8
	v_dot4c_i32_i8_e32 v53, v209, v8
	;; [unrolled: 1-line block ×3, first 2 shown]
	s_waitcnt lgkmcnt(0)
	v_and_b32_e32 v250, 0xf0f0f0f, v14
	v_and_b32_e32 v236, 0xf0f0f0f, v167
	v_dot4c_i32_i8_e32 v58, v250, v8
	v_and_b32_e32 v251, 0xf0f0f0f, v15
	v_dot4c_i32_i8_e32 v48, v201, v9
	v_dot4c_i32_i8_e32 v53, v210, v9
	;; [unrolled: 1-line block ×4, first 2 shown]
	ds_read2_b32 v[8:9], v72 offset0:6 offset1:7
	v_and_b32_e32 v237, 0xf0f0f0f, v168
	v_dot4c_i32_i8_e32 v48, v202, v10
	v_dot4c_i32_i8_e32 v53, v211, v10
	v_dot4c_i32_i8_e32 v255, v237, v10
	s_waitcnt lgkmcnt(0)
	v_and_b32_e32 v252, 0xf0f0f0f, v8
	v_and_b32_e32 v238, 0xf0f0f0f, v169
	;; [unrolled: 1-line block ×3, first 2 shown]
	v_lshrrev_b16_e32 v243, 8, v68
	v_add3_u32 v68, s19, v174, v182
	v_dot4c_i32_i8_e32 v58, v252, v10
	v_and_b32_e32 v253, 0xf0f0f0f, v9
	v_dot4c_i32_i8_e32 v48, v203, v11
	v_dot4c_i32_i8_e32 v53, v212, v11
	;; [unrolled: 1-line block ×4, first 2 shown]
	ds_read_u16 v10, v68
	ds_read_u8 v11, v68 offset:8
	ds_read_u8 v72, v68 offset:9
	v_cvt_f32_ubyte0_e32 v156, v62
	v_lshrrev_b32_e32 v62, 4, v148
	v_mov_b32_e32 v254, 0
	s_waitcnt lgkmcnt(1)
	v_cvt_f32_ubyte0_e32 v148, v11
	v_lshrrev_b32_e32 v11, 4, v164
	v_cvt_f32_ubyte0_e32 v152, v54
	v_and_b32_e32 v49, 0xf0f0f0f, v49
	v_mov_b32_e32 v54, 0
	v_and_b32_e32 v222, 0xf0f0f0f, v62
	v_mov_b32_e32 v62, 0
	;; [unrolled: 2-line block ×3, first 2 shown]
	v_dot4c_i32_i8_e32 v254, v195, v4
	v_dot4c_i32_i8_e32 v54, v49, v4
	;; [unrolled: 1-line block ×4, first 2 shown]
	v_lshrrev_b32_e32 v4, 4, v165
	v_and_b32_e32 v192, 0xf0f0f0f, v4
	v_lshrrev_b32_e32 v4, 4, v12
	v_dot4c_i32_i8_e32 v254, v214, v5
	v_dot4c_i32_i8_e32 v54, v223, v5
	v_dot4c_i32_i8_e32 v62, v239, v5
	v_dot4c_i32_i8_e32 v68, v192, v5
	v_and_b32_e32 v190, 0xf0f0f0f, v4
	v_lshrrev_b32_e32 v4, 4, v13
	v_dot4c_i32_i8_e32 v254, v215, v6
	v_dot4c_i32_i8_e32 v54, v224, v6
	v_dot4c_i32_i8_e32 v62, v240, v6
	v_dot4c_i32_i8_e32 v68, v190, v6
	;; [unrolled: 6-line block ×3, first 2 shown]
	v_and_b32_e32 v186, 0xf0f0f0f, v4
	v_dot4c_i32_i8_e32 v254, v217, v0
	v_dot4c_i32_i8_e32 v54, v226, v0
	;; [unrolled: 1-line block ×4, first 2 shown]
	v_lshrrev_b32_e32 v0, 4, v15
	v_and_b32_e32 v187, 0xf0f0f0f, v0
	v_lshrrev_b32_e32 v0, 4, v8
	v_and_b32_e32 v188, 0xf0f0f0f, v0
	v_lshrrev_b32_e32 v0, 4, v9
	v_dot4c_i32_i8_e32 v254, v218, v1
	v_dot4c_i32_i8_e32 v54, v229, v1
	;; [unrolled: 1-line block ×4, first 2 shown]
	v_and_b32_e32 v189, 0xf0f0f0f, v0
	v_or_b32_e32 v0, s17, v75
	v_dot4c_i32_i8_e32 v254, v219, v2
	v_dot4c_i32_i8_e32 v54, v230, v2
	;; [unrolled: 1-line block ×4, first 2 shown]
	v_lshlrev_b32_e32 v1, 2, v0
	v_dot4c_i32_i8_e32 v254, v220, v3
	v_dot4c_i32_i8_e32 v54, v231, v3
	;; [unrolled: 1-line block ×3, first 2 shown]
	v_and_b32_e32 v149, 0xff, v10
	v_dot4c_i32_i8_e32 v68, v189, v3
	v_lshrrev_b16_e32 v184, 8, v10
	s_waitcnt lgkmcnt(0)
	v_cvt_f32_ubyte0_e32 v146, v72
	v_lshrrev_b32_e32 v72, 1, v0
	ds_read_b128 v[12:15], v1 offset:16896
	ds_read_b128 v[8:11], v1 offset:16912
	;; [unrolled: 1-line block ×4, first 2 shown]
	ds_read_b64 v[166:167], v72 offset:27200
	v_mov_b32_e32 v72, 0
	s_waitcnt lgkmcnt(4)
	v_dot4c_i32_i8_e32 v72, v196, v12
	v_mov_b32_e32 v76, 0
	v_dot4c_i32_i8_e32 v72, v197, v13
	s_waitcnt lgkmcnt(2)
	v_dot4c_i32_i8_e32 v76, v195, v4
	v_dot4c_i32_i8_e32 v72, v198, v14
	;; [unrolled: 1-line block ×8, first 2 shown]
	s_waitcnt lgkmcnt(1)
	v_dot4c_i32_i8_e32 v76, v217, v0
	v_mul_lo_u32 v48, v48, v194
	v_dot4c_i32_i8_e32 v72, v202, v10
	v_dot4c_i32_i8_e32 v76, v218, v1
	v_cvt_f32_f16_e32 v168, v162
	v_cvt_f32_f16_sdwa v170, v162 dst_sel:DWORD dst_unused:UNUSED_PAD src0_sel:WORD_1
	v_cvt_f32_i32_e32 v162, v48
	v_mul_lo_u32 v48, v254, v213
	v_dot4c_i32_i8_e32 v72, v203, v11
	v_dot4c_i32_i8_e32 v76, v219, v2
	v_cvt_f32_i32_e32 v120, v48
	v_mov_b32_e32 v48, 0
	v_dot4c_i32_i8_e32 v76, v220, v3
	v_mul_lo_u32 v72, v72, v194
	v_dot4c_i32_i8_e32 v48, v193, v12
	s_waitcnt lgkmcnt(0)
	v_cvt_f32_f16_e32 v169, v166
	v_cvt_f32_f16_sdwa v171, v166 dst_sel:DWORD dst_unused:UNUSED_PAD src0_sel:WORD_1
	v_cvt_f32_f16_e32 v164, v163
	v_cvt_f32_f16_sdwa v166, v163 dst_sel:DWORD dst_unused:UNUSED_PAD src0_sel:WORD_1
	v_cvt_f32_i32_e32 v163, v72
	v_mul_lo_u32 v72, v76, v213
	v_dot4c_i32_i8_e32 v48, v206, v13
	v_cvt_f32_f16_e32 v165, v167
	v_cvt_f32_f16_sdwa v167, v167 dst_sel:DWORD dst_unused:UNUSED_PAD src0_sel:WORD_1
	v_cvt_f32_i32_e32 v121, v72
	v_dot4c_i32_i8_e32 v48, v207, v14
	v_dot4c_i32_i8_e32 v48, v208, v15
	;; [unrolled: 1-line block ×3, first 2 shown]
	v_mov_b32_e32 v72, 0
	v_pk_fma_f32 v[162:163], v[168:169], v[162:163], 0 op_sel_hi:[1,1,0]
	v_pk_fma_f32 v[178:179], v[150:151], v[170:171], 0 op_sel_hi:[0,1,0]
	v_dot4c_i32_i8_e32 v48, v210, v9
	v_dot4c_i32_i8_e32 v72, v49, v4
	v_pk_fma_f32 v[120:121], v[164:165], v[120:121], v[162:163]
	v_pk_fma_f32 v[162:163], v[154:155], v[166:167], v[178:179] op_sel_hi:[0,1,1]
	v_dot4c_i32_i8_e32 v48, v211, v10
	v_dot4c_i32_i8_e32 v72, v223, v5
	v_pk_mul_f32 v[162:163], v[162:163], v[18:19]
	v_dot4c_i32_i8_e32 v48, v212, v11
	v_dot4c_i32_i8_e32 v72, v224, v6
	v_pk_fma_f32 v[120:121], v[120:121], v[16:17], v[162:163] neg_lo:[0,0,1] neg_hi:[0,0,1]
	v_dot4c_i32_i8_e32 v72, v225, v7
	v_mul_lo_u32 v48, v48, v204
	v_pk_add_f32 v[88:89], v[88:89], v[120:121]
	v_dot4c_i32_i8_e32 v72, v226, v0
	v_cvt_f32_i32_e32 v121, v48
	v_mul_lo_u32 v48, v54, v227
	v_dot4c_i32_i8_e32 v72, v229, v1
	v_cvt_f32_i32_e32 v178, v48
	v_mov_b32_e32 v48, 0
	v_dot4c_i32_i8_e32 v72, v230, v2
	v_dot4c_i32_i8_e32 v48, v205, v12
	v_dot4c_i32_i8_e32 v72, v231, v3
	v_mul_lo_u32 v53, v53, v204
	v_dot4c_i32_i8_e32 v48, v232, v13
	v_cvt_f32_i32_e32 v120, v53
	v_mul_lo_u32 v53, v72, v227
	v_dot4c_i32_i8_e32 v48, v233, v14
	v_cvt_f32_i32_e32 v179, v53
	v_dot4c_i32_i8_e32 v48, v234, v15
	v_dot4c_i32_i8_e32 v48, v235, v8
	v_pk_fma_f32 v[162:163], v[152:153], v[170:171], 0 op_sel_hi:[0,1,0]
	v_dot4c_i32_i8_e32 v48, v236, v9
	v_pk_fma_f32 v[120:121], v[168:169], v[120:121], 0 op_sel_hi:[1,1,0]
	v_pk_fma_f32 v[162:163], v[158:159], v[166:167], v[162:163] op_sel_hi:[0,1,1]
	v_dot4c_i32_i8_e32 v48, v237, v10
	v_pk_fma_f32 v[120:121], v[164:165], v[178:179], v[120:121]
	v_pk_mul_f32 v[162:163], v[162:163], v[136:137]
	v_dot4c_i32_i8_e32 v48, v238, v11
	v_pk_fma_f32 v[120:121], v[120:121], v[134:135], v[162:163] neg_lo:[0,0,1] neg_hi:[0,0,1]
	v_mov_b32_e32 v53, 0
	v_pk_add_f32 v[84:85], v[84:85], v[120:121]
	v_mul_lo_u32 v48, v48, v221
	v_cvt_f32_i32_e32 v121, v48
	v_mul_lo_u32 v48, v62, v243
	v_cvt_f32_i32_e32 v178, v48
	v_mov_b32_e32 v48, 0
	v_dot4c_i32_i8_e32 v48, v228, v12
	v_dot4c_i32_i8_e32 v48, v247, v13
	;; [unrolled: 1-line block ×5, first 2 shown]
	v_mov_b32_e32 v8, 0
	v_dot4c_i32_i8_e32 v8, v191, v4
	v_dot4c_i32_i8_e32 v8, v192, v5
	;; [unrolled: 1-line block ×17, first 2 shown]
	v_mul_lo_u32 v0, v58, v149
	v_mul_lo_u32 v1, v48, v149
	v_cvt_f32_i32_e32 v1, v1
	v_cvt_f32_i32_e32 v0, v0
	v_mul_lo_u32 v4, v68, v184
	v_mul_lo_u32 v5, v8, v184
	v_dot4c_i32_i8_e32 v53, v245, v2
	v_cvt_f32_i32_e32 v5, v5
	v_cvt_f32_i32_e32 v4, v4
	v_dot4c_i32_i8_e32 v53, v246, v3
	v_mul_lo_u32 v54, v255, v221
	v_cvt_f32_i32_e32 v120, v54
	v_pk_fma_f32 v[2:3], v[148:149], v[170:171], 0 op_sel_hi:[0,1,0]
	v_mul_lo_u32 v53, v53, v243
	v_cvt_f32_i32_e32 v179, v53
	v_pk_fma_f32 v[0:1], v[168:169], v[0:1], 0 op_sel_hi:[1,1,0]
	v_pk_fma_f32 v[2:3], v[146:147], v[166:167], v[2:3] op_sel_hi:[0,1,1]
	v_pk_fma_f32 v[0:1], v[164:165], v[4:5], v[0:1]
	v_pk_mul_f32 v[2:3], v[2:3], v[144:145]
	v_pk_fma_f32 v[162:163], v[156:157], v[170:171], 0 op_sel_hi:[0,1,0]
	v_pk_fma_f32 v[0:1], v[0:1], v[142:143], v[2:3] neg_lo:[0,0,1] neg_hi:[0,0,1]
	v_pk_fma_f32 v[120:121], v[168:169], v[120:121], 0 op_sel_hi:[1,1,0]
	v_pk_fma_f32 v[162:163], v[160:161], v[166:167], v[162:163] op_sel_hi:[0,1,1]
	v_pk_add_f32 v[50:51], v[50:51], v[0:1]
	v_or_b32_e32 v0, s17, v81
	v_pk_fma_f32 v[120:121], v[164:165], v[178:179], v[120:121]
	v_pk_mul_f32 v[162:163], v[162:163], v[140:141]
	v_lshlrev_b32_e32 v1, 2, v0
	v_pk_fma_f32 v[120:121], v[120:121], v[138:139], v[162:163] neg_lo:[0,0,1] neg_hi:[0,0,1]
	v_lshrrev_b32_e32 v48, 1, v0
	ds_read_b128 v[12:15], v1 offset:16896
	ds_read_b128 v[8:11], v1 offset:16912
	;; [unrolled: 1-line block ×4, first 2 shown]
	ds_read_b64 v[162:163], v48 offset:27200
	v_mov_b32_e32 v62, 0
	v_mov_b32_e32 v68, 0
	;; [unrolled: 1-line block ×8, first 2 shown]
	s_waitcnt lgkmcnt(4)
	v_dot4c_i32_i8_e32 v62, v196, v12
	s_waitcnt lgkmcnt(2)
	v_dot4c_i32_i8_e32 v68, v195, v4
	v_dot4c_i32_i8_e32 v72, v193, v12
	;; [unrolled: 1-line block ×32, first 2 shown]
	s_waitcnt lgkmcnt(1)
	v_dot4c_i32_i8_e32 v68, v217, v0
	v_dot4c_i32_i8_e32 v72, v209, v8
	;; [unrolled: 1-line block ×15, first 2 shown]
	v_or_b32_e32 v0, s17, v91
	v_pk_add_f32 v[66:67], v[66:67], v[120:121]
	v_dot4c_i32_i8_e32 v62, v202, v10
	v_dot4c_i32_i8_e32 v68, v219, v2
	;; [unrolled: 1-line block ×8, first 2 shown]
	v_lshlrev_b32_e32 v1, 2, v0
	v_lshrrev_b32_e32 v120, 1, v0
	v_dot4c_i32_i8_e32 v62, v203, v11
	v_dot4c_i32_i8_e32 v68, v220, v3
	;; [unrolled: 1-line block ×8, first 2 shown]
	ds_read_b128 v[12:15], v1 offset:16896
	ds_read_b128 v[8:11], v1 offset:16912
	;; [unrolled: 1-line block ×4, first 2 shown]
	ds_read_b64 v[120:121], v120 offset:27200
	v_mov_b32_e32 v178, 0
	s_waitcnt lgkmcnt(4)
	v_dot4c_i32_i8_e32 v178, v196, v12
	v_dot4c_i32_i8_e32 v178, v197, v13
	v_mov_b32_e32 v179, 0
	v_dot4c_i32_i8_e32 v178, v198, v14
	s_waitcnt lgkmcnt(2)
	v_dot4c_i32_i8_e32 v179, v195, v4
	v_dot4c_i32_i8_e32 v178, v199, v15
	;; [unrolled: 1-line block ×8, first 2 shown]
	s_waitcnt lgkmcnt(1)
	v_dot4c_i32_i8_e32 v179, v217, v0
	v_dot4c_i32_i8_e32 v178, v203, v11
	;; [unrolled: 1-line block ×4, first 2 shown]
	s_waitcnt lgkmcnt(0)
	v_cvt_f32_f16_e32 v169, v120
	v_cvt_f32_f16_sdwa v171, v120 dst_sel:DWORD dst_unused:UNUSED_PAD src0_sel:WORD_1
	v_mul_lo_u32 v62, v62, v194
	v_mul_lo_u32 v120, v178, v194
	v_dot4c_i32_i8_e32 v179, v220, v3
	v_cvt_f32_f16_e32 v165, v121
	v_cvt_f32_f16_sdwa v167, v121 dst_sel:DWORD dst_unused:UNUSED_PAD src0_sel:WORD_1
	v_cvt_f32_i32_e32 v121, v120
	v_cvt_f32_i32_e32 v120, v62
	v_mul_lo_u32 v62, v68, v213
	v_mul_lo_u32 v68, v179, v213
	v_cvt_f32_i32_e32 v178, v62
	v_mov_b32_e32 v62, 0
	v_cvt_f32_i32_e32 v179, v68
	v_dot4c_i32_i8_e32 v62, v193, v12
	v_mov_b32_e32 v68, 0
	v_cvt_f32_f16_sdwa v170, v162 dst_sel:DWORD dst_unused:UNUSED_PAD src0_sel:WORD_1
	v_dot4c_i32_i8_e32 v62, v206, v13
	v_dot4c_i32_i8_e32 v68, v49, v4
	v_cvt_f32_f16_e32 v168, v162
	v_cvt_f32_f16_sdwa v166, v163 dst_sel:DWORD dst_unused:UNUSED_PAD src0_sel:WORD_1
	v_dot4c_i32_i8_e32 v62, v207, v14
	v_dot4c_i32_i8_e32 v68, v223, v5
	v_cvt_f32_f16_e32 v164, v163
	v_dot4c_i32_i8_e32 v62, v208, v15
	v_dot4c_i32_i8_e32 v68, v224, v6
	;; [unrolled: 1-line block ×4, first 2 shown]
	v_pk_fma_f32 v[162:163], v[150:151], v[170:171], 0 op_sel_hi:[0,1,0]
	v_dot4c_i32_i8_e32 v62, v210, v9
	v_dot4c_i32_i8_e32 v68, v226, v0
	v_pk_fma_f32 v[120:121], v[120:121], v[168:169], 0 op_sel_hi:[1,1,0]
	v_pk_fma_f32 v[162:163], v[154:155], v[166:167], v[162:163] op_sel_hi:[0,1,1]
	v_dot4c_i32_i8_e32 v62, v211, v10
	v_dot4c_i32_i8_e32 v68, v229, v1
	v_pk_fma_f32 v[120:121], v[178:179], v[164:165], v[120:121]
	v_pk_mul_f32 v[162:163], v[162:163], v[18:19]
	v_dot4c_i32_i8_e32 v62, v212, v11
	v_dot4c_i32_i8_e32 v68, v230, v2
	v_pk_fma_f32 v[120:121], v[120:121], v[16:17], v[162:163] neg_lo:[0,0,1] neg_hi:[0,0,1]
	v_dot4c_i32_i8_e32 v68, v231, v3
	v_mul_lo_u32 v72, v72, v204
	v_mul_lo_u32 v62, v62, v204
	v_pk_add_f32 v[42:43], v[42:43], v[120:121]
	v_cvt_f32_i32_e32 v121, v62
	v_cvt_f32_i32_e32 v120, v72
	v_mul_lo_u32 v62, v76, v227
	v_mul_lo_u32 v68, v68, v227
	v_cvt_f32_i32_e32 v179, v68
	v_cvt_f32_i32_e32 v178, v62
	v_pk_fma_f32 v[162:163], v[152:153], v[170:171], 0 op_sel_hi:[0,1,0]
	v_pk_fma_f32 v[120:121], v[120:121], v[168:169], 0 op_sel_hi:[1,1,0]
	;; [unrolled: 1-line block ×3, first 2 shown]
	v_pk_fma_f32 v[120:121], v[178:179], v[164:165], v[120:121]
	v_pk_mul_f32 v[162:163], v[162:163], v[136:137]
	v_mul_lo_u32 v54, v54, v221
	v_pk_fma_f32 v[120:121], v[120:121], v[134:135], v[162:163] neg_lo:[0,0,1] neg_hi:[0,0,1]
	v_mov_b32_e32 v62, 0
	v_pk_add_f32 v[40:41], v[40:41], v[120:121]
	v_cvt_f32_i32_e32 v120, v54
	v_mul_lo_u32 v54, v58, v243
	v_cvt_f32_i32_e32 v178, v54
	v_mov_b32_e32 v54, 0
	v_dot4c_i32_i8_e32 v62, v205, v12
	v_dot4c_i32_i8_e32 v54, v228, v12
	v_dot4c_i32_i8_e32 v62, v232, v13
	v_dot4c_i32_i8_e32 v54, v247, v13
	v_dot4c_i32_i8_e32 v62, v233, v14
	v_dot4c_i32_i8_e32 v54, v248, v14
	v_dot4c_i32_i8_e32 v62, v234, v15
	v_dot4c_i32_i8_e32 v54, v249, v15
	v_dot4c_i32_i8_e32 v62, v235, v8
	v_dot4c_i32_i8_e32 v54, v250, v8
	v_mov_b32_e32 v8, 0
	v_dot4c_i32_i8_e32 v8, v191, v4
	v_mov_b32_e32 v68, 0
	v_dot4c_i32_i8_e32 v8, v192, v5
	v_dot4c_i32_i8_e32 v68, v222, v4
	;; [unrolled: 1-line block ×17, first 2 shown]
	v_mul_lo_u32 v0, v48, v149
	v_mul_lo_u32 v1, v54, v149
	v_dot4c_i32_i8_e32 v62, v237, v10
	v_cvt_f32_i32_e32 v1, v1
	v_cvt_f32_i32_e32 v0, v0
	v_mul_lo_u32 v4, v53, v184
	v_mul_lo_u32 v5, v8, v184
	v_dot4c_i32_i8_e32 v62, v238, v11
	v_dot4c_i32_i8_e32 v68, v245, v2
	v_cvt_f32_i32_e32 v5, v5
	v_cvt_f32_i32_e32 v4, v4
	v_dot4c_i32_i8_e32 v68, v246, v3
	v_mul_lo_u32 v62, v62, v221
	v_cvt_f32_i32_e32 v121, v62
	v_pk_fma_f32 v[2:3], v[148:149], v[170:171], 0 op_sel_hi:[0,1,0]
	v_mul_lo_u32 v58, v68, v243
	v_cvt_f32_i32_e32 v179, v58
	v_pk_fma_f32 v[0:1], v[0:1], v[168:169], 0 op_sel_hi:[1,1,0]
	v_pk_fma_f32 v[2:3], v[146:147], v[166:167], v[2:3] op_sel_hi:[0,1,1]
	v_pk_fma_f32 v[0:1], v[4:5], v[164:165], v[0:1]
	v_pk_mul_f32 v[2:3], v[2:3], v[144:145]
	v_pk_fma_f32 v[162:163], v[156:157], v[170:171], 0 op_sel_hi:[0,1,0]
	v_pk_fma_f32 v[0:1], v[0:1], v[142:143], v[2:3] neg_lo:[0,0,1] neg_hi:[0,0,1]
	v_pk_fma_f32 v[120:121], v[120:121], v[168:169], 0 op_sel_hi:[1,1,0]
	v_pk_fma_f32 v[162:163], v[160:161], v[166:167], v[162:163] op_sel_hi:[0,1,1]
	v_pk_add_f32 v[36:37], v[36:37], v[0:1]
	v_or_b32_e32 v0, s17, v97
	v_pk_fma_f32 v[120:121], v[178:179], v[164:165], v[120:121]
	v_pk_mul_f32 v[162:163], v[162:163], v[140:141]
	v_lshlrev_b32_e32 v1, 2, v0
	v_pk_fma_f32 v[120:121], v[120:121], v[138:139], v[162:163] neg_lo:[0,0,1] neg_hi:[0,0,1]
	v_lshrrev_b32_e32 v48, 1, v0
	ds_read_b128 v[12:15], v1 offset:16896
	ds_read_b128 v[8:11], v1 offset:16912
	;; [unrolled: 1-line block ×4, first 2 shown]
	ds_read_b64 v[162:163], v48 offset:27200
	v_mov_b32_e32 v62, 0
	v_mov_b32_e32 v68, 0
	;; [unrolled: 1-line block ×8, first 2 shown]
	s_waitcnt lgkmcnt(4)
	v_dot4c_i32_i8_e32 v62, v196, v12
	s_waitcnt lgkmcnt(2)
	v_dot4c_i32_i8_e32 v68, v195, v4
	v_dot4c_i32_i8_e32 v72, v193, v12
	;; [unrolled: 1-line block ×32, first 2 shown]
	s_waitcnt lgkmcnt(1)
	v_dot4c_i32_i8_e32 v68, v217, v0
	v_dot4c_i32_i8_e32 v72, v209, v8
	;; [unrolled: 1-line block ×15, first 2 shown]
	v_or_b32_e32 v0, s17, v103
	v_pk_add_f32 v[38:39], v[38:39], v[120:121]
	v_dot4c_i32_i8_e32 v62, v202, v10
	v_dot4c_i32_i8_e32 v68, v219, v2
	;; [unrolled: 1-line block ×8, first 2 shown]
	v_lshlrev_b32_e32 v1, 2, v0
	v_lshrrev_b32_e32 v120, 1, v0
	v_dot4c_i32_i8_e32 v62, v203, v11
	v_dot4c_i32_i8_e32 v68, v220, v3
	;; [unrolled: 1-line block ×8, first 2 shown]
	ds_read_b128 v[12:15], v1 offset:16896
	ds_read_b128 v[8:11], v1 offset:16912
	;; [unrolled: 1-line block ×4, first 2 shown]
	ds_read_b64 v[120:121], v120 offset:27200
	v_mov_b32_e32 v178, 0
	s_waitcnt lgkmcnt(4)
	v_dot4c_i32_i8_e32 v178, v196, v12
	v_dot4c_i32_i8_e32 v178, v197, v13
	v_mov_b32_e32 v179, 0
	v_dot4c_i32_i8_e32 v178, v198, v14
	s_waitcnt lgkmcnt(2)
	v_dot4c_i32_i8_e32 v179, v195, v4
	v_dot4c_i32_i8_e32 v178, v199, v15
	;; [unrolled: 1-line block ×8, first 2 shown]
	s_waitcnt lgkmcnt(1)
	v_dot4c_i32_i8_e32 v179, v217, v0
	v_dot4c_i32_i8_e32 v178, v203, v11
	;; [unrolled: 1-line block ×4, first 2 shown]
	s_waitcnt lgkmcnt(0)
	v_cvt_f32_f16_e32 v169, v120
	v_cvt_f32_f16_sdwa v171, v120 dst_sel:DWORD dst_unused:UNUSED_PAD src0_sel:WORD_1
	v_mul_lo_u32 v62, v62, v194
	v_mul_lo_u32 v120, v178, v194
	v_dot4c_i32_i8_e32 v179, v220, v3
	v_cvt_f32_f16_e32 v165, v121
	v_cvt_f32_f16_sdwa v167, v121 dst_sel:DWORD dst_unused:UNUSED_PAD src0_sel:WORD_1
	v_cvt_f32_i32_e32 v121, v120
	v_cvt_f32_i32_e32 v120, v62
	v_mul_lo_u32 v62, v68, v213
	v_mul_lo_u32 v68, v179, v213
	v_cvt_f32_i32_e32 v178, v62
	v_mov_b32_e32 v62, 0
	v_cvt_f32_i32_e32 v179, v68
	v_dot4c_i32_i8_e32 v62, v193, v12
	v_mov_b32_e32 v68, 0
	v_cvt_f32_f16_sdwa v170, v162 dst_sel:DWORD dst_unused:UNUSED_PAD src0_sel:WORD_1
	v_dot4c_i32_i8_e32 v62, v206, v13
	v_dot4c_i32_i8_e32 v68, v49, v4
	v_cvt_f32_f16_e32 v168, v162
	v_cvt_f32_f16_sdwa v166, v163 dst_sel:DWORD dst_unused:UNUSED_PAD src0_sel:WORD_1
	v_dot4c_i32_i8_e32 v62, v207, v14
	v_dot4c_i32_i8_e32 v68, v223, v5
	v_cvt_f32_f16_e32 v164, v163
	v_dot4c_i32_i8_e32 v62, v208, v15
	v_dot4c_i32_i8_e32 v68, v224, v6
	;; [unrolled: 1-line block ×4, first 2 shown]
	v_pk_fma_f32 v[162:163], v[150:151], v[170:171], 0 op_sel_hi:[0,1,0]
	v_dot4c_i32_i8_e32 v62, v210, v9
	v_dot4c_i32_i8_e32 v68, v226, v0
	v_pk_fma_f32 v[120:121], v[120:121], v[168:169], 0 op_sel_hi:[1,1,0]
	v_pk_fma_f32 v[162:163], v[154:155], v[166:167], v[162:163] op_sel_hi:[0,1,1]
	v_dot4c_i32_i8_e32 v62, v211, v10
	v_dot4c_i32_i8_e32 v68, v229, v1
	v_pk_fma_f32 v[120:121], v[178:179], v[164:165], v[120:121]
	v_pk_mul_f32 v[162:163], v[162:163], v[18:19]
	v_dot4c_i32_i8_e32 v62, v212, v11
	v_dot4c_i32_i8_e32 v68, v230, v2
	v_pk_fma_f32 v[120:121], v[120:121], v[16:17], v[162:163] neg_lo:[0,0,1] neg_hi:[0,0,1]
	v_dot4c_i32_i8_e32 v68, v231, v3
	v_mul_lo_u32 v72, v72, v204
	v_mul_lo_u32 v62, v62, v204
	v_pk_add_f32 v[34:35], v[34:35], v[120:121]
	v_cvt_f32_i32_e32 v121, v62
	v_cvt_f32_i32_e32 v120, v72
	v_mul_lo_u32 v62, v76, v227
	v_mul_lo_u32 v68, v68, v227
	v_cvt_f32_i32_e32 v179, v68
	v_cvt_f32_i32_e32 v178, v62
	v_pk_fma_f32 v[162:163], v[152:153], v[170:171], 0 op_sel_hi:[0,1,0]
	v_pk_fma_f32 v[120:121], v[120:121], v[168:169], 0 op_sel_hi:[1,1,0]
	;; [unrolled: 1-line block ×3, first 2 shown]
	v_pk_fma_f32 v[120:121], v[178:179], v[164:165], v[120:121]
	v_pk_mul_f32 v[162:163], v[162:163], v[136:137]
	v_mul_lo_u32 v54, v54, v221
	v_pk_fma_f32 v[120:121], v[120:121], v[134:135], v[162:163] neg_lo:[0,0,1] neg_hi:[0,0,1]
	v_mov_b32_e32 v62, 0
	v_pk_add_f32 v[32:33], v[32:33], v[120:121]
	v_cvt_f32_i32_e32 v120, v54
	v_mul_lo_u32 v54, v58, v243
	v_cvt_f32_i32_e32 v178, v54
	v_mov_b32_e32 v54, 0
	v_dot4c_i32_i8_e32 v62, v205, v12
	v_dot4c_i32_i8_e32 v54, v228, v12
	;; [unrolled: 1-line block ×10, first 2 shown]
	v_mov_b32_e32 v8, 0
	v_dot4c_i32_i8_e32 v8, v191, v4
	v_mov_b32_e32 v68, 0
	v_dot4c_i32_i8_e32 v8, v192, v5
	v_dot4c_i32_i8_e32 v68, v222, v4
	;; [unrolled: 1-line block ×16, first 2 shown]
	v_mul_lo_u32 v0, v48, v149
	v_mul_lo_u32 v1, v54, v149
	v_cvt_f32_i32_e32 v1, v1
	v_cvt_f32_i32_e32 v0, v0
	v_mul_lo_u32 v4, v53, v184
	v_mul_lo_u32 v5, v8, v184
	v_cvt_f32_i32_e32 v5, v5
	v_cvt_f32_i32_e32 v4, v4
	v_dot4c_i32_i8_e32 v68, v245, v2
	v_dot4c_i32_i8_e32 v68, v246, v3
	v_pk_fma_f32 v[2:3], v[148:149], v[170:171], 0 op_sel_hi:[0,1,0]
	v_pk_fma_f32 v[0:1], v[0:1], v[168:169], 0 op_sel_hi:[1,1,0]
	;; [unrolled: 1-line block ×3, first 2 shown]
	v_pk_fma_f32 v[0:1], v[4:5], v[164:165], v[0:1]
	v_pk_mul_f32 v[2:3], v[2:3], v[144:145]
	v_dot4c_i32_i8_e32 v62, v236, v9
	v_pk_fma_f32 v[0:1], v[0:1], v[142:143], v[2:3] neg_lo:[0,0,1] neg_hi:[0,0,1]
	v_dot4c_i32_i8_e32 v62, v237, v10
	v_pk_add_f32 v[28:29], v[28:29], v[0:1]
	v_or_b32_e32 v0, s17, v109
	v_lshlrev_b32_e32 v1, 2, v0
	v_dot4c_i32_i8_e32 v62, v238, v11
	v_pk_fma_f32 v[162:163], v[156:157], v[170:171], 0 op_sel_hi:[0,1,0]
	v_lshrrev_b32_e32 v48, 1, v0
	ds_read_b128 v[12:15], v1 offset:16896
	ds_read_b128 v[8:11], v1 offset:16912
	;; [unrolled: 1-line block ×4, first 2 shown]
	ds_read_b64 v[170:171], v48 offset:27200
	v_mul_lo_u32 v62, v62, v221
	v_mul_lo_u32 v58, v68, v243
	v_cvt_f32_i32_e32 v121, v62
	v_cvt_f32_i32_e32 v179, v58
	v_mov_b32_e32 v54, 0
	v_mov_b32_e32 v58, 0
	;; [unrolled: 1-line block ×8, first 2 shown]
	s_waitcnt lgkmcnt(4)
	v_dot4c_i32_i8_e32 v54, v196, v12
	s_waitcnt lgkmcnt(2)
	v_dot4c_i32_i8_e32 v58, v195, v4
	v_dot4c_i32_i8_e32 v62, v193, v12
	;; [unrolled: 1-line block ×31, first 2 shown]
	v_pk_fma_f32 v[120:121], v[120:121], v[168:169], 0 op_sel_hi:[1,1,0]
	v_pk_fma_f32 v[162:163], v[160:161], v[166:167], v[162:163] op_sel_hi:[0,1,1]
	v_dot4c_i32_i8_e32 v54, v200, v8
	s_waitcnt lgkmcnt(1)
	v_dot4c_i32_i8_e32 v58, v217, v0
	v_dot4c_i32_i8_e32 v62, v209, v8
	;; [unrolled: 1-line block ×7, first 2 shown]
	v_pk_fma_f32 v[120:121], v[178:179], v[164:165], v[120:121]
	v_pk_mul_f32 v[162:163], v[162:163], v[140:141]
	v_dot4c_i32_i8_e32 v54, v201, v9
	v_dot4c_i32_i8_e32 v58, v218, v1
	;; [unrolled: 1-line block ×8, first 2 shown]
	v_or_b32_e32 v0, s17, v115
	v_pk_fma_f32 v[120:121], v[120:121], v[138:139], v[162:163] neg_lo:[0,0,1] neg_hi:[0,0,1]
	v_dot4c_i32_i8_e32 v54, v202, v10
	v_dot4c_i32_i8_e32 v58, v219, v2
	;; [unrolled: 1-line block ×8, first 2 shown]
	v_lshlrev_b32_e32 v1, 2, v0
	v_pk_add_f32 v[30:31], v[30:31], v[120:121]
	v_dot4c_i32_i8_e32 v54, v203, v11
	v_dot4c_i32_i8_e32 v58, v220, v3
	v_dot4c_i32_i8_e32 v62, v212, v11
	v_dot4c_i32_i8_e32 v68, v231, v3
	v_dot4c_i32_i8_e32 v48, v238, v11
	v_dot4c_i32_i8_e32 v53, v246, v3
	v_dot4c_i32_i8_e32 v255, v253, v11
	v_dot4c_i32_i8_e32 v254, v189, v3
	v_lshrrev_b32_e32 v72, 1, v0
	ds_read_b128 v[12:15], v1 offset:16896
	ds_read_b128 v[8:11], v1 offset:16912
	;; [unrolled: 1-line block ×4, first 2 shown]
	ds_read_b64 v[120:121], v72 offset:27200
	v_mov_b32_e32 v76, 0
	v_mov_b32_e32 v72, 0
	s_waitcnt lgkmcnt(2)
	v_dot4c_i32_i8_e32 v76, v195, v4
	v_dot4c_i32_i8_e32 v72, v196, v12
	;; [unrolled: 1-line block ×8, first 2 shown]
	s_waitcnt lgkmcnt(1)
	v_dot4c_i32_i8_e32 v76, v217, v0
	v_dot4c_i32_i8_e32 v72, v200, v8
	;; [unrolled: 1-line block ×5, first 2 shown]
	v_mul_lo_u32 v54, v54, v194
	v_dot4c_i32_i8_e32 v72, v202, v10
	v_dot4c_i32_i8_e32 v76, v220, v3
	s_waitcnt lgkmcnt(0)
	v_cvt_f32_f16_e32 v169, v120
	v_cvt_f32_f16_sdwa v167, v120 dst_sel:DWORD dst_unused:UNUSED_PAD src0_sel:WORD_1
	v_cvt_f32_i32_e32 v120, v54
	v_mul_lo_u32 v54, v58, v213
	v_dot4c_i32_i8_e32 v72, v203, v11
	v_mul_lo_u32 v58, v76, v213
	v_cvt_f32_i32_e32 v178, v54
	v_mov_b32_e32 v54, 0
	v_cvt_f32_f16_sdwa v166, v170 dst_sel:DWORD dst_unused:UNUSED_PAD src0_sel:WORD_1
	v_mul_lo_u32 v72, v72, v194
	v_cvt_f32_i32_e32 v179, v58
	v_dot4c_i32_i8_e32 v54, v193, v12
	v_mov_b32_e32 v58, 0
	v_cvt_f32_f16_e32 v168, v170
	v_cvt_f32_f16_e32 v165, v121
	v_cvt_f32_f16_sdwa v163, v121 dst_sel:DWORD dst_unused:UNUSED_PAD src0_sel:WORD_1
	v_cvt_f32_f16_sdwa v162, v171 dst_sel:DWORD dst_unused:UNUSED_PAD src0_sel:WORD_1
	v_cvt_f32_i32_e32 v121, v72
	v_dot4c_i32_i8_e32 v54, v206, v13
	v_dot4c_i32_i8_e32 v58, v49, v4
	v_cvt_f32_f16_e32 v164, v171
	v_dot4c_i32_i8_e32 v54, v207, v14
	v_dot4c_i32_i8_e32 v58, v223, v5
	;; [unrolled: 1-line block ×4, first 2 shown]
	v_pk_fma_f32 v[170:171], v[150:151], v[166:167], 0 op_sel_hi:[0,1,0]
	v_dot4c_i32_i8_e32 v54, v209, v8
	v_dot4c_i32_i8_e32 v58, v225, v7
	v_pk_fma_f32 v[120:121], v[120:121], v[168:169], 0 op_sel_hi:[1,1,0]
	v_pk_fma_f32 v[170:171], v[154:155], v[162:163], v[170:171] op_sel_hi:[0,1,1]
	v_dot4c_i32_i8_e32 v54, v210, v9
	v_dot4c_i32_i8_e32 v58, v226, v0
	v_pk_fma_f32 v[120:121], v[178:179], v[164:165], v[120:121]
	v_pk_mul_f32 v[170:171], v[170:171], v[18:19]
	v_dot4c_i32_i8_e32 v54, v211, v10
	v_dot4c_i32_i8_e32 v58, v229, v1
	v_pk_fma_f32 v[120:121], v[120:121], v[16:17], v[170:171] neg_lo:[0,0,1] neg_hi:[0,0,1]
	v_dot4c_i32_i8_e32 v54, v212, v11
	v_dot4c_i32_i8_e32 v58, v230, v2
	v_mul_lo_u32 v49, v62, v204
	v_pk_add_f32 v[26:27], v[26:27], v[120:121]
	v_dot4c_i32_i8_e32 v58, v231, v3
	v_mul_lo_u32 v54, v54, v204
	v_cvt_f32_i32_e32 v120, v49
	v_mul_lo_u32 v49, v68, v227
	v_cvt_f32_i32_e32 v121, v54
	v_mul_lo_u32 v54, v58, v227
	v_cvt_f32_i32_e32 v178, v49
	v_mov_b32_e32 v49, 0
	v_cvt_f32_i32_e32 v179, v54
	v_dot4c_i32_i8_e32 v49, v205, v12
	v_mov_b32_e32 v54, 0
	v_dot4c_i32_i8_e32 v49, v232, v13
	v_dot4c_i32_i8_e32 v54, v222, v4
	;; [unrolled: 1-line block ×12, first 2 shown]
	v_pk_fma_f32 v[170:171], v[152:153], v[166:167], 0 op_sel_hi:[0,1,0]
	v_dot4c_i32_i8_e32 v49, v238, v11
	v_dot4c_i32_i8_e32 v54, v245, v2
	v_pk_fma_f32 v[120:121], v[120:121], v[168:169], 0 op_sel_hi:[1,1,0]
	v_pk_fma_f32 v[170:171], v[158:159], v[162:163], v[170:171] op_sel_hi:[0,1,1]
	v_dot4c_i32_i8_e32 v54, v246, v3
	v_mul_lo_u32 v48, v48, v221
	v_mul_lo_u32 v49, v49, v221
	v_pk_fma_f32 v[120:121], v[178:179], v[164:165], v[120:121]
	v_pk_mul_f32 v[170:171], v[170:171], v[136:137]
	v_cvt_f32_i32_e32 v49, v49
	v_cvt_f32_i32_e32 v48, v48
	v_mul_lo_u32 v53, v53, v243
	v_mul_lo_u32 v54, v54, v243
	v_pk_fma_f32 v[120:121], v[120:121], v[134:135], v[170:171] neg_lo:[0,0,1] neg_hi:[0,0,1]
	v_cvt_f32_i32_e32 v171, v54
	v_cvt_f32_i32_e32 v170, v53
	v_pk_add_f32 v[24:25], v[24:25], v[120:121]
	v_pk_fma_f32 v[120:121], v[156:157], v[166:167], 0 op_sel_hi:[0,1,0]
	v_pk_fma_f32 v[48:49], v[48:49], v[168:169], 0 op_sel_hi:[1,1,0]
	;; [unrolled: 1-line block ×3, first 2 shown]
	v_pk_fma_f32 v[48:49], v[170:171], v[164:165], v[48:49]
	v_pk_mul_f32 v[120:121], v[120:121], v[140:141]
	s_mov_b32 s18, 8
	v_pk_fma_f32 v[48:49], v[48:49], v[138:139], v[120:121] neg_lo:[0,0,1] neg_hi:[0,0,1]
	s_and_b64 vcc, exec, s[4:5]
	v_pk_add_f32 v[22:23], v[22:23], v[48:49]
	v_mov_b32_e32 v48, 0
	v_dot4c_i32_i8_e32 v48, v228, v12
	v_dot4c_i32_i8_e32 v48, v247, v13
	;; [unrolled: 1-line block ×5, first 2 shown]
	v_mov_b32_e32 v8, 0
	v_dot4c_i32_i8_e32 v8, v191, v4
	v_dot4c_i32_i8_e32 v8, v192, v5
	;; [unrolled: 1-line block ×11, first 2 shown]
	v_mul_lo_u32 v0, v255, v149
	v_mul_lo_u32 v1, v48, v149
	v_cvt_f32_i32_e32 v1, v1
	v_cvt_f32_i32_e32 v0, v0
	v_mul_lo_u32 v4, v254, v184
	v_mul_lo_u32 v5, v8, v184
	v_cvt_f32_i32_e32 v5, v5
	v_cvt_f32_i32_e32 v4, v4
	v_pk_fma_f32 v[2:3], v[148:149], v[166:167], 0 op_sel_hi:[0,1,0]
	v_pk_fma_f32 v[0:1], v[0:1], v[168:169], 0 op_sel_hi:[1,1,0]
	;; [unrolled: 1-line block ×3, first 2 shown]
	v_pk_fma_f32 v[0:1], v[4:5], v[164:165], v[0:1]
	v_pk_mul_f32 v[2:3], v[2:3], v[144:145]
	s_mov_b64 s[4:5], 0
	v_pk_fma_f32 v[0:1], v[0:1], v[142:143], v[2:3] neg_lo:[0,0,1] neg_hi:[0,0,1]
	s_nop 0
	v_pk_add_f32 v[20:21], v[20:21], v[0:1]
	s_cbranch_vccnz .LBB132_6
; %bb.7:                                ;   in Loop: Header=BB132_5 Depth=1
	v_add_u32_e32 v14, s9, v92
	v_add_u32_e32 v0, v14, v69
	;; [unrolled: 1-line block ×6, first 2 shown]
	v_mad_i64_i32 v[0:1], s[4:5], v0, 36, v[126:127]
	v_mad_i64_i32 v[2:3], s[4:5], v2, 36, v[126:127]
	v_mad_i64_i32 v[4:5], s[4:5], v4, 36, v[126:127]
	v_mad_i64_i32 v[6:7], s[4:5], v6, 36, v[126:127]
	v_mad_i64_i32 v[8:9], s[4:5], v8, 36, v[126:127]
	v_add_u32_e32 v10, v14, v101
	v_add_u32_e32 v12, v14, v107
	;; [unrolled: 1-line block ×3, first 2 shown]
	s_barrier
	v_mad_i64_i32 v[10:11], s[4:5], v10, 36, v[126:127]
	v_mad_i64_i32 v[12:13], s[4:5], v12, 36, v[126:127]
	;; [unrolled: 1-line block ×3, first 2 shown]
	global_load_dword v16, v[0:1], off offset:4
	s_nop 0
	global_load_dword v2, v[2:3], off offset:4
	s_nop 0
	;; [unrolled: 2-line block ×3, first 2 shown]
	global_load_dword v4, v[6:7], off offset:4
	global_load_dword v5, v[8:9], off offset:4
	s_nop 0
	global_load_dword v6, v[10:11], off offset:4
	global_load_dword v7, v[12:13], off offset:4
	;; [unrolled: 1-line block ×3, first 2 shown]
	v_add_u32_e32 v0, 4, v147
	v_mad_u64_u32 v[0:1], s[4:5], v0, 36, s[2:3]
	global_load_dword v0, v[0:1], off
	s_mov_b32 s4, 16
	s_mov_b32 s5, 0
	v_mov_b32_e32 v163, v172
	v_mov_b32_e32 v165, v161
	s_mov_b32 s9, 0
	v_mov_b32_e32 v184, v159
	s_waitcnt vmcnt(8)
	ds_write_b32 v71, v16
	s_waitcnt vmcnt(7)
	ds_write_b32 v77, v2
	;; [unrolled: 2-line block ×9, first 2 shown]
	s_waitcnt lgkmcnt(0)
	s_barrier
	ds_read_b32 v0, v119
	ds_read_b32 v1, v123 offset:128
	ds_read_b32 v2, v125 offset:256
	;; [unrolled: 1-line block ×3, first 2 shown]
	s_waitcnt lgkmcnt(2)
	v_cvt_f32_f16_e32 v138, v1
	v_cvt_f32_f16_e32 v134, v0
	v_cvt_f32_f16_sdwa v136, v0 dst_sel:DWORD dst_unused:UNUSED_PAD src0_sel:WORD_1
	v_cvt_f32_f16_sdwa v140, v1 dst_sel:DWORD dst_unused:UNUSED_PAD src0_sel:WORD_1
	s_waitcnt lgkmcnt(1)
	v_cvt_f32_f16_e32 v142, v2
	v_cvt_f32_f16_sdwa v144, v2 dst_sel:DWORD dst_unused:UNUSED_PAD src0_sel:WORD_1
	s_waitcnt lgkmcnt(0)
	v_cvt_f32_f16_e32 v146, v3
	v_cvt_f32_f16_sdwa v148, v3 dst_sel:DWORD dst_unused:UNUSED_PAD src0_sel:WORD_1
	v_mov_b32_e32 v135, v134
	v_mov_b32_e32 v137, v136
	;; [unrolled: 1-line block ×8, first 2 shown]
.LBB132_8:                              ;   Parent Loop BB132_5 Depth=1
                                        ; =>  This Inner Loop Header: Depth=2
	ds_read_b128 v[16:19], v163
	ds_read_b128 v[12:15], v163 offset:16
	ds_read_b128 v[8:11], v163 offset:32
	;; [unrolled: 1-line block ×3, first 2 shown]
	ds_read2_b64 v[0:3], v165 offset1:16
	ds_read2_b32 v[120:121], v184 offset1:1
	ds_read2_b32 v[166:167], v184 offset0:2 offset1:3
	ds_read2_b32 v[168:169], v184 offset0:4 offset1:5
	;; [unrolled: 1-line block ×3, first 2 shown]
	s_lshr_b32 s17, s4, 2
	s_and_b32 s17, s17, 0x3ffffffc
	v_add_u32_e32 v68, s5, v173
	s_waitcnt lgkmcnt(3)
	v_lshrrev_b32_e32 v58, 4, v121
	v_add3_u32 v49, v177, s17, v68
	v_and_b32_e32 v225, 0xf0f0f0f, v58
	s_waitcnt lgkmcnt(2)
	v_lshrrev_b32_e32 v58, 4, v166
	ds_read_u16 v53, v49 offset:25088
	ds_read_u16 v49, v49 offset:25096
	v_and_b32_e32 v226, 0xf0f0f0f, v58
	v_lshrrev_b32_e32 v58, 4, v167
	v_and_b32_e32 v227, 0xf0f0f0f, v58
	s_waitcnt lgkmcnt(3)
	v_lshrrev_b32_e32 v58, 4, v168
	v_and_b32_e32 v228, 0xf0f0f0f, v58
	v_lshrrev_b32_e32 v58, 4, v169
	v_and_b32_e32 v229, 0xf0f0f0f, v58
	s_waitcnt lgkmcnt(2)
	v_lshrrev_b32_e32 v58, 4, v170
	s_waitcnt lgkmcnt(1)
	v_and_b32_e32 v211, 0xff, v53
	v_and_b32_e32 v230, 0xf0f0f0f, v58
	v_lshrrev_b32_e32 v58, 4, v171
	v_lshrrev_b16_e32 v224, 8, v53
	v_add_u32_e32 v53, 0x1080, v184
	v_and_b32_e32 v202, 0xf0f0f0f, v120
	v_and_b32_e32 v201, 0xf0f0f0f, v121
	v_lshrrev_b32_e32 v54, 4, v120
	v_and_b32_e32 v233, 0xf0f0f0f, v58
	ds_read2_b32 v[120:121], v53 offset1:1
	v_add_u32_e32 v58, 0x1088, v184
	v_and_b32_e32 v204, 0xf0f0f0f, v166
	v_and_b32_e32 v205, 0xf0f0f0f, v167
	ds_read2_b32 v[166:167], v58 offset1:1
	v_add_u32_e32 v58, 0x1090, v184
	v_and_b32_e32 v208, 0xf0f0f0f, v168
	;; [unrolled: 4-line block ×3, first 2 shown]
	v_and_b32_e32 v214, 0xf0f0f0f, v171
	ds_read2_b32 v[170:171], v58 offset1:1
	s_waitcnt lgkmcnt(3)
	v_lshrrev_b32_e32 v72, 4, v121
	v_and_b32_e32 v235, 0xf0f0f0f, v72
	s_waitcnt lgkmcnt(2)
	v_lshrrev_b32_e32 v72, 4, v166
	v_cvt_f32_ubyte0_e32 v154, v49
	v_cvt_f32_ubyte1_e32 v158, v49
	v_add3_u32 v49, v176, s17, v68
	v_and_b32_e32 v237, 0xf0f0f0f, v72
	v_lshrrev_b32_e32 v72, 4, v167
	ds_read_u16 v58, v49 offset:25600
	ds_read_u16 v49, v49 offset:25608
	v_and_b32_e32 v239, 0xf0f0f0f, v72
	s_waitcnt lgkmcnt(3)
	v_lshrrev_b32_e32 v72, 4, v168
	v_and_b32_e32 v241, 0xf0f0f0f, v72
	v_lshrrev_b32_e32 v72, 4, v169
	v_and_b32_e32 v244, 0xf0f0f0f, v72
	s_waitcnt lgkmcnt(2)
	v_lshrrev_b32_e32 v72, 4, v170
	v_and_b32_e32 v245, 0xf0f0f0f, v72
	v_lshrrev_b32_e32 v72, 4, v171
	s_waitcnt lgkmcnt(1)
	v_and_b32_e32 v218, 0xff, v58
	v_and_b32_e32 v247, 0xf0f0f0f, v72
	v_lshrrev_b16_e32 v242, 8, v58
	v_add_u32_e32 v58, 0x2100, v184
	v_add_u32_e32 v72, 0x2108, v184
	v_and_b32_e32 v203, 0xf0f0f0f, v120
	v_and_b32_e32 v206, 0xf0f0f0f, v121
	;; [unrolled: 1-line block ×4, first 2 shown]
	v_lshrrev_b32_e32 v62, 4, v120
	ds_read2_b32 v[120:121], v58 offset1:1
	ds_read2_b32 v[166:167], v72 offset1:1
	v_add_u32_e32 v72, 0x2110, v184
	v_and_b32_e32 v216, 0xf0f0f0f, v168
	v_and_b32_e32 v217, 0xf0f0f0f, v169
	s_waitcnt lgkmcnt(2)
	v_cvt_f32_ubyte0_e32 v156, v49
	v_cvt_f32_ubyte1_e32 v162, v49
	v_add3_u32 v49, v175, s17, v68
	ds_read2_b32 v[168:169], v72 offset1:1
	v_add_u32_e32 v72, 0x2118, v184
	v_and_b32_e32 v219, 0xf0f0f0f, v170
	v_and_b32_e32 v220, 0xf0f0f0f, v171
	ds_read2_b32 v[170:171], v72 offset1:1
	ds_read_u16 v76, v49 offset:26112
	ds_read_u16 v150, v49 offset:26120
	s_waitcnt lgkmcnt(5)
	v_lshrrev_b32_e32 v49, 4, v120
	v_and_b32_e32 v221, 0xf0f0f0f, v120
	v_and_b32_e32 v223, 0xf0f0f0f, v121
	s_waitcnt lgkmcnt(1)
	v_and_b32_e32 v234, 0xff, v76
	v_lshrrev_b16_e32 v253, 8, v76
	v_add3_u32 v76, v174, s17, v68
	v_add_u32_e32 v68, 0x3180, v184
	v_and_b32_e32 v246, 0xf0f0f0f, v49
	v_lshrrev_b32_e32 v49, 4, v121
	ds_read2_b32 v[120:121], v68 offset1:1
	v_mov_b32_e32 v48, 0
	v_mov_b32_e32 v53, 0
	v_mov_b32_e32 v58, 0
	v_mov_b32_e32 v68, 0
	s_waitcnt lgkmcnt(0)
	v_and_b32_e32 v248, 0xf0f0f0f, v120
	v_dot4c_i32_i8_e32 v48, v202, v16
	v_dot4c_i32_i8_e32 v53, v203, v16
	;; [unrolled: 1-line block ×4, first 2 shown]
	v_and_b32_e32 v207, 0xf0f0f0f, v121
	v_add_u32_e32 v16, 0x3188, v184
	v_dot4c_i32_i8_e32 v48, v201, v17
	v_dot4c_i32_i8_e32 v53, v206, v17
	v_dot4c_i32_i8_e32 v58, v223, v17
	v_dot4c_i32_i8_e32 v68, v207, v17
	ds_read2_b32 v[16:17], v16 offset1:1
	v_and_b32_e32 v231, 0xf0f0f0f, v166
	v_dot4c_i32_i8_e32 v48, v204, v18
	v_dot4c_i32_i8_e32 v53, v210, v18
	v_dot4c_i32_i8_e32 v58, v231, v18
	s_waitcnt lgkmcnt(0)
	v_and_b32_e32 v196, 0xf0f0f0f, v16
	v_and_b32_e32 v232, 0xf0f0f0f, v167
	v_dot4c_i32_i8_e32 v68, v196, v18
	v_and_b32_e32 v195, 0xf0f0f0f, v17
	v_add_u32_e32 v18, 0x3190, v184
	v_dot4c_i32_i8_e32 v48, v205, v19
	v_dot4c_i32_i8_e32 v53, v212, v19
	v_dot4c_i32_i8_e32 v58, v232, v19
	v_dot4c_i32_i8_e32 v68, v195, v19
	ds_read2_b32 v[18:19], v18 offset1:1
	v_and_b32_e32 v236, 0xf0f0f0f, v168
	v_dot4c_i32_i8_e32 v48, v208, v12
	v_dot4c_i32_i8_e32 v53, v216, v12
	v_dot4c_i32_i8_e32 v58, v236, v12
	s_waitcnt lgkmcnt(0)
	v_and_b32_e32 v197, 0xf0f0f0f, v18
	v_and_b32_e32 v238, 0xf0f0f0f, v169
	v_dot4c_i32_i8_e32 v68, v197, v12
	;; [unrolled: 15-line block ×3, first 2 shown]
	v_and_b32_e32 v200, 0xf0f0f0f, v13
	v_dot4c_i32_i8_e32 v48, v214, v15
	v_dot4c_i32_i8_e32 v53, v220, v15
	;; [unrolled: 1-line block ×4, first 2 shown]
	ds_read_u16 v14, v76 offset:26624
	ds_read_u16 v15, v76 offset:26632
	v_lshrrev_b32_e32 v76, 4, v120
	v_and_b32_e32 v215, 0xf0f0f0f, v54
	v_mov_b32_e32 v54, 0
	v_and_b32_e32 v222, 0xf0f0f0f, v62
	v_mov_b32_e32 v62, 0
	v_mov_b32_e32 v72, 0
	v_and_b32_e32 v191, 0xf0f0f0f, v76
	v_mov_b32_e32 v76, 0
	v_dot4c_i32_i8_e32 v54, v215, v8
	v_dot4c_i32_i8_e32 v62, v222, v8
	;; [unrolled: 1-line block ×4, first 2 shown]
	v_lshrrev_b32_e32 v8, 4, v121
	v_and_b32_e32 v249, 0xf0f0f0f, v49
	v_lshrrev_b32_e32 v49, 4, v166
	v_and_b32_e32 v194, 0xf0f0f0f, v8
	v_lshrrev_b32_e32 v8, 4, v16
	v_dot4c_i32_i8_e32 v54, v225, v9
	v_dot4c_i32_i8_e32 v62, v235, v9
	;; [unrolled: 1-line block ×3, first 2 shown]
	v_and_b32_e32 v250, 0xf0f0f0f, v49
	v_lshrrev_b32_e32 v49, 4, v167
	v_dot4c_i32_i8_e32 v76, v194, v9
	v_and_b32_e32 v193, 0xf0f0f0f, v8
	v_lshrrev_b32_e32 v8, 4, v17
	v_dot4c_i32_i8_e32 v54, v226, v10
	v_dot4c_i32_i8_e32 v62, v237, v10
	;; [unrolled: 1-line block ×3, first 2 shown]
	v_and_b32_e32 v251, 0xf0f0f0f, v49
	v_lshrrev_b32_e32 v49, 4, v168
	v_dot4c_i32_i8_e32 v76, v193, v10
	v_and_b32_e32 v187, 0xf0f0f0f, v8
	v_lshrrev_b32_e32 v8, 4, v18
	v_dot4c_i32_i8_e32 v54, v227, v11
	v_dot4c_i32_i8_e32 v62, v239, v11
	v_dot4c_i32_i8_e32 v72, v251, v11
	v_and_b32_e32 v252, 0xf0f0f0f, v49
	v_dot4c_i32_i8_e32 v76, v187, v11
	v_and_b32_e32 v188, 0xf0f0f0f, v8
	v_dot4c_i32_i8_e32 v54, v228, v4
	v_dot4c_i32_i8_e32 v62, v241, v4
	;; [unrolled: 1-line block ×3, first 2 shown]
	v_lshrrev_b32_e32 v49, 4, v169
	v_dot4c_i32_i8_e32 v76, v188, v4
	v_lshrrev_b32_e32 v4, 4, v19
	v_and_b32_e32 v254, 0xf0f0f0f, v49
	v_lshrrev_b32_e32 v49, 4, v170
	v_and_b32_e32 v189, 0xf0f0f0f, v4
	v_lshrrev_b32_e32 v4, 4, v12
	v_dot4c_i32_i8_e32 v54, v229, v5
	v_dot4c_i32_i8_e32 v62, v244, v5
	;; [unrolled: 1-line block ×3, first 2 shown]
	v_and_b32_e32 v255, 0xf0f0f0f, v49
	v_lshrrev_b32_e32 v49, 4, v171
	v_dot4c_i32_i8_e32 v76, v189, v5
	v_and_b32_e32 v190, 0xf0f0f0f, v4
	v_lshrrev_b32_e32 v4, 4, v13
	v_dot4c_i32_i8_e32 v54, v230, v6
	v_dot4c_i32_i8_e32 v62, v245, v6
	;; [unrolled: 1-line block ×3, first 2 shown]
	v_and_b32_e32 v49, 0xf0f0f0f, v49
	v_dot4c_i32_i8_e32 v76, v190, v6
	v_and_b32_e32 v192, 0xf0f0f0f, v4
	v_dot4c_i32_i8_e32 v54, v233, v7
	v_dot4c_i32_i8_e32 v62, v247, v7
	v_cvt_f32_ubyte0_e32 v160, v150
	v_dot4c_i32_i8_e32 v72, v49, v7
	v_cvt_f32_ubyte1_e32 v164, v150
	s_waitcnt lgkmcnt(1)
	v_and_b32_e32 v186, 0xff, v14
	s_waitcnt lgkmcnt(0)
	v_cvt_f32_ubyte0_e32 v152, v15
	v_dot4c_i32_i8_e32 v76, v192, v7
	v_lshrrev_b16_e32 v185, 8, v14
	v_cvt_f32_ubyte1_e32 v150, v15
	ds_read_b128 v[16:19], v163 offset:1024
	ds_read_b128 v[12:15], v163 offset:1040
	;; [unrolled: 1-line block ×4, first 2 shown]
	v_mov_b32_e32 v120, 0
	s_waitcnt lgkmcnt(3)
	v_dot4c_i32_i8_e32 v120, v202, v16
	v_mov_b32_e32 v178, 0
	v_dot4c_i32_i8_e32 v120, v201, v17
	s_waitcnt lgkmcnt(1)
	v_dot4c_i32_i8_e32 v178, v215, v8
	v_dot4c_i32_i8_e32 v120, v204, v18
	;; [unrolled: 1-line block ×8, first 2 shown]
	s_waitcnt lgkmcnt(0)
	v_dot4c_i32_i8_e32 v178, v228, v4
	v_dot4c_i32_i8_e32 v120, v213, v14
	;; [unrolled: 1-line block ×6, first 2 shown]
	v_cvt_f32_f16_e32 v169, v2
	v_cvt_f32_f16_e32 v168, v0
	v_cvt_f32_f16_sdwa v171, v2 dst_sel:DWORD dst_unused:UNUSED_PAD src0_sel:WORD_1
	v_cvt_f32_f16_sdwa v170, v0 dst_sel:DWORD dst_unused:UNUSED_PAD src0_sel:WORD_1
	v_cvt_f32_f16_e32 v166, v1
	v_cvt_f32_f16_sdwa v2, v1 dst_sel:DWORD dst_unused:UNUSED_PAD src0_sel:WORD_1
	v_mul_lo_u32 v0, v48, v211
	v_mul_lo_u32 v1, v120, v211
	v_cvt_f32_f16_e32 v167, v3
	v_cvt_f32_f16_sdwa v3, v3 dst_sel:DWORD dst_unused:UNUSED_PAD src0_sel:WORD_1
	v_cvt_f32_i32_e32 v1, v1
	v_cvt_f32_i32_e32 v0, v0
	v_mul_lo_u32 v48, v54, v224
	v_mul_lo_u32 v54, v178, v224
	v_cvt_f32_i32_e32 v179, v54
	v_cvt_f32_i32_e32 v178, v48
	v_pk_fma_f32 v[120:121], v[154:155], v[170:171], 0 op_sel_hi:[0,1,0]
	v_pk_fma_f32 v[0:1], v[168:169], v[0:1], 0 op_sel_hi:[1,1,0]
	;; [unrolled: 1-line block ×3, first 2 shown]
	v_pk_fma_f32 v[0:1], v[166:167], v[178:179], v[0:1]
	v_pk_mul_f32 v[120:121], v[120:121], v[136:137]
	v_mov_b32_e32 v48, 0
	v_pk_fma_f32 v[0:1], v[0:1], v[134:135], v[120:121] neg_lo:[0,0,1] neg_hi:[0,0,1]
	v_dot4c_i32_i8_e32 v48, v222, v8
	v_pk_add_f32 v[88:89], v[88:89], v[0:1]
	v_mov_b32_e32 v0, 0
	v_dot4c_i32_i8_e32 v0, v203, v16
	v_dot4c_i32_i8_e32 v0, v206, v17
	;; [unrolled: 1-line block ×15, first 2 shown]
	v_mul_lo_u32 v53, v53, v218
	v_mul_lo_u32 v0, v0, v218
	v_cvt_f32_i32_e32 v1, v0
	v_cvt_f32_i32_e32 v0, v53
	v_mul_lo_u32 v53, v62, v242
	v_mul_lo_u32 v48, v48, v242
	v_cvt_f32_i32_e32 v179, v48
	v_cvt_f32_i32_e32 v178, v53
	v_pk_fma_f32 v[120:121], v[156:157], v[170:171], 0 op_sel_hi:[0,1,0]
	v_pk_fma_f32 v[0:1], v[168:169], v[0:1], 0 op_sel_hi:[1,1,0]
	v_pk_fma_f32 v[120:121], v[162:163], v[2:3], v[120:121] op_sel_hi:[0,1,1]
	v_pk_fma_f32 v[0:1], v[166:167], v[178:179], v[0:1]
	v_pk_mul_f32 v[120:121], v[120:121], v[140:141]
	v_mov_b32_e32 v48, 0
	v_pk_fma_f32 v[0:1], v[0:1], v[138:139], v[120:121] neg_lo:[0,0,1] neg_hi:[0,0,1]
	v_dot4c_i32_i8_e32 v48, v246, v8
	v_pk_add_f32 v[84:85], v[84:85], v[0:1]
	v_mov_b32_e32 v0, 0
	v_dot4c_i32_i8_e32 v0, v221, v16
	v_dot4c_i32_i8_e32 v0, v223, v17
	;; [unrolled: 1-line block ×15, first 2 shown]
	v_mul_lo_u32 v53, v58, v234
	v_mul_lo_u32 v0, v0, v234
	v_cvt_f32_i32_e32 v1, v0
	v_cvt_f32_i32_e32 v0, v53
	v_mul_lo_u32 v53, v72, v253
	v_mul_lo_u32 v48, v48, v253
	v_cvt_f32_i32_e32 v179, v48
	v_cvt_f32_i32_e32 v178, v53
	v_pk_fma_f32 v[120:121], v[160:161], v[170:171], 0 op_sel_hi:[0,1,0]
	v_pk_fma_f32 v[0:1], v[168:169], v[0:1], 0 op_sel_hi:[1,1,0]
	;; [unrolled: 1-line block ×3, first 2 shown]
	v_pk_fma_f32 v[0:1], v[166:167], v[178:179], v[0:1]
	v_pk_mul_f32 v[120:121], v[120:121], v[144:145]
	v_mov_b32_e32 v58, 0
	v_pk_fma_f32 v[0:1], v[0:1], v[142:143], v[120:121] neg_lo:[0,0,1] neg_hi:[0,0,1]
	v_mov_b32_e32 v62, 0
	v_pk_add_f32 v[66:67], v[66:67], v[0:1]
	v_mov_b32_e32 v0, 0
	v_dot4c_i32_i8_e32 v0, v248, v16
	v_dot4c_i32_i8_e32 v0, v207, v17
	;; [unrolled: 1-line block ×5, first 2 shown]
	v_mov_b32_e32 v12, 0
	v_dot4c_i32_i8_e32 v12, v191, v8
	v_dot4c_i32_i8_e32 v12, v194, v9
	;; [unrolled: 1-line block ×11, first 2 shown]
	v_mul_lo_u32 v4, v68, v186
	v_mul_lo_u32 v0, v0, v186
	v_cvt_f32_i32_e32 v1, v0
	v_cvt_f32_i32_e32 v0, v4
	v_mul_lo_u32 v6, v76, v185
	v_mul_lo_u32 v7, v12, v185
	v_cvt_f32_i32_e32 v7, v7
	v_cvt_f32_i32_e32 v6, v6
	v_pk_fma_f32 v[4:5], v[152:153], v[170:171], 0 op_sel_hi:[0,1,0]
	v_pk_fma_f32 v[0:1], v[168:169], v[0:1], 0 op_sel_hi:[1,1,0]
	;; [unrolled: 1-line block ×3, first 2 shown]
	v_pk_fma_f32 v[0:1], v[166:167], v[6:7], v[0:1]
	v_pk_mul_f32 v[2:3], v[2:3], v[148:149]
	v_mov_b32_e32 v68, 0
	v_pk_fma_f32 v[0:1], v[0:1], v[146:147], v[2:3] neg_lo:[0,0,1] neg_hi:[0,0,1]
	v_mov_b32_e32 v72, 0
	v_pk_add_f32 v[50:51], v[50:51], v[0:1]
	ds_read_b128 v[8:11], v163 offset:2048
	ds_read_b128 v[12:15], v163 offset:2064
	ds_read2_b64 v[16:19], v165 offset0:32 offset1:48
	ds_read_b128 v[4:7], v163 offset:2080
	ds_read_b128 v[0:3], v163 offset:2096
	v_mov_b32_e32 v54, 0
	v_mov_b32_e32 v76, 0
	;; [unrolled: 1-line block ×4, first 2 shown]
	s_waitcnt lgkmcnt(4)
	v_dot4c_i32_i8_e32 v58, v202, v8
	s_waitcnt lgkmcnt(1)
	v_dot4c_i32_i8_e32 v62, v215, v4
	v_dot4c_i32_i8_e32 v68, v203, v8
	;; [unrolled: 1-line block ×32, first 2 shown]
	s_waitcnt lgkmcnt(0)
	v_dot4c_i32_i8_e32 v62, v228, v0
	v_dot4c_i32_i8_e32 v68, v216, v12
	;; [unrolled: 1-line block ×31, first 2 shown]
	ds_read_b128 v[12:15], v163 offset:3072
	ds_read_b128 v[8:11], v163 offset:3088
	;; [unrolled: 1-line block ×4, first 2 shown]
	v_mov_b32_e32 v120, 0
	s_waitcnt lgkmcnt(3)
	v_dot4c_i32_i8_e32 v120, v202, v12
	v_mov_b32_e32 v178, 0
	v_dot4c_i32_i8_e32 v120, v201, v13
	s_waitcnt lgkmcnt(1)
	v_dot4c_i32_i8_e32 v178, v215, v4
	v_dot4c_i32_i8_e32 v120, v204, v14
	;; [unrolled: 1-line block ×8, first 2 shown]
	s_waitcnt lgkmcnt(0)
	v_dot4c_i32_i8_e32 v178, v228, v0
	v_dot4c_i32_i8_e32 v120, v213, v10
	;; [unrolled: 1-line block ×6, first 2 shown]
	v_cvt_f32_f16_e32 v169, v18
	v_cvt_f32_f16_e32 v168, v16
	v_cvt_f32_f16_sdwa v171, v18 dst_sel:DWORD dst_unused:UNUSED_PAD src0_sel:WORD_1
	v_cvt_f32_f16_sdwa v170, v16 dst_sel:DWORD dst_unused:UNUSED_PAD src0_sel:WORD_1
	v_cvt_f32_f16_e32 v166, v17
	v_cvt_f32_f16_sdwa v18, v17 dst_sel:DWORD dst_unused:UNUSED_PAD src0_sel:WORD_1
	v_mul_lo_u32 v16, v58, v211
	v_mul_lo_u32 v17, v120, v211
	v_cvt_f32_f16_e32 v167, v19
	v_cvt_f32_f16_sdwa v19, v19 dst_sel:DWORD dst_unused:UNUSED_PAD src0_sel:WORD_1
	v_cvt_f32_i32_e32 v17, v17
	v_cvt_f32_i32_e32 v16, v16
	v_mul_lo_u32 v58, v62, v224
	v_mul_lo_u32 v62, v178, v224
	v_cvt_f32_i32_e32 v179, v62
	v_cvt_f32_i32_e32 v178, v58
	v_pk_fma_f32 v[120:121], v[154:155], v[170:171], 0 op_sel_hi:[0,1,0]
	v_pk_fma_f32 v[16:17], v[16:17], v[168:169], 0 op_sel_hi:[1,1,0]
	;; [unrolled: 1-line block ×3, first 2 shown]
	v_pk_fma_f32 v[16:17], v[178:179], v[166:167], v[16:17]
	v_pk_mul_f32 v[120:121], v[120:121], v[136:137]
	v_mov_b32_e32 v58, 0
	v_pk_fma_f32 v[16:17], v[16:17], v[134:135], v[120:121] neg_lo:[0,0,1] neg_hi:[0,0,1]
	v_dot4c_i32_i8_e32 v58, v222, v4
	v_pk_add_f32 v[42:43], v[42:43], v[16:17]
	v_mov_b32_e32 v16, 0
	v_dot4c_i32_i8_e32 v16, v203, v12
	v_dot4c_i32_i8_e32 v16, v206, v13
	v_dot4c_i32_i8_e32 v16, v210, v14
	v_dot4c_i32_i8_e32 v58, v235, v5
	v_dot4c_i32_i8_e32 v16, v212, v15
	v_dot4c_i32_i8_e32 v58, v237, v6
	v_dot4c_i32_i8_e32 v16, v216, v8
	v_dot4c_i32_i8_e32 v58, v239, v7
	v_dot4c_i32_i8_e32 v16, v217, v9
	v_dot4c_i32_i8_e32 v58, v241, v0
	v_dot4c_i32_i8_e32 v16, v219, v10
	v_dot4c_i32_i8_e32 v58, v244, v1
	v_dot4c_i32_i8_e32 v16, v220, v11
	v_dot4c_i32_i8_e32 v58, v245, v2
	v_dot4c_i32_i8_e32 v58, v247, v3
	v_mul_lo_u32 v62, v68, v218
	v_mul_lo_u32 v16, v16, v218
	v_cvt_f32_i32_e32 v17, v16
	v_cvt_f32_i32_e32 v16, v62
	v_mul_lo_u32 v62, v72, v242
	v_mul_lo_u32 v58, v58, v242
	v_cvt_f32_i32_e32 v179, v58
	v_cvt_f32_i32_e32 v178, v62
	v_pk_fma_f32 v[120:121], v[156:157], v[170:171], 0 op_sel_hi:[0,1,0]
	v_pk_fma_f32 v[16:17], v[16:17], v[168:169], 0 op_sel_hi:[1,1,0]
	;; [unrolled: 1-line block ×3, first 2 shown]
	v_pk_fma_f32 v[16:17], v[178:179], v[166:167], v[16:17]
	v_pk_mul_f32 v[120:121], v[120:121], v[140:141]
	v_mov_b32_e32 v58, 0
	v_pk_fma_f32 v[16:17], v[16:17], v[138:139], v[120:121] neg_lo:[0,0,1] neg_hi:[0,0,1]
	v_dot4c_i32_i8_e32 v58, v246, v4
	v_pk_add_f32 v[40:41], v[40:41], v[16:17]
	v_mov_b32_e32 v16, 0
	v_dot4c_i32_i8_e32 v16, v221, v12
	v_dot4c_i32_i8_e32 v16, v223, v13
	;; [unrolled: 1-line block ×15, first 2 shown]
	v_mul_lo_u32 v54, v54, v234
	v_mul_lo_u32 v16, v16, v234
	v_cvt_f32_i32_e32 v17, v16
	v_cvt_f32_i32_e32 v16, v54
	v_mul_lo_u32 v54, v76, v253
	v_mul_lo_u32 v58, v58, v253
	v_cvt_f32_i32_e32 v179, v58
	v_cvt_f32_i32_e32 v178, v54
	v_pk_fma_f32 v[120:121], v[160:161], v[170:171], 0 op_sel_hi:[0,1,0]
	v_pk_fma_f32 v[16:17], v[16:17], v[168:169], 0 op_sel_hi:[1,1,0]
	;; [unrolled: 1-line block ×3, first 2 shown]
	v_pk_fma_f32 v[16:17], v[178:179], v[166:167], v[16:17]
	v_pk_mul_f32 v[120:121], v[120:121], v[144:145]
	v_mov_b32_e32 v62, 0
	v_pk_fma_f32 v[16:17], v[16:17], v[142:143], v[120:121] neg_lo:[0,0,1] neg_hi:[0,0,1]
	v_mov_b32_e32 v68, 0
	v_pk_add_f32 v[38:39], v[38:39], v[16:17]
	v_mov_b32_e32 v16, 0
	v_dot4c_i32_i8_e32 v16, v248, v12
	v_dot4c_i32_i8_e32 v16, v207, v13
	;; [unrolled: 1-line block ×5, first 2 shown]
	v_mov_b32_e32 v8, 0
	v_dot4c_i32_i8_e32 v8, v191, v4
	v_dot4c_i32_i8_e32 v8, v194, v5
	;; [unrolled: 1-line block ×11, first 2 shown]
	v_mul_lo_u32 v0, v48, v186
	v_mul_lo_u32 v1, v16, v186
	v_cvt_f32_i32_e32 v1, v1
	v_cvt_f32_i32_e32 v0, v0
	v_mul_lo_u32 v4, v53, v185
	v_mul_lo_u32 v5, v8, v185
	v_cvt_f32_i32_e32 v5, v5
	v_cvt_f32_i32_e32 v4, v4
	v_pk_fma_f32 v[2:3], v[152:153], v[170:171], 0 op_sel_hi:[0,1,0]
	v_pk_fma_f32 v[0:1], v[0:1], v[168:169], 0 op_sel_hi:[1,1,0]
	;; [unrolled: 1-line block ×3, first 2 shown]
	v_pk_fma_f32 v[0:1], v[4:5], v[166:167], v[0:1]
	v_pk_mul_f32 v[2:3], v[2:3], v[148:149]
	v_mov_b32_e32 v72, 0
	v_pk_fma_f32 v[0:1], v[0:1], v[146:147], v[2:3] neg_lo:[0,0,1] neg_hi:[0,0,1]
	v_mov_b32_e32 v76, 0
	v_pk_add_f32 v[36:37], v[36:37], v[0:1]
	ds_read_b128 v[12:15], v163 offset:4096
	ds_read_b128 v[8:11], v163 offset:4112
	ds_read2_b64 v[16:19], v165 offset0:64 offset1:80
	ds_read_b128 v[4:7], v163 offset:4128
	ds_read_b128 v[0:3], v163 offset:4144
	v_mov_b32_e32 v54, 0
	v_mov_b32_e32 v58, 0
	;; [unrolled: 1-line block ×4, first 2 shown]
	s_waitcnt lgkmcnt(4)
	v_dot4c_i32_i8_e32 v62, v202, v12
	s_waitcnt lgkmcnt(1)
	v_dot4c_i32_i8_e32 v68, v215, v4
	v_dot4c_i32_i8_e32 v72, v203, v12
	;; [unrolled: 1-line block ×32, first 2 shown]
	s_waitcnt lgkmcnt(0)
	v_dot4c_i32_i8_e32 v68, v228, v0
	v_dot4c_i32_i8_e32 v72, v216, v8
	;; [unrolled: 1-line block ×31, first 2 shown]
	ds_read_b128 v[12:15], v163 offset:5120
	ds_read_b128 v[8:11], v163 offset:5136
	;; [unrolled: 1-line block ×4, first 2 shown]
	v_mov_b32_e32 v120, 0
	s_waitcnt lgkmcnt(3)
	v_dot4c_i32_i8_e32 v120, v202, v12
	v_mov_b32_e32 v178, 0
	v_dot4c_i32_i8_e32 v120, v201, v13
	s_waitcnt lgkmcnt(1)
	v_dot4c_i32_i8_e32 v178, v215, v4
	v_dot4c_i32_i8_e32 v120, v204, v14
	;; [unrolled: 1-line block ×8, first 2 shown]
	s_waitcnt lgkmcnt(0)
	v_dot4c_i32_i8_e32 v178, v228, v0
	v_dot4c_i32_i8_e32 v120, v213, v10
	;; [unrolled: 1-line block ×6, first 2 shown]
	v_cvt_f32_f16_e32 v169, v18
	v_cvt_f32_f16_e32 v168, v16
	v_cvt_f32_f16_sdwa v171, v18 dst_sel:DWORD dst_unused:UNUSED_PAD src0_sel:WORD_1
	v_cvt_f32_f16_sdwa v170, v16 dst_sel:DWORD dst_unused:UNUSED_PAD src0_sel:WORD_1
	v_cvt_f32_f16_e32 v166, v17
	v_cvt_f32_f16_sdwa v18, v17 dst_sel:DWORD dst_unused:UNUSED_PAD src0_sel:WORD_1
	v_mul_lo_u32 v16, v62, v211
	v_mul_lo_u32 v17, v120, v211
	v_cvt_f32_f16_e32 v167, v19
	v_cvt_f32_f16_sdwa v19, v19 dst_sel:DWORD dst_unused:UNUSED_PAD src0_sel:WORD_1
	v_cvt_f32_i32_e32 v17, v17
	v_cvt_f32_i32_e32 v16, v16
	v_mul_lo_u32 v62, v68, v224
	v_mul_lo_u32 v68, v178, v224
	v_cvt_f32_i32_e32 v179, v68
	v_cvt_f32_i32_e32 v178, v62
	v_pk_fma_f32 v[120:121], v[154:155], v[170:171], 0 op_sel_hi:[0,1,0]
	v_pk_fma_f32 v[16:17], v[16:17], v[168:169], 0 op_sel_hi:[1,1,0]
	v_pk_fma_f32 v[120:121], v[158:159], v[18:19], v[120:121] op_sel_hi:[0,1,1]
	v_pk_fma_f32 v[16:17], v[178:179], v[166:167], v[16:17]
	v_pk_mul_f32 v[120:121], v[120:121], v[136:137]
	v_mov_b32_e32 v62, 0
	v_pk_fma_f32 v[16:17], v[16:17], v[134:135], v[120:121] neg_lo:[0,0,1] neg_hi:[0,0,1]
	v_dot4c_i32_i8_e32 v62, v222, v4
	v_pk_add_f32 v[34:35], v[34:35], v[16:17]
	v_mov_b32_e32 v16, 0
	v_dot4c_i32_i8_e32 v16, v203, v12
	v_dot4c_i32_i8_e32 v16, v206, v13
	;; [unrolled: 1-line block ×15, first 2 shown]
	v_mul_lo_u32 v68, v72, v218
	v_mul_lo_u32 v16, v16, v218
	v_cvt_f32_i32_e32 v17, v16
	v_cvt_f32_i32_e32 v16, v68
	v_mul_lo_u32 v68, v76, v242
	v_mul_lo_u32 v62, v62, v242
	v_cvt_f32_i32_e32 v179, v62
	v_cvt_f32_i32_e32 v178, v68
	v_pk_fma_f32 v[120:121], v[156:157], v[170:171], 0 op_sel_hi:[0,1,0]
	v_pk_fma_f32 v[16:17], v[16:17], v[168:169], 0 op_sel_hi:[1,1,0]
	;; [unrolled: 1-line block ×3, first 2 shown]
	v_pk_fma_f32 v[16:17], v[178:179], v[166:167], v[16:17]
	v_pk_mul_f32 v[120:121], v[120:121], v[140:141]
	v_mov_b32_e32 v62, 0
	v_pk_fma_f32 v[16:17], v[16:17], v[138:139], v[120:121] neg_lo:[0,0,1] neg_hi:[0,0,1]
	v_dot4c_i32_i8_e32 v62, v246, v4
	v_pk_add_f32 v[32:33], v[32:33], v[16:17]
	v_mov_b32_e32 v16, 0
	v_dot4c_i32_i8_e32 v16, v221, v12
	v_dot4c_i32_i8_e32 v16, v223, v13
	v_dot4c_i32_i8_e32 v16, v231, v14
	v_dot4c_i32_i8_e32 v62, v249, v5
	v_dot4c_i32_i8_e32 v16, v232, v15
	v_dot4c_i32_i8_e32 v62, v250, v6
	v_dot4c_i32_i8_e32 v16, v236, v8
	v_dot4c_i32_i8_e32 v62, v251, v7
	v_dot4c_i32_i8_e32 v16, v238, v9
	v_dot4c_i32_i8_e32 v62, v252, v0
	v_dot4c_i32_i8_e32 v16, v240, v10
	v_dot4c_i32_i8_e32 v62, v254, v1
	v_dot4c_i32_i8_e32 v16, v243, v11
	v_dot4c_i32_i8_e32 v62, v255, v2
	v_dot4c_i32_i8_e32 v62, v49, v3
	v_mul_lo_u32 v54, v54, v234
	v_mul_lo_u32 v16, v16, v234
	v_cvt_f32_i32_e32 v17, v16
	v_cvt_f32_i32_e32 v16, v54
	v_mul_lo_u32 v54, v58, v253
	v_mul_lo_u32 v58, v62, v253
	v_cvt_f32_i32_e32 v179, v58
	v_cvt_f32_i32_e32 v178, v54
	v_pk_fma_f32 v[120:121], v[160:161], v[170:171], 0 op_sel_hi:[0,1,0]
	v_pk_fma_f32 v[16:17], v[16:17], v[168:169], 0 op_sel_hi:[1,1,0]
	;; [unrolled: 1-line block ×3, first 2 shown]
	v_pk_fma_f32 v[16:17], v[178:179], v[166:167], v[16:17]
	v_pk_mul_f32 v[120:121], v[120:121], v[144:145]
	v_mov_b32_e32 v72, 0
	v_pk_fma_f32 v[16:17], v[16:17], v[142:143], v[120:121] neg_lo:[0,0,1] neg_hi:[0,0,1]
	v_mov_b32_e32 v76, 0
	v_pk_add_f32 v[30:31], v[30:31], v[16:17]
	v_mov_b32_e32 v16, 0
	v_dot4c_i32_i8_e32 v16, v248, v12
	v_dot4c_i32_i8_e32 v16, v207, v13
	;; [unrolled: 1-line block ×5, first 2 shown]
	v_mov_b32_e32 v8, 0
	v_dot4c_i32_i8_e32 v8, v191, v4
	v_dot4c_i32_i8_e32 v8, v194, v5
	;; [unrolled: 1-line block ×11, first 2 shown]
	v_mul_lo_u32 v0, v48, v186
	v_mul_lo_u32 v1, v16, v186
	v_cvt_f32_i32_e32 v1, v1
	v_cvt_f32_i32_e32 v0, v0
	v_mul_lo_u32 v4, v53, v185
	v_mul_lo_u32 v5, v8, v185
	v_cvt_f32_i32_e32 v5, v5
	v_cvt_f32_i32_e32 v4, v4
	v_pk_fma_f32 v[2:3], v[152:153], v[170:171], 0 op_sel_hi:[0,1,0]
	v_pk_fma_f32 v[0:1], v[0:1], v[168:169], 0 op_sel_hi:[1,1,0]
	;; [unrolled: 1-line block ×3, first 2 shown]
	v_pk_fma_f32 v[0:1], v[4:5], v[166:167], v[0:1]
	v_pk_mul_f32 v[2:3], v[2:3], v[148:149]
	v_mov_b32_e32 v62, 0
	v_pk_fma_f32 v[0:1], v[0:1], v[146:147], v[2:3] neg_lo:[0,0,1] neg_hi:[0,0,1]
	v_mov_b32_e32 v68, 0
	v_pk_add_f32 v[28:29], v[28:29], v[0:1]
	ds_read_b128 v[0:3], v163 offset:6144
	ds_read_b128 v[4:7], v163 offset:6160
	ds_read2_b64 v[16:19], v165 offset0:96 offset1:112
	ds_read_b128 v[8:11], v163 offset:6176
	ds_read_b128 v[12:15], v163 offset:6192
	v_mov_b32_e32 v54, 0
	v_mov_b32_e32 v58, 0
	;; [unrolled: 1-line block ×4, first 2 shown]
	s_waitcnt lgkmcnt(4)
	v_dot4c_i32_i8_e32 v72, v202, v0
	s_waitcnt lgkmcnt(1)
	v_dot4c_i32_i8_e32 v76, v215, v8
	v_dot4c_i32_i8_e32 v62, v203, v0
	;; [unrolled: 1-line block ×32, first 2 shown]
	s_waitcnt lgkmcnt(0)
	v_dot4c_i32_i8_e32 v76, v228, v12
	v_dot4c_i32_i8_e32 v62, v216, v4
	;; [unrolled: 1-line block ×31, first 2 shown]
	ds_read_b128 v[8:11], v163 offset:7168
	ds_read_b128 v[12:15], v163 offset:7184
	;; [unrolled: 1-line block ×4, first 2 shown]
	v_mov_b32_e32 v120, 0
	s_waitcnt lgkmcnt(3)
	v_dot4c_i32_i8_e32 v120, v202, v8
	v_mov_b32_e32 v178, 0
	v_dot4c_i32_i8_e32 v120, v201, v9
	s_waitcnt lgkmcnt(1)
	v_dot4c_i32_i8_e32 v178, v215, v4
	v_dot4c_i32_i8_e32 v120, v204, v10
	;; [unrolled: 1-line block ×8, first 2 shown]
	s_waitcnt lgkmcnt(0)
	v_dot4c_i32_i8_e32 v178, v228, v0
	v_dot4c_i32_i8_e32 v120, v213, v14
	;; [unrolled: 1-line block ×6, first 2 shown]
	v_cvt_f32_f16_e32 v171, v18
	v_cvt_f32_f16_e32 v170, v16
	v_cvt_f32_f16_sdwa v169, v18 dst_sel:DWORD dst_unused:UNUSED_PAD src0_sel:WORD_1
	v_cvt_f32_f16_sdwa v168, v16 dst_sel:DWORD dst_unused:UNUSED_PAD src0_sel:WORD_1
	v_cvt_f32_f16_e32 v166, v17
	v_cvt_f32_f16_sdwa v18, v17 dst_sel:DWORD dst_unused:UNUSED_PAD src0_sel:WORD_1
	v_mul_lo_u32 v16, v72, v211
	v_mul_lo_u32 v17, v120, v211
	v_cvt_f32_f16_e32 v167, v19
	v_cvt_f32_f16_sdwa v19, v19 dst_sel:DWORD dst_unused:UNUSED_PAD src0_sel:WORD_1
	v_cvt_f32_i32_e32 v17, v17
	v_cvt_f32_i32_e32 v16, v16
	v_mul_lo_u32 v72, v76, v224
	v_mul_lo_u32 v76, v178, v224
	v_cvt_f32_i32_e32 v179, v76
	v_cvt_f32_i32_e32 v178, v72
	v_pk_fma_f32 v[120:121], v[154:155], v[168:169], 0 op_sel_hi:[0,1,0]
	v_pk_fma_f32 v[16:17], v[16:17], v[170:171], 0 op_sel_hi:[1,1,0]
	;; [unrolled: 1-line block ×3, first 2 shown]
	v_pk_fma_f32 v[16:17], v[178:179], v[166:167], v[16:17]
	v_pk_mul_f32 v[120:121], v[120:121], v[136:137]
	v_mov_b32_e32 v72, 0
	v_pk_fma_f32 v[16:17], v[16:17], v[134:135], v[120:121] neg_lo:[0,0,1] neg_hi:[0,0,1]
	v_dot4c_i32_i8_e32 v72, v222, v4
	v_pk_add_f32 v[26:27], v[26:27], v[16:17]
	v_mov_b32_e32 v16, 0
	v_dot4c_i32_i8_e32 v16, v203, v8
	v_dot4c_i32_i8_e32 v16, v206, v9
	v_dot4c_i32_i8_e32 v16, v210, v10
	v_dot4c_i32_i8_e32 v72, v235, v5
	v_dot4c_i32_i8_e32 v16, v212, v11
	v_dot4c_i32_i8_e32 v72, v237, v6
	v_dot4c_i32_i8_e32 v16, v216, v12
	v_dot4c_i32_i8_e32 v72, v239, v7
	v_dot4c_i32_i8_e32 v16, v217, v13
	v_dot4c_i32_i8_e32 v72, v241, v0
	v_dot4c_i32_i8_e32 v16, v219, v14
	v_dot4c_i32_i8_e32 v72, v244, v1
	v_dot4c_i32_i8_e32 v16, v220, v15
	v_dot4c_i32_i8_e32 v72, v245, v2
	v_dot4c_i32_i8_e32 v72, v247, v3
	v_mul_lo_u32 v62, v62, v218
	v_mul_lo_u32 v16, v16, v218
	v_cvt_f32_i32_e32 v17, v16
	v_cvt_f32_i32_e32 v16, v62
	v_mul_lo_u32 v62, v68, v242
	v_mul_lo_u32 v68, v72, v242
	v_cvt_f32_i32_e32 v179, v68
	v_cvt_f32_i32_e32 v178, v62
	v_pk_fma_f32 v[120:121], v[156:157], v[168:169], 0 op_sel_hi:[0,1,0]
	v_pk_fma_f32 v[16:17], v[16:17], v[170:171], 0 op_sel_hi:[1,1,0]
	;; [unrolled: 1-line block ×3, first 2 shown]
	v_pk_fma_f32 v[16:17], v[178:179], v[166:167], v[16:17]
	v_pk_mul_f32 v[120:121], v[120:121], v[140:141]
	v_mov_b32_e32 v62, 0
	v_pk_fma_f32 v[16:17], v[16:17], v[138:139], v[120:121] neg_lo:[0,0,1] neg_hi:[0,0,1]
	v_dot4c_i32_i8_e32 v62, v246, v4
	v_pk_add_f32 v[24:25], v[24:25], v[16:17]
	v_mov_b32_e32 v16, 0
	v_dot4c_i32_i8_e32 v16, v221, v8
	v_dot4c_i32_i8_e32 v16, v223, v9
	;; [unrolled: 1-line block ×15, first 2 shown]
	v_mul_lo_u32 v49, v54, v234
	v_mul_lo_u32 v16, v16, v234
	v_cvt_f32_i32_e32 v17, v16
	v_cvt_f32_i32_e32 v16, v49
	v_mul_lo_u32 v49, v58, v253
	v_mul_lo_u32 v54, v62, v253
	v_cvt_f32_i32_e32 v179, v54
	v_cvt_f32_i32_e32 v178, v49
	v_pk_fma_f32 v[120:121], v[160:161], v[168:169], 0 op_sel_hi:[0,1,0]
	v_pk_fma_f32 v[16:17], v[16:17], v[170:171], 0 op_sel_hi:[1,1,0]
	;; [unrolled: 1-line block ×3, first 2 shown]
	v_pk_fma_f32 v[16:17], v[178:179], v[166:167], v[16:17]
	v_pk_mul_f32 v[120:121], v[120:121], v[144:145]
	s_add_i32 s4, s4, 8
	v_pk_fma_f32 v[16:17], v[16:17], v[142:143], v[120:121] neg_lo:[0,0,1] neg_hi:[0,0,1]
	s_add_i32 s17, s9, 8
	v_pk_add_f32 v[22:23], v[22:23], v[16:17]
	v_mov_b32_e32 v16, 0
	v_dot4c_i32_i8_e32 v16, v248, v8
	v_mov_b32_e32 v8, 0
	v_dot4c_i32_i8_e32 v16, v207, v9
	v_dot4c_i32_i8_e32 v8, v191, v4
	;; [unrolled: 1-line block ×15, first 2 shown]
	v_mul_lo_u32 v0, v48, v186
	v_mul_lo_u32 v1, v16, v186
	v_cvt_f32_i32_e32 v1, v1
	v_cvt_f32_i32_e32 v0, v0
	v_mul_lo_u32 v4, v53, v185
	v_mul_lo_u32 v5, v8, v185
	v_cvt_f32_i32_e32 v5, v5
	v_cvt_f32_i32_e32 v4, v4
	v_pk_fma_f32 v[2:3], v[152:153], v[168:169], 0 op_sel_hi:[0,1,0]
	v_pk_fma_f32 v[0:1], v[0:1], v[170:171], 0 op_sel_hi:[1,1,0]
	;; [unrolled: 1-line block ×3, first 2 shown]
	v_pk_fma_f32 v[0:1], v[4:5], v[166:167], v[0:1]
	v_pk_mul_f32 v[2:3], v[2:3], v[148:149]
	s_add_i32 s9, s9, 16
	v_pk_fma_f32 v[0:1], v[0:1], v[146:147], v[2:3] neg_lo:[0,0,1] neg_hi:[0,0,1]
	s_add_i32 s5, s5, 2
	v_pk_add_f32 v[20:21], v[20:21], v[0:1]
	v_add_u32_e32 v184, 32, v184
	v_add_u32_e32 v165, 8, v165
	;; [unrolled: 1-line block ×3, first 2 shown]
	s_cmp_lt_u32 s9, 24
	s_mov_b32 s9, s17
	s_cbranch_scc1 .LBB132_8
; %bb.9:                                ;   in Loop: Header=BB132_5 Depth=1
	s_add_i32 s0, s0, 1
	s_cmp_eq_u32 s0, s7
	s_barrier
	s_cbranch_scc0 .LBB132_5
; %bb.10:
	scratch_load_dword v1, off, off offset:88 ; 4-byte Folded Reload
	scratch_load_dword v2, off, off offset:92 ; 4-byte Folded Reload
.LBB132_11:
	s_waitcnt vmcnt(0)
	v_cmp_gt_u32_e32 vcc, s10, v2
	s_and_saveexec_b64 s[0:1], vcc
	s_cbranch_execz .LBB132_62
; %bb.12:
	v_add_u32_e32 v0, s6, v45
	v_mul_lo_u32 v5, v2, s14
	v_cmp_gt_u32_e32 vcc, s14, v0
	s_and_saveexec_b64 s[0:1], vcc
	s_cbranch_execz .LBB132_14
; %bb.13:
	v_add_u32_e32 v2, v0, v5
	v_mov_b32_e32 v3, 0
	s_waitcnt lgkmcnt(0)
	v_lshl_add_u64 v[2:3], v[2:3], 2, s[12:13]
	global_store_dword v[2:3], v88, off
.LBB132_14:
	s_or_b64 exec, exec, s[0:1]
	v_add_u32_e32 v2, 32, v0
	v_cmp_gt_u32_e64 s[0:1], s14, v2
	s_and_saveexec_b64 s[2:3], s[0:1]
	s_cbranch_execz .LBB132_16
; %bb.15:
	v_add_u32_e32 v6, v2, v5
	v_mov_b32_e32 v7, 0
	s_waitcnt lgkmcnt(0)
	v_lshl_add_u64 v[6:7], v[6:7], 2, s[12:13]
	global_store_dword v[6:7], v84, off
.LBB132_16:
	s_or_b64 exec, exec, s[2:3]
	v_add_u32_e32 v3, 64, v0
	v_cmp_gt_u32_e64 s[2:3], s14, v3
	s_and_saveexec_b64 s[4:5], s[2:3]
	;; [unrolled: 12-line block ×3, first 2 shown]
	s_cbranch_execz .LBB132_20
; %bb.19:
	v_add_u32_e32 v6, v4, v5
	v_mov_b32_e32 v7, 0
	s_waitcnt lgkmcnt(0)
	v_lshl_add_u64 v[6:7], v[6:7], 2, s[12:13]
	global_store_dword v[6:7], v50, off
.LBB132_20:
	s_or_b64 exec, exec, s[6:7]
	v_add3_u32 v5, v1, s15, 8
	v_cmp_gt_u32_e64 s[6:7], s10, v5
	s_and_b64 exec, exec, s[6:7]
	s_cbranch_execz .LBB132_62
; %bb.21:
	v_mul_lo_u32 v5, v5, s14
	s_and_saveexec_b64 s[6:7], vcc
	s_cbranch_execnz .LBB132_63
; %bb.22:
	s_or_b64 exec, exec, s[6:7]
	s_and_saveexec_b64 s[6:7], s[0:1]
	s_cbranch_execnz .LBB132_64
.LBB132_23:
	s_or_b64 exec, exec, s[6:7]
	s_and_saveexec_b64 s[6:7], s[2:3]
	s_cbranch_execnz .LBB132_65
.LBB132_24:
	s_or_b64 exec, exec, s[6:7]
	s_and_saveexec_b64 s[6:7], s[4:5]
	s_cbranch_execz .LBB132_26
.LBB132_25:
	v_add_u32_e32 v6, v5, v4
	v_mov_b32_e32 v7, 0
	s_waitcnt lgkmcnt(0)
	v_lshl_add_u64 v[6:7], v[6:7], 2, s[12:13]
	global_store_dword v[6:7], v51, off
.LBB132_26:
	s_or_b64 exec, exec, s[6:7]
	v_add3_u32 v5, v1, s15, 16
	v_cmp_gt_u32_e64 s[6:7], s10, v5
	s_and_b64 exec, exec, s[6:7]
	s_cbranch_execz .LBB132_62
; %bb.27:
	v_mul_lo_u32 v5, v5, s14
	s_and_saveexec_b64 s[6:7], vcc
	s_cbranch_execnz .LBB132_66
; %bb.28:
	s_or_b64 exec, exec, s[6:7]
	s_and_saveexec_b64 s[6:7], s[0:1]
	s_cbranch_execnz .LBB132_67
.LBB132_29:
	s_or_b64 exec, exec, s[6:7]
	s_and_saveexec_b64 s[6:7], s[2:3]
	s_cbranch_execnz .LBB132_68
.LBB132_30:
	s_or_b64 exec, exec, s[6:7]
	s_and_saveexec_b64 s[6:7], s[4:5]
	s_cbranch_execz .LBB132_32
.LBB132_31:
	v_add_u32_e32 v6, v5, v4
	v_mov_b32_e32 v7, 0
	s_waitcnt lgkmcnt(0)
	v_lshl_add_u64 v[6:7], v[6:7], 2, s[12:13]
	global_store_dword v[6:7], v36, off
.LBB132_32:
	s_or_b64 exec, exec, s[6:7]
	v_add3_u32 v5, v1, s15, 24
	v_cmp_gt_u32_e64 s[6:7], s10, v5
	s_and_b64 exec, exec, s[6:7]
	s_cbranch_execz .LBB132_62
; %bb.33:
	v_mul_lo_u32 v5, v5, s14
	s_and_saveexec_b64 s[6:7], vcc
	s_cbranch_execnz .LBB132_69
; %bb.34:
	s_or_b64 exec, exec, s[6:7]
	s_and_saveexec_b64 s[6:7], s[0:1]
	s_cbranch_execnz .LBB132_70
.LBB132_35:
	s_or_b64 exec, exec, s[6:7]
	s_and_saveexec_b64 s[6:7], s[2:3]
	s_cbranch_execnz .LBB132_71
.LBB132_36:
	s_or_b64 exec, exec, s[6:7]
	s_and_saveexec_b64 s[6:7], s[4:5]
	s_cbranch_execz .LBB132_38
.LBB132_37:
	v_add_u32_e32 v6, v5, v4
	v_mov_b32_e32 v7, 0
	s_waitcnt lgkmcnt(0)
	v_lshl_add_u64 v[6:7], v[6:7], 2, s[12:13]
	global_store_dword v[6:7], v37, off
.LBB132_38:
	s_or_b64 exec, exec, s[6:7]
	v_add3_u32 v5, v1, s15, 32
	v_cmp_gt_u32_e64 s[6:7], s10, v5
	s_and_b64 exec, exec, s[6:7]
	s_cbranch_execz .LBB132_62
; %bb.39:
	v_mul_lo_u32 v5, v5, s14
	s_and_saveexec_b64 s[6:7], vcc
	s_cbranch_execnz .LBB132_72
; %bb.40:
	s_or_b64 exec, exec, s[6:7]
	s_and_saveexec_b64 s[6:7], s[0:1]
	s_cbranch_execnz .LBB132_73
.LBB132_41:
	s_or_b64 exec, exec, s[6:7]
	s_and_saveexec_b64 s[6:7], s[2:3]
	s_cbranch_execnz .LBB132_74
.LBB132_42:
	s_or_b64 exec, exec, s[6:7]
	s_and_saveexec_b64 s[6:7], s[4:5]
	s_cbranch_execz .LBB132_44
.LBB132_43:
	v_add_u32_e32 v6, v5, v4
	v_mov_b32_e32 v7, 0
	s_waitcnt lgkmcnt(0)
	v_lshl_add_u64 v[6:7], v[6:7], 2, s[12:13]
	global_store_dword v[6:7], v28, off
.LBB132_44:
	s_or_b64 exec, exec, s[6:7]
	v_add3_u32 v5, v1, s15, 40
	v_cmp_gt_u32_e64 s[6:7], s10, v5
	s_and_b64 exec, exec, s[6:7]
	s_cbranch_execz .LBB132_62
; %bb.45:
	v_mul_lo_u32 v5, v5, s14
	s_and_saveexec_b64 s[6:7], vcc
	s_cbranch_execnz .LBB132_75
; %bb.46:
	s_or_b64 exec, exec, s[6:7]
	s_and_saveexec_b64 s[6:7], s[0:1]
	s_cbranch_execnz .LBB132_76
.LBB132_47:
	s_or_b64 exec, exec, s[6:7]
	s_and_saveexec_b64 s[6:7], s[2:3]
	s_cbranch_execnz .LBB132_77
.LBB132_48:
	s_or_b64 exec, exec, s[6:7]
	s_and_saveexec_b64 s[6:7], s[4:5]
	s_cbranch_execz .LBB132_50
.LBB132_49:
	v_add_u32_e32 v6, v5, v4
	v_mov_b32_e32 v7, 0
	s_waitcnt lgkmcnt(0)
	v_lshl_add_u64 v[6:7], v[6:7], 2, s[12:13]
	global_store_dword v[6:7], v29, off
.LBB132_50:
	s_or_b64 exec, exec, s[6:7]
	v_add3_u32 v5, v1, s15, 48
	v_cmp_gt_u32_e64 s[6:7], s10, v5
	s_and_b64 exec, exec, s[6:7]
	s_cbranch_execz .LBB132_62
; %bb.51:
	v_mul_lo_u32 v5, v5, s14
	s_and_saveexec_b64 s[6:7], vcc
	s_cbranch_execnz .LBB132_78
; %bb.52:
	s_or_b64 exec, exec, s[6:7]
	s_and_saveexec_b64 s[6:7], s[0:1]
	s_cbranch_execnz .LBB132_79
.LBB132_53:
	s_or_b64 exec, exec, s[6:7]
	s_and_saveexec_b64 s[6:7], s[2:3]
	s_cbranch_execnz .LBB132_80
.LBB132_54:
	s_or_b64 exec, exec, s[6:7]
	s_and_saveexec_b64 s[6:7], s[4:5]
	s_cbranch_execz .LBB132_56
.LBB132_55:
	v_add_u32_e32 v6, v5, v4
	v_mov_b32_e32 v7, 0
	s_waitcnt lgkmcnt(0)
	v_lshl_add_u64 v[6:7], v[6:7], 2, s[12:13]
	global_store_dword v[6:7], v20, off
.LBB132_56:
	s_or_b64 exec, exec, s[6:7]
	v_add3_u32 v1, v1, s15, 56
	v_cmp_gt_u32_e64 s[6:7], s10, v1
	s_and_b64 exec, exec, s[6:7]
	s_cbranch_execz .LBB132_62
; %bb.57:
	v_mul_lo_u32 v1, v1, s14
	s_and_saveexec_b64 s[6:7], vcc
	s_cbranch_execnz .LBB132_81
; %bb.58:
	s_or_b64 exec, exec, s[6:7]
	s_and_saveexec_b64 s[6:7], s[0:1]
	s_cbranch_execnz .LBB132_82
.LBB132_59:
	s_or_b64 exec, exec, s[6:7]
	s_and_saveexec_b64 s[0:1], s[2:3]
	s_cbranch_execnz .LBB132_83
.LBB132_60:
	s_or_b64 exec, exec, s[0:1]
	s_and_b64 exec, exec, s[4:5]
	s_cbranch_execz .LBB132_62
.LBB132_61:
	v_add_u32_e32 v0, v1, v4
	v_mov_b32_e32 v1, 0
	s_waitcnt lgkmcnt(0)
	v_lshl_add_u64 v[0:1], v[0:1], 2, s[12:13]
	global_store_dword v[0:1], v21, off
.LBB132_62:
	s_endpgm
.LBB132_63:
	v_add_u32_e32 v6, v5, v0
	v_mov_b32_e32 v7, 0
	s_waitcnt lgkmcnt(0)
	v_lshl_add_u64 v[6:7], v[6:7], 2, s[12:13]
	global_store_dword v[6:7], v89, off
	s_or_b64 exec, exec, s[6:7]
	s_and_saveexec_b64 s[6:7], s[0:1]
	s_cbranch_execz .LBB132_23
.LBB132_64:
	v_add_u32_e32 v6, v5, v2
	v_mov_b32_e32 v7, 0
	s_waitcnt lgkmcnt(0)
	v_lshl_add_u64 v[6:7], v[6:7], 2, s[12:13]
	global_store_dword v[6:7], v85, off
	s_or_b64 exec, exec, s[6:7]
	s_and_saveexec_b64 s[6:7], s[2:3]
	s_cbranch_execz .LBB132_24
.LBB132_65:
	v_add_u32_e32 v6, v5, v3
	v_mov_b32_e32 v7, 0
	s_waitcnt lgkmcnt(0)
	v_lshl_add_u64 v[6:7], v[6:7], 2, s[12:13]
	global_store_dword v[6:7], v67, off
	s_or_b64 exec, exec, s[6:7]
	s_and_saveexec_b64 s[6:7], s[4:5]
	s_cbranch_execnz .LBB132_25
	s_branch .LBB132_26
.LBB132_66:
	v_add_u32_e32 v6, v5, v0
	v_mov_b32_e32 v7, 0
	s_waitcnt lgkmcnt(0)
	v_lshl_add_u64 v[6:7], v[6:7], 2, s[12:13]
	global_store_dword v[6:7], v42, off
	s_or_b64 exec, exec, s[6:7]
	s_and_saveexec_b64 s[6:7], s[0:1]
	s_cbranch_execz .LBB132_29
.LBB132_67:
	v_add_u32_e32 v6, v5, v2
	v_mov_b32_e32 v7, 0
	s_waitcnt lgkmcnt(0)
	v_lshl_add_u64 v[6:7], v[6:7], 2, s[12:13]
	global_store_dword v[6:7], v40, off
	s_or_b64 exec, exec, s[6:7]
	s_and_saveexec_b64 s[6:7], s[2:3]
	s_cbranch_execz .LBB132_30
.LBB132_68:
	v_add_u32_e32 v6, v5, v3
	v_mov_b32_e32 v7, 0
	s_waitcnt lgkmcnt(0)
	v_lshl_add_u64 v[6:7], v[6:7], 2, s[12:13]
	global_store_dword v[6:7], v38, off
	s_or_b64 exec, exec, s[6:7]
	s_and_saveexec_b64 s[6:7], s[4:5]
	s_cbranch_execnz .LBB132_31
	s_branch .LBB132_32
.LBB132_69:
	v_add_u32_e32 v6, v5, v0
	v_mov_b32_e32 v7, 0
	s_waitcnt lgkmcnt(0)
	v_lshl_add_u64 v[6:7], v[6:7], 2, s[12:13]
	global_store_dword v[6:7], v43, off
	s_or_b64 exec, exec, s[6:7]
	s_and_saveexec_b64 s[6:7], s[0:1]
	s_cbranch_execz .LBB132_35
.LBB132_70:
	v_add_u32_e32 v6, v5, v2
	v_mov_b32_e32 v7, 0
	s_waitcnt lgkmcnt(0)
	v_lshl_add_u64 v[6:7], v[6:7], 2, s[12:13]
	global_store_dword v[6:7], v41, off
	s_or_b64 exec, exec, s[6:7]
	s_and_saveexec_b64 s[6:7], s[2:3]
	s_cbranch_execz .LBB132_36
.LBB132_71:
	v_add_u32_e32 v6, v5, v3
	v_mov_b32_e32 v7, 0
	s_waitcnt lgkmcnt(0)
	v_lshl_add_u64 v[6:7], v[6:7], 2, s[12:13]
	global_store_dword v[6:7], v39, off
	s_or_b64 exec, exec, s[6:7]
	s_and_saveexec_b64 s[6:7], s[4:5]
	s_cbranch_execnz .LBB132_37
	s_branch .LBB132_38
.LBB132_72:
	v_add_u32_e32 v6, v5, v0
	v_mov_b32_e32 v7, 0
	s_waitcnt lgkmcnt(0)
	v_lshl_add_u64 v[6:7], v[6:7], 2, s[12:13]
	global_store_dword v[6:7], v34, off
	s_or_b64 exec, exec, s[6:7]
	s_and_saveexec_b64 s[6:7], s[0:1]
	s_cbranch_execz .LBB132_41
.LBB132_73:
	v_add_u32_e32 v6, v5, v2
	v_mov_b32_e32 v7, 0
	s_waitcnt lgkmcnt(0)
	v_lshl_add_u64 v[6:7], v[6:7], 2, s[12:13]
	global_store_dword v[6:7], v32, off
	s_or_b64 exec, exec, s[6:7]
	s_and_saveexec_b64 s[6:7], s[2:3]
	s_cbranch_execz .LBB132_42
.LBB132_74:
	v_add_u32_e32 v6, v5, v3
	v_mov_b32_e32 v7, 0
	s_waitcnt lgkmcnt(0)
	v_lshl_add_u64 v[6:7], v[6:7], 2, s[12:13]
	global_store_dword v[6:7], v30, off
	s_or_b64 exec, exec, s[6:7]
	s_and_saveexec_b64 s[6:7], s[4:5]
	s_cbranch_execnz .LBB132_43
	s_branch .LBB132_44
.LBB132_75:
	v_add_u32_e32 v6, v5, v0
	v_mov_b32_e32 v7, 0
	s_waitcnt lgkmcnt(0)
	v_lshl_add_u64 v[6:7], v[6:7], 2, s[12:13]
	global_store_dword v[6:7], v35, off
	s_or_b64 exec, exec, s[6:7]
	s_and_saveexec_b64 s[6:7], s[0:1]
	s_cbranch_execz .LBB132_47
.LBB132_76:
	v_add_u32_e32 v6, v5, v2
	v_mov_b32_e32 v7, 0
	s_waitcnt lgkmcnt(0)
	v_lshl_add_u64 v[6:7], v[6:7], 2, s[12:13]
	global_store_dword v[6:7], v33, off
	s_or_b64 exec, exec, s[6:7]
	s_and_saveexec_b64 s[6:7], s[2:3]
	s_cbranch_execz .LBB132_48
.LBB132_77:
	v_add_u32_e32 v6, v5, v3
	v_mov_b32_e32 v7, 0
	s_waitcnt lgkmcnt(0)
	v_lshl_add_u64 v[6:7], v[6:7], 2, s[12:13]
	global_store_dword v[6:7], v31, off
	s_or_b64 exec, exec, s[6:7]
	s_and_saveexec_b64 s[6:7], s[4:5]
	s_cbranch_execnz .LBB132_49
	s_branch .LBB132_50
.LBB132_78:
	v_add_u32_e32 v6, v5, v0
	v_mov_b32_e32 v7, 0
	s_waitcnt lgkmcnt(0)
	v_lshl_add_u64 v[6:7], v[6:7], 2, s[12:13]
	global_store_dword v[6:7], v26, off
	s_or_b64 exec, exec, s[6:7]
	s_and_saveexec_b64 s[6:7], s[0:1]
	s_cbranch_execz .LBB132_53
.LBB132_79:
	v_add_u32_e32 v6, v5, v2
	v_mov_b32_e32 v7, 0
	s_waitcnt lgkmcnt(0)
	v_lshl_add_u64 v[6:7], v[6:7], 2, s[12:13]
	global_store_dword v[6:7], v24, off
	s_or_b64 exec, exec, s[6:7]
	s_and_saveexec_b64 s[6:7], s[2:3]
	s_cbranch_execz .LBB132_54
.LBB132_80:
	v_add_u32_e32 v6, v5, v3
	v_mov_b32_e32 v7, 0
	s_waitcnt lgkmcnt(0)
	v_lshl_add_u64 v[6:7], v[6:7], 2, s[12:13]
	global_store_dword v[6:7], v22, off
	s_or_b64 exec, exec, s[6:7]
	s_and_saveexec_b64 s[6:7], s[4:5]
	s_cbranch_execnz .LBB132_55
	s_branch .LBB132_56
.LBB132_81:
	v_add_u32_e32 v6, v1, v0
	v_mov_b32_e32 v7, 0
	s_waitcnt lgkmcnt(0)
	v_lshl_add_u64 v[6:7], v[6:7], 2, s[12:13]
	global_store_dword v[6:7], v27, off
	s_or_b64 exec, exec, s[6:7]
	s_and_saveexec_b64 s[6:7], s[0:1]
	s_cbranch_execz .LBB132_59
.LBB132_82:
	v_add_u32_e32 v6, v1, v2
	v_mov_b32_e32 v7, 0
	s_waitcnt lgkmcnt(0)
	v_lshl_add_u64 v[6:7], v[6:7], 2, s[12:13]
	global_store_dword v[6:7], v25, off
	s_or_b64 exec, exec, s[6:7]
	s_and_saveexec_b64 s[0:1], s[2:3]
	s_cbranch_execz .LBB132_60
.LBB132_83:
	v_add_u32_e32 v2, v1, v3
	v_mov_b32_e32 v3, 0
	s_waitcnt lgkmcnt(0)
	v_lshl_add_u64 v[2:3], v[2:3], 2, s[12:13]
	global_store_dword v[2:3], v23, off
	s_or_b64 exec, exec, s[0:1]
	s_and_b64 exec, exec, s[4:5]
	s_cbranch_execnz .LBB132_61
	s_branch .LBB132_62
	.section	.rodata,"a",@progbits
	.p2align	6, 0x0
	.amdhsa_kernel _ZL12mul_mat_q4_KIfLb1EEvPKvS1_PT_iiiii
		.amdhsa_group_segment_fixed_size 28752
		.amdhsa_private_segment_fixed_size 100
		.amdhsa_kernarg_size 44
		.amdhsa_user_sgpr_count 2
		.amdhsa_user_sgpr_dispatch_ptr 0
		.amdhsa_user_sgpr_queue_ptr 0
		.amdhsa_user_sgpr_kernarg_segment_ptr 1
		.amdhsa_user_sgpr_dispatch_id 0
		.amdhsa_user_sgpr_kernarg_preload_length 0
		.amdhsa_user_sgpr_kernarg_preload_offset 0
		.amdhsa_user_sgpr_private_segment_size 0
		.amdhsa_uses_dynamic_stack 0
		.amdhsa_enable_private_segment 1
		.amdhsa_system_sgpr_workgroup_id_x 1
		.amdhsa_system_sgpr_workgroup_id_y 1
		.amdhsa_system_sgpr_workgroup_id_z 0
		.amdhsa_system_sgpr_workgroup_info 0
		.amdhsa_system_vgpr_workitem_id 1
		.amdhsa_next_free_vgpr 256
		.amdhsa_next_free_sgpr 20
		.amdhsa_accum_offset 256
		.amdhsa_reserve_vcc 1
		.amdhsa_float_round_mode_32 0
		.amdhsa_float_round_mode_16_64 0
		.amdhsa_float_denorm_mode_32 3
		.amdhsa_float_denorm_mode_16_64 3
		.amdhsa_dx10_clamp 1
		.amdhsa_ieee_mode 1
		.amdhsa_fp16_overflow 0
		.amdhsa_tg_split 0
		.amdhsa_exception_fp_ieee_invalid_op 0
		.amdhsa_exception_fp_denorm_src 0
		.amdhsa_exception_fp_ieee_div_zero 0
		.amdhsa_exception_fp_ieee_overflow 0
		.amdhsa_exception_fp_ieee_underflow 0
		.amdhsa_exception_fp_ieee_inexact 0
		.amdhsa_exception_int_div_zero 0
	.end_amdhsa_kernel
	.section	.text._ZL12mul_mat_q4_KIfLb1EEvPKvS1_PT_iiiii,"axG",@progbits,_ZL12mul_mat_q4_KIfLb1EEvPKvS1_PT_iiiii,comdat
.Lfunc_end132:
	.size	_ZL12mul_mat_q4_KIfLb1EEvPKvS1_PT_iiiii, .Lfunc_end132-_ZL12mul_mat_q4_KIfLb1EEvPKvS1_PT_iiiii
                                        ; -- End function
	.section	.AMDGPU.csdata,"",@progbits
; Kernel info:
; codeLenInByte = 16896
; NumSgprs: 26
; NumVgprs: 256
; NumAgprs: 0
; TotalNumVgprs: 256
; ScratchSize: 100
; MemoryBound: 0
; FloatMode: 240
; IeeeMode: 1
; LDSByteSize: 28752 bytes/workgroup (compile time only)
; SGPRBlocks: 3
; VGPRBlocks: 31
; NumSGPRsForWavesPerEU: 26
; NumVGPRsForWavesPerEU: 256
; AccumOffset: 256
; Occupancy: 2
; WaveLimiterHint : 0
; COMPUTE_PGM_RSRC2:SCRATCH_EN: 1
; COMPUTE_PGM_RSRC2:USER_SGPR: 2
; COMPUTE_PGM_RSRC2:TRAP_HANDLER: 0
; COMPUTE_PGM_RSRC2:TGID_X_EN: 1
; COMPUTE_PGM_RSRC2:TGID_Y_EN: 1
; COMPUTE_PGM_RSRC2:TGID_Z_EN: 0
; COMPUTE_PGM_RSRC2:TIDIG_COMP_CNT: 1
; COMPUTE_PGM_RSRC3_GFX90A:ACCUM_OFFSET: 63
; COMPUTE_PGM_RSRC3_GFX90A:TG_SPLIT: 0
	.section	.text._ZL12mul_mat_q5_KIfLb0EEvPKvS1_PT_iiiii,"axG",@progbits,_ZL12mul_mat_q5_KIfLb0EEvPKvS1_PT_iiiii,comdat
	.globl	_ZL12mul_mat_q5_KIfLb0EEvPKvS1_PT_iiiii ; -- Begin function _ZL12mul_mat_q5_KIfLb0EEvPKvS1_PT_iiiii
	.p2align	8
	.type	_ZL12mul_mat_q5_KIfLb0EEvPKvS1_PT_iiiii,@function
_ZL12mul_mat_q5_KIfLb0EEvPKvS1_PT_iiiii: ; @_ZL12mul_mat_q5_KIfLb0EEvPKvS1_PT_iiiii
; %bb.0:
	s_load_dword s7, s[0:1], 0x18
	s_load_dwordx4 s[8:11], s[0:1], 0x20
	s_waitcnt lgkmcnt(0)
	s_lshl_b32 s11, s3, 6
	v_bfe_u32 v10, v0, 10, 10
	s_cmpk_gt_i32 s7, 0xff
	s_cbranch_scc1 .LBB133_2
; %bb.1:
	v_bfe_u32 v1, v0, 10, 10
	v_and_b32_e32 v45, 0x3ff, v0
	v_add_u32_e32 v2, s11, v1
	s_mov_b64 s[4:5], 0
	s_mov_b32 s3, 0
	s_branch .LBB133_3
.LBB133_2:
	s_mov_b64 s[4:5], -1
                                        ; implicit-def: $sgpr3
                                        ; implicit-def: $vgpr1
                                        ; implicit-def: $vgpr45
                                        ; implicit-def: $vgpr2
.LBB133_3:
	s_load_dwordx2 s[12:13], s[0:1], 0x10
	s_lshl_b32 s6, s2, 7
	s_andn2_b64 vcc, exec, s[4:5]
	v_mov_b32_e32 v17, s3
	v_mov_b32_e32 v16, s3
	;; [unrolled: 1-line block ×32, first 2 shown]
	s_cbranch_vccnz .LBB133_11
; %bb.4:
	s_ashr_i32 s4, s7, 31
	s_lshr_b32 s4, s4, 24
	s_load_dwordx4 s[0:3], s[0:1], 0x0
	s_add_i32 s7, s7, s4
	s_ashr_i32 s4, s9, 31
	s_lshr_b32 s4, s4, 27
	s_ashr_i32 s7, s7, 8
	s_add_i32 s4, s9, s4
	s_ashr_i32 s16, s4, 5
	s_mul_i32 s4, s7, s6
	v_and_b32_e32 v45, 0x3ff, v0
	s_mul_hi_i32 s5, s4, 0xb0
	s_mulk_i32 s4, 0xb0
	v_lshlrev_b32_e32 v0, 1, v45
	v_and_b32_e32 v2, 7, v45
	s_waitcnt lgkmcnt(0)
	s_add_u32 s14, s0, s4
	v_lshlrev_b32_e32 v3, 2, v45
	v_and_or_b32 v0, v0, 48, v2
	v_mul_i32_i24_e32 v2, s7, v10
	s_addc_u32 s15, s1, s5
	scratch_store_dwordx2 off, v[2:3], off  ; 8-byte Folded Spill
	v_mul_u32_u24_e32 v2, 0x41, v10
	s_lshl_b32 s1, s7, 3
	v_add_lshl_u32 v63, v0, v2, 2
	v_mov_b32_e32 v0, s1
	v_mad_i32_i24 v56, s7, v10, v0
	v_add_u32_e32 v58, s1, v56
	v_add_u32_e32 v60, s1, v58
	;; [unrolled: 1-line block ×13, first 2 shown]
	v_lshrrev_b32_e32 v1, 2, v45
	v_add_u32_e32 v0, s1, v82
	v_lshlrev_b32_e32 v119, 5, v10
	scratch_store_dwordx2 off, v[0:1], off offset:8 ; 8-byte Folded Spill
	v_add_u32_e32 v0, v119, v45
	v_and_b32_e32 v2, 0x7f, v0
	v_lshrrev_b32_e32 v0, 3, v0
	v_mul_i32_i24_e32 v4, s7, v2
	v_and_b32_e32 v0, 12, v0
	v_lshlrev_b32_e32 v2, 2, v2
	s_mov_b32 s1, 0xae40
	v_add3_u32 v135, v2, v0, s1
	v_and_b32_e32 v0, 3, v45
	v_add_u32_e32 v2, 0xfe, v0
	v_cmp_gt_u32_e32 vcc, 2, v0
	scratch_store_dwordx2 off, v[4:5], off offset:16 ; 8-byte Folded Spill
	v_lshlrev_b32_e32 v5, 3, v10
	v_cndmask_b32_e32 v2, v2, v0, vcc
	v_and_b32_e32 v59, 6, v1
	v_add_u32_e32 v8, v1, v5
	v_and_b32_e32 v6, 0xff, v2
	v_cmp_ne_u32_e32 vcc, 0, v0
	v_add_u16_e32 v1, v1, v5
	v_lshlrev_b32_e32 v143, 1, v6
	v_addc_co_u32_e32 v2, vcc, 0, v6, vcc
	v_and_b32_e32 v6, 0x7f, v8
	v_lshlrev_b32_e32 v9, 2, v0
	v_lshrrev_b16_e32 v1, 1, v1
	v_lshl_or_b32 v7, v6, 4, v9
	v_and_b32_e32 v1, 60, v1
	s_mov_b32 s4, 0xa200
	v_add3_u32 v165, v7, v1, s4
	v_xor_b32_e32 v1, 64, v6
	v_mul_i32_i24_e32 v90, s7, v1
	v_lshl_or_b32 v5, v1, 4, v9
	v_lshrrev_b32_e32 v1, 1, v1
	v_and_b32_e32 v1, 60, v1
	v_add3_u32 v167, v5, v1, s4
	v_and_b32_e32 v1, 63, v8
	s_add_i32 s4, s8, -1
	v_or_b32_e32 v8, s11, v1
	v_min_i32_e32 v8, s4, v8
	v_cmp_lt_u32_e32 vcc, 1, v0
	v_mul_i32_i24_e32 v88, s7, v6
	v_add_u32_e32 v11, s11, v10
	v_cvt_f64_i32_e32 v[6:7], s4
	v_mad_u64_u32 v[94:95], s[4:5], v8, s16, v[0:1]
	v_lshl_or_b32 v0, v1, 4, v9
	v_add_u32_e32 v95, 0xaa40, v0
	v_cvt_f64_u32_e32 v[0:1], v11
	v_min_f64 v[0:1], v[0:1], v[6:7]
	v_and_b32_e32 v5, 31, v45
	v_cvt_i32_f64_e32 v0, v[0:1]
	v_mul_lo_u32 v206, s16, v0
	v_or_b32_e32 v0, v119, v5
	v_mov_b32_e32 v8, 0x8200
	v_lshl_add_u32 v207, v0, 2, v8
	v_add_u32_e32 v0, 8, v11
	v_cvt_f64_u32_e32 v[0:1], v0
	v_min_f64 v[0:1], v[0:1], v[6:7]
	v_cvt_i32_f64_e32 v0, v[0:1]
	v_add_u32_e32 v209, 0x100, v119
	v_mul_lo_u32 v208, s16, v0
	v_or_b32_e32 v0, v209, v5
	v_lshl_add_u32 v210, v0, 2, v8
	v_add_u32_e32 v0, 16, v11
	v_cvt_f64_u32_e32 v[0:1], v0
	v_min_f64 v[0:1], v[0:1], v[6:7]
	v_cvt_i32_f64_e32 v0, v[0:1]
	v_add_u32_e32 v212, 0x200, v119
	v_mul_lo_u32 v211, s16, v0
	v_or_b32_e32 v0, v212, v5
	;; [unrolled: 8-line block ×6, first 2 shown]
	v_lshl_add_u32 v225, v0, 2, v8
	v_add_u32_e32 v0, 56, v11
	v_cvt_f64_u32_e32 v[0:1], v0
	v_min_f64 v[0:1], v[0:1], v[6:7]
	v_cvt_i32_f64_e32 v0, v[0:1]
	v_add_u32_e32 v227, 0x700, v119
	v_lshrrev_b32_e32 v44, 5, v45
	v_mul_lo_u32 v226, s16, v0
	v_or_b32_e32 v0, v227, v5
	v_lshl_add_u32 v228, v0, 2, v8
	v_lshlrev_b32_e32 v0, 2, v44
	v_add3_u32 v229, v0, v3, s1
	v_add_u32_e32 v0, 32, v45
	v_lshrrev_b32_e32 v230, 3, v0
	v_lshlrev_b32_e32 v1, 2, v0
	v_and_b32_e32 v0, 60, v230
	v_add3_u32 v231, v3, v0, s1
	v_add_u32_e32 v0, 64, v45
	v_lshlrev_b32_e32 v5, 2, v0
	v_lshrrev_b32_e32 v0, 3, v0
	v_and_b32_e32 v6, 60, v0
	v_add3_u32 v232, v3, v6, s1
	v_add_u32_e32 v6, 0x60, v45
	v_lshlrev_b32_e32 v7, 2, v6
	v_lshrrev_b32_e32 v6, 3, v6
	v_and_b32_e32 v8, 60, v6
	v_add3_u32 v233, v3, v8, s1
	s_movk_i32 s1, 0x104
	v_mov_b32_e32 v8, 0x2080
	v_mad_u32_u24 v235, v45, s1, v8
	v_mov_b32_e32 v8, 0x4100
	s_mov_b32 s0, 0
	v_mad_u32_u24 v236, v45, s1, v8
	v_mov_b32_e32 v8, 0x6180
	v_mov_b32_e32 v47, 0
	v_and_b32_e32 v4, 4, v3
	v_mad_u32_u24 v237, v45, s1, v8
	s_mov_b32 s1, s0
	v_and_b32_e32 v50, 28, v3
	v_mov_b32_e32 v51, v47
	v_cndmask_b32_e32 v137, 0, v4, vcc
	v_cndmask_b32_e64 v4, 0, 1, vcc
	v_lshrrev_b32_e32 v189, 3, v45
	v_mov_b64_e32 v[52:53], s[0:1]
	s_movk_i32 s9, 0xb0
	v_and_b32_e32 v46, 0x7c, v3
	v_or_b32_e32 v61, 1, v59
	v_add_u32_e32 v81, 0x4920, v63
	v_add_u32_e32 v83, 0x5140, v63
	;; [unrolled: 1-line block ×7, first 2 shown]
	v_lshl_add_u64 v[92:93], s[2:3], 0, v[50:51]
	v_mul_u32_u24_e32 v234, 0x104, v45
	s_mov_b32 s1, 0x10101010
	v_lshlrev_b32_e32 v96, 2, v2
	v_lshlrev_b32_e32 v98, 2, v4
	s_mov_b32 s16, 0x30303030
	v_mov_b32_e32 v97, v47
	v_mov_b32_e32 v99, v47
	v_lshlrev_b32_e32 v238, 2, v189
	v_lshlrev_b32_e32 v239, 2, v3
	;; [unrolled: 1-line block ×8, first 2 shown]
	v_mov_b64_e32 v[38:39], v[52:53]
	v_mov_b64_e32 v[30:31], v[52:53]
	;; [unrolled: 1-line block ×15, first 2 shown]
	scratch_store_dword off, v10, off offset:24 ; 4-byte Folded Spill
	scratch_store_dword off, v11, off offset:28 ; 4-byte Folded Spill
.LBB133_5:                              ; =>This Loop Header: Depth=1
                                        ;     Child Loop BB133_6 Depth 2
                                        ;     Child Loop BB133_8 Depth 2
	scratch_load_dwordx2 v[4:5], off, off   ; 8-byte Folded Reload
	s_mul_i32 s4, s0, 0xb0
	s_mul_hi_u32 s5, s0, 0xb0
	s_add_u32 s4, s14, s4
	s_addc_u32 s5, s15, s5
	v_mov_b64_e32 v[0:1], s[4:5]
	v_mad_u64_u32 v[2:3], s[4:5], v44, s9, v[0:1]
	v_mad_u64_u32 v[8:9], s[4:5], v56, s9, v[2:3]
	v_lshl_add_u64 v[10:11], v[8:9], 0, v[46:47]
	s_lshl_b32 s17, s0, 3
	v_add_u32_e32 v246, s17, v94
	s_mov_b32 s19, 0
	s_waitcnt vmcnt(0)
	v_mad_u64_u32 v[4:5], s[4:5], v4, s9, v[2:3]
	v_lshl_add_u64 v[6:7], v[4:5], 0, v[46:47]
	v_lshl_add_u64 v[4:5], v[4:5], 0, v[50:51]
	global_load_dword v12, v[6:7], off offset:48
	v_lshl_add_u64 v[6:7], v[8:9], 0, v[50:51]
	global_load_dword v13, v[4:5], off offset:16
	global_load_dword v14, v[10:11], off offset:48
	;; [unrolled: 1-line block ×3, first 2 shown]
	v_mad_u64_u32 v[4:5], s[4:5], v58, s9, v[2:3]
	v_lshl_add_u64 v[6:7], v[4:5], 0, v[46:47]
	v_lshl_add_u64 v[4:5], v[4:5], 0, v[50:51]
	global_load_dword v54, v[6:7], off offset:48
	global_load_dword v55, v[4:5], off offset:16
	v_mad_u64_u32 v[4:5], s[4:5], v60, s9, v[2:3]
	v_lshl_add_u64 v[6:7], v[4:5], 0, v[46:47]
	v_lshl_add_u64 v[4:5], v[4:5], 0, v[50:51]
	global_load_dword v57, v[6:7], off offset:48
	global_load_dword v84, v[4:5], off offset:16
	;; [unrolled: 5-line block ×6, first 2 shown]
	v_mad_u64_u32 v[4:5], s[4:5], v70, s9, v[2:3]
	v_lshl_add_u64 v[10:11], v[4:5], 0, v[46:47]
	v_lshl_add_u64 v[4:5], v[4:5], 0, v[50:51]
	global_load_dword v111, v[10:11], off offset:48
	v_mad_u64_u32 v[8:9], s[4:5], v72, s9, v[2:3]
	v_lshl_add_u64 v[6:7], v[8:9], 0, v[46:47]
	s_waitcnt vmcnt(16)
	v_and_b32_e32 v105, 0xf0f0f0f, v12
	v_lshrrev_b32_e32 v12, 4, v12
	s_waitcnt vmcnt(15)
	v_ashrrev_i32_e32 v106, v59, v13
	v_ashrrev_i32_e32 v13, v61, v13
	s_waitcnt vmcnt(14)
	v_and_b32_e32 v107, 0xf0f0f0f, v14
	v_lshrrev_b32_e32 v14, 4, v14
	s_waitcnt vmcnt(13)
	v_ashrrev_i32_e32 v108, v59, v15
	v_ashrrev_i32_e32 v15, v61, v15
	v_and_b32_e32 v12, 0xf0f0f0f, v12
	v_lshlrev_b32_e32 v106, 4, v106
	v_lshlrev_b32_e32 v13, 4, v13
	v_and_b32_e32 v14, 0xf0f0f0f, v14
	v_lshlrev_b32_e32 v108, 4, v108
	v_lshlrev_b32_e32 v10, 4, v15
	global_load_dword v15, v[4:5], off offset:16
	v_and_or_b32 v4, v106, s1, v105
	v_and_or_b32 v5, v13, s1, v12
	;; [unrolled: 1-line block ×4, first 2 shown]
	ds_write2_b32 v63, v4, v5 offset1:8
	v_add_u32_e32 v4, 0x820, v63
	s_waitcnt vmcnt(13)
	v_and_b32_e32 v109, 0xf0f0f0f, v54
	v_lshrrev_b32_e32 v54, 4, v54
	s_waitcnt vmcnt(12)
	v_ashrrev_i32_e32 v110, v59, v55
	v_ashrrev_i32_e32 v55, v61, v55
	ds_write2_b32 v4, v12, v10 offset1:8
	v_lshl_add_u64 v[4:5], v[8:9], 0, v[50:51]
	v_and_b32_e32 v11, 0xf0f0f0f, v54
	v_lshlrev_b32_e32 v54, 4, v110
	global_load_dword v13, v[6:7], off offset:48
	global_load_dword v12, v[4:5], off offset:16
	v_lshlrev_b32_e32 v4, 4, v55
	v_and_or_b32 v5, v54, s1, v109
	v_and_or_b32 v4, v4, s1, v11
	v_add_u32_e32 v6, 0x1040, v63
	ds_write2_b32 v6, v5, v4 offset1:8
	s_waitcnt vmcnt(13)
	v_lshrrev_b32_e32 v5, 4, v57
	s_waitcnt vmcnt(12)
	v_ashrrev_i32_e32 v6, v59, v84
	v_ashrrev_i32_e32 v7, v61, v84
	v_and_b32_e32 v4, 0xf0f0f0f, v57
	v_and_b32_e32 v5, 0xf0f0f0f, v5
	v_lshlrev_b32_e32 v6, 4, v6
	v_lshlrev_b32_e32 v7, 4, v7
	v_and_or_b32 v4, v6, s1, v4
	v_and_or_b32 v5, v7, s1, v5
	v_add_u32_e32 v6, 0x1860, v63
	ds_write2_b32 v6, v4, v5 offset1:8
	s_waitcnt vmcnt(11)
	v_lshrrev_b32_e32 v5, 4, v85
	s_waitcnt vmcnt(10)
	v_ashrrev_i32_e32 v6, v59, v86
	v_ashrrev_i32_e32 v7, v61, v86
	v_and_b32_e32 v4, 0xf0f0f0f, v85
	v_and_b32_e32 v5, 0xf0f0f0f, v5
	v_lshlrev_b32_e32 v6, 4, v6
	;; [unrolled: 13-line block ×4, first 2 shown]
	v_lshlrev_b32_e32 v7, 4, v7
	v_and_or_b32 v4, v6, s1, v4
	v_and_or_b32 v5, v7, s1, v5
	v_add_u32_e32 v6, 0x30c0, v63
	ds_write2_b32 v6, v4, v5 offset1:8
	s_waitcnt vmcnt(4)
	v_lshrrev_b32_e32 v5, 4, v103
	v_ashrrev_i32_e32 v6, v59, v104
	v_ashrrev_i32_e32 v7, v61, v104
	v_and_b32_e32 v4, 0xf0f0f0f, v103
	v_and_b32_e32 v5, 0xf0f0f0f, v5
	v_lshlrev_b32_e32 v6, 4, v6
	v_lshlrev_b32_e32 v7, 4, v7
	v_and_or_b32 v4, v6, s1, v4
	v_and_or_b32 v5, v7, s1, v5
	v_add_u32_e32 v6, 0x38e0, v63
	ds_write2_b32 v6, v4, v5 offset1:8
	v_mad_u64_u32 v[4:5], s[4:5], v74, s9, v[2:3]
	v_lshl_add_u64 v[6:7], v[4:5], 0, v[46:47]
	v_mad_u64_u32 v[8:9], s[4:5], v76, s9, v[2:3]
	v_lshl_add_u64 v[4:5], v[4:5], 0, v[50:51]
	v_lshl_add_u64 v[10:11], v[8:9], 0, v[46:47]
	;; [unrolled: 1-line block ×3, first 2 shown]
	global_load_dword v57, v[6:7], off offset:48
	global_load_dword v84, v[4:5], off offset:16
	;; [unrolled: 1-line block ×4, first 2 shown]
	scratch_load_dwordx2 v[54:55], off, off offset:8 ; 8-byte Folded Reload
	s_waitcnt vmcnt(8)
	v_lshrrev_b32_e32 v5, 4, v111
	s_waitcnt vmcnt(7)
	v_ashrrev_i32_e32 v6, v59, v15
	v_ashrrev_i32_e32 v7, v61, v15
	v_and_b32_e32 v4, 0xf0f0f0f, v111
	v_and_b32_e32 v5, 0xf0f0f0f, v5
	v_lshlrev_b32_e32 v6, 4, v6
	v_lshlrev_b32_e32 v7, 4, v7
	v_and_or_b32 v4, v6, s1, v4
	v_and_or_b32 v5, v7, s1, v5
	v_add_u32_e32 v6, 0x4100, v63
	ds_write2_b32 v6, v4, v5 offset1:8
	s_waitcnt vmcnt(6)
	v_lshrrev_b32_e32 v5, 4, v13
	s_waitcnt vmcnt(5)
	v_ashrrev_i32_e32 v6, v59, v12
	v_ashrrev_i32_e32 v7, v61, v12
	v_and_b32_e32 v4, 0xf0f0f0f, v13
	v_and_b32_e32 v5, 0xf0f0f0f, v5
	v_lshlrev_b32_e32 v6, 4, v6
	v_lshlrev_b32_e32 v7, 4, v7
	v_and_or_b32 v4, v6, s1, v4
	v_and_or_b32 v5, v7, s1, v5
	ds_write2_b32 v81, v4, v5 offset1:8
	v_mad_u64_u32 v[4:5], s[4:5], v78, s9, v[2:3]
	v_mad_u64_u32 v[8:9], s[4:5], v80, s9, v[2:3]
	;; [unrolled: 1-line block ×3, first 2 shown]
	v_lshl_add_u64 v[6:7], v[4:5], 0, v[46:47]
	v_lshl_add_u64 v[4:5], v[4:5], 0, v[50:51]
	;; [unrolled: 1-line block ×6, first 2 shown]
	s_waitcnt vmcnt(0)
	v_mad_u64_u32 v[2:3], s[4:5], v54, s9, v[2:3]
	v_lshl_add_u64 v[54:55], v[2:3], 0, v[46:47]
	v_lshl_add_u64 v[2:3], v[2:3], 0, v[50:51]
	global_load_dword v87, v[6:7], off offset:48
	global_load_dword v100, v[4:5], off offset:16
	;; [unrolled: 1-line block ×6, first 2 shown]
	s_nop 0
	global_load_dword v54, v[54:55], off offset:48
	s_nop 0
	global_load_dword v55, v[2:3], off offset:16
	s_nop 0
	scratch_load_dwordx2 v[2:3], off, off offset:16 ; 8-byte Folded Reload
	v_mad_u64_u32 v[4:5], s[4:5], v88, s9, v[0:1]
	v_lshl_add_u64 v[4:5], v[4:5], 0, 4
	v_lshl_add_u64 v[6:7], v[4:5], 0, v[96:97]
	;; [unrolled: 1-line block ×3, first 2 shown]
	v_add_u32_e32 v14, s17, v189
	v_add_u32_e32 v10, v14, v220
	;; [unrolled: 1-line block ×3, first 2 shown]
	v_mad_i64_i32 v[10:11], s[4:5], v10, 36, v[92:93]
	v_mad_i64_i32 v[12:13], s[4:5], v12, 36, v[92:93]
	s_waitcnt vmcnt(0)
	v_mad_u64_u32 v[2:3], s[4:5], v2, s9, v[0:1]
	v_mad_u64_u32 v[0:1], s[4:5], v90, s9, v[0:1]
	v_lshl_add_u64 v[0:1], v[0:1], 0, 4
	v_lshl_add_u64 v[8:9], v[0:1], 0, v[96:97]
	;; [unrolled: 1-line block ×3, first 2 shown]
	global_load_dword v105, v[2:3], off
	global_load_dword v106, v[6:7], off
	;; [unrolled: 1-line block ×5, first 2 shown]
	v_add_u32_e32 v0, v14, v206
	v_add_u32_e32 v2, v14, v208
	;; [unrolled: 1-line block ×5, first 2 shown]
	v_mad_i64_i32 v[0:1], s[4:5], v0, 36, v[92:93]
	v_mad_i64_i32 v[2:3], s[4:5], v2, 36, v[92:93]
	;; [unrolled: 1-line block ×5, first 2 shown]
	v_add_u32_e32 v14, v14, v226
	v_mad_i64_i32 v[14:15], s[4:5], v14, 36, v[92:93]
	global_load_dword v110, v[0:1], off offset:4
	s_nop 0
	global_load_dword v2, v[2:3], off offset:4
	s_nop 0
	;; [unrolled: 2-line block ×3, first 2 shown]
	global_load_dword v4, v[6:7], off offset:4
	global_load_dword v5, v[8:9], off offset:4
	s_nop 0
	global_load_dword v6, v[10:11], off offset:4
	global_load_dword v7, v[12:13], off offset:4
	;; [unrolled: 1-line block ×3, first 2 shown]
	v_mad_u64_u32 v[0:1], s[4:5], v246, 36, s[2:3]
	global_load_dword v0, v[0:1], off
	v_lshrrev_b32_e32 v9, 4, v57
	v_ashrrev_i32_e32 v10, v59, v84
	v_ashrrev_i32_e32 v11, v61, v84
	v_and_b32_e32 v1, 0xf0f0f0f, v57
	v_and_b32_e32 v9, 0xf0f0f0f, v9
	v_lshlrev_b32_e32 v10, 4, v10
	v_lshlrev_b32_e32 v11, 4, v11
	v_and_or_b32 v1, v10, s1, v1
	v_and_or_b32 v9, v11, s1, v9
	ds_write2_b32 v83, v1, v9 offset1:8
	v_lshrrev_b32_e32 v9, 4, v85
	v_ashrrev_i32_e32 v10, v59, v86
	v_ashrrev_i32_e32 v11, v61, v86
	v_and_b32_e32 v1, 0xf0f0f0f, v85
	v_and_b32_e32 v9, 0xf0f0f0f, v9
	v_lshlrev_b32_e32 v10, 4, v10
	v_lshlrev_b32_e32 v11, 4, v11
	v_and_or_b32 v1, v10, s1, v1
	v_and_or_b32 v9, v11, s1, v9
	ds_write2_b32 v65, v1, v9 offset1:8
	;; [unrolled: 10-line block ×6, first 2 shown]
	s_waitcnt vmcnt(13)
	ds_write_b32 v135, v105
	s_waitcnt vmcnt(12)
	v_ashrrev_i32_e32 v1, v137, v106
	v_and_b32_e32 v1, 0xf0f0f0f, v1
	s_waitcnt vmcnt(11)
	v_ashrrev_i32_e32 v9, v143, v107
	v_and_or_b32 v1, v9, s16, v1
	ds_write_b32 v165, v1
	s_waitcnt vmcnt(10)
	v_ashrrev_i32_e32 v1, v137, v108
	v_and_b32_e32 v1, 0xf0f0f0f, v1
	s_waitcnt vmcnt(9)
	v_ashrrev_i32_e32 v9, v143, v109
	v_and_or_b32 v1, v9, s16, v1
	ds_write_b32 v167, v1
	s_waitcnt vmcnt(8)
	ds_write_b32 v207, v110
	s_waitcnt vmcnt(7)
	;; [unrolled: 2-line block ×9, first 2 shown]
	ds_write_b32 v95, v0
	s_waitcnt lgkmcnt(0)
	s_barrier
	ds_read_b32 v0, v229
	ds_read_b32 v1, v231 offset:128
	ds_read_b32 v2, v232 offset:256
	;; [unrolled: 1-line block ×3, first 2 shown]
	s_mov_b64 s[4:5], -1
	s_waitcnt lgkmcnt(3)
	v_cvt_f32_f16_e32 v100, v0
	v_cvt_f32_f16_sdwa v102, v0 dst_sel:DWORD dst_unused:UNUSED_PAD src0_sel:WORD_1
	s_waitcnt lgkmcnt(2)
	v_cvt_f32_f16_e32 v104, v1
	v_cvt_f32_f16_sdwa v106, v1 dst_sel:DWORD dst_unused:UNUSED_PAD src0_sel:WORD_1
	;; [unrolled: 3-line block ×4, first 2 shown]
	v_mov_b32_e32 v101, v100
	v_mov_b32_e32 v103, v102
	;; [unrolled: 1-line block ×8, first 2 shown]
.LBB133_6:                              ;   Parent Loop BB133_5 Depth=1
                                        ; =>  This Inner Loop Header: Depth=2
	s_lshr_b32 s20, s19, 2
	s_lshl_b32 s18, s19, 1
	s_add_i32 s20, s20, 0xa200
	v_or_b32_e32 v0, s18, v119
	s_lshl_b32 s19, s19, 3
	v_lshlrev_b32_e32 v1, 2, v0
	v_add3_u32 v55, s20, v238, v239
	v_add_u32_e32 v57, s19, v234
	v_lshrrev_b32_e32 v54, 1, v0
	ds_read_b128 v[12:15], v1 offset:33280
	ds_read_b128 v[8:11], v1 offset:33296
	;; [unrolled: 1-line block ×4, first 2 shown]
	ds_read_b64 v[196:197], v54 offset:43584
	ds_read2_b32 v[168:169], v57 offset1:1
	ds_read2_b32 v[178:179], v57 offset0:2 offset1:3
	ds_read2_b32 v[182:183], v57 offset0:4 offset1:5
	;; [unrolled: 1-line block ×3, first 2 shown]
	ds_read_u16 v84, v55
	ds_read_u8 v85, v55 offset:8
	ds_read_u8 v55, v55 offset:9
	ds_read2_b32 v[162:163], v57 offset0:8 offset1:9
	ds_read2_b32 v[190:191], v57 offset0:10 offset1:11
	ds_read2_b32 v[192:193], v57 offset0:12 offset1:13
	ds_read2_b32 v[194:195], v57 offset0:14 offset1:15
	s_waitcnt lgkmcnt(4)
	v_cvt_f32_ubyte0_e32 v188, v55
	v_add3_u32 v55, s20, v240, v241
	v_add_u32_e32 v57, s19, v235
	v_and_b32_e32 v251, 0xff, v84
	v_cvt_f32_ubyte0_e32 v142, v85
	v_lshrrev_b16_e32 v254, 8, v84
	ds_read2_b32 v[128:129], v57 offset1:1
	ds_read2_b32 v[144:145], v57 offset0:2 offset1:3
	ds_read2_b32 v[146:147], v57 offset0:4 offset1:5
	;; [unrolled: 1-line block ×3, first 2 shown]
	ds_read_u16 v84, v55
	ds_read_u8 v85, v55 offset:8
	ds_read_u8 v55, v55 offset:9
	ds_read2_b32 v[138:139], v57 offset0:8 offset1:9
	ds_read2_b32 v[170:171], v57 offset0:10 offset1:11
	;; [unrolled: 1-line block ×4, first 2 shown]
	s_waitcnt lgkmcnt(6)
	v_and_b32_e32 v249, 0xff, v84
	v_lshrrev_b16_e32 v252, 8, v84
	v_add3_u32 v57, s20, v242, v243
	v_add_u32_e32 v84, s19, v236
	s_waitcnt lgkmcnt(5)
	v_cvt_f32_ubyte0_e32 v134, v85
	ds_read2_b32 v[130:131], v84 offset1:1
	ds_read2_b32 v[150:151], v84 offset0:2 offset1:3
	ds_read2_b32 v[152:153], v84 offset0:4 offset1:5
	;; [unrolled: 1-line block ×3, first 2 shown]
	ds_read_u16 v85, v57
	ds_read_u8 v87, v57 offset:8
	ds_read_u8 v57, v57 offset:9
	v_mov_b32_e32 v54, 0
	v_mov_b32_e32 v255, 0
	s_waitcnt lgkmcnt(2)
	v_and_b32_e32 v250, 0xff, v85
	v_lshrrev_b16_e32 v253, 8, v85
	v_add_u32_e32 v85, s19, v237
	ds_read2_b32 v[132:133], v85 offset1:1
	ds_read2_b32 v[156:157], v85 offset0:2 offset1:3
	ds_read2_b32 v[158:159], v85 offset0:4 offset1:5
	ds_read2_b32 v[160:161], v85 offset0:6 offset1:7
	v_cvt_f32_ubyte0_e32 v164, v55
	v_mov_b32_e32 v55, 0
	s_waitcnt lgkmcnt(4)
	v_cvt_f32_ubyte0_e32 v166, v57
	v_mov_b32_e32 v57, 0
	v_dot4c_i32_i8_e32 v54, v168, v12
	v_dot4c_i32_i8_e32 v255, v128, v12
	;; [unrolled: 1-line block ×3, first 2 shown]
	s_waitcnt lgkmcnt(3)
	v_dot4c_i32_i8_e32 v57, v132, v12
	v_dot4c_i32_i8_e32 v54, v169, v13
	;; [unrolled: 1-line block ×8, first 2 shown]
	s_waitcnt lgkmcnt(2)
	v_dot4c_i32_i8_e32 v57, v156, v14
	v_dot4c_i32_i8_e32 v54, v179, v15
	;; [unrolled: 1-line block ×8, first 2 shown]
	s_waitcnt lgkmcnt(1)
	v_dot4c_i32_i8_e32 v57, v158, v8
	v_dot4c_i32_i8_e32 v54, v183, v9
	;; [unrolled: 1-line block ×4, first 2 shown]
	ds_read2_b32 v[140:141], v84 offset0:8 offset1:9
	ds_read2_b32 v[176:177], v84 offset0:10 offset1:11
	;; [unrolled: 1-line block ×4, first 2 shown]
	v_add3_u32 v84, s20, v244, v245
	v_dot4c_i32_i8_e32 v57, v159, v9
	v_dot4c_i32_i8_e32 v54, v186, v10
	;; [unrolled: 1-line block ×4, first 2 shown]
	s_waitcnt lgkmcnt(4)
	v_dot4c_i32_i8_e32 v57, v160, v10
	ds_read_u16 v8, v84
	ds_read_u8 v9, v84 offset:8
	ds_read_u8 v10, v84 offset:9
	ds_read2_b32 v[126:127], v85 offset0:8 offset1:9
	ds_read2_b32 v[120:121], v85 offset0:10 offset1:11
	;; [unrolled: 1-line block ×4, first 2 shown]
	v_mov_b32_e32 v86, 0
	v_mov_b32_e32 v69, 0
	v_mov_b32_e32 v71, 0
	v_mov_b32_e32 v73, 0
	v_dot4c_i32_i8_e32 v86, v162, v4
	v_dot4c_i32_i8_e32 v69, v138, v4
	s_waitcnt lgkmcnt(10)
	v_dot4c_i32_i8_e32 v71, v140, v4
	s_waitcnt lgkmcnt(3)
	v_dot4c_i32_i8_e32 v73, v126, v4
	v_dot4c_i32_i8_e32 v86, v163, v5
	;; [unrolled: 1-line block ×8, first 2 shown]
	s_waitcnt lgkmcnt(2)
	v_dot4c_i32_i8_e32 v73, v120, v6
	v_dot4c_i32_i8_e32 v86, v191, v7
	;; [unrolled: 1-line block ×8, first 2 shown]
	s_waitcnt lgkmcnt(1)
	v_dot4c_i32_i8_e32 v73, v122, v0
	v_dot4c_i32_i8_e32 v86, v193, v1
	;; [unrolled: 1-line block ×5, first 2 shown]
	v_or_b32_e32 v0, s18, v209
	v_dot4c_i32_i8_e32 v86, v194, v2
	v_dot4c_i32_i8_e32 v69, v174, v2
	;; [unrolled: 1-line block ×3, first 2 shown]
	s_waitcnt lgkmcnt(0)
	v_dot4c_i32_i8_e32 v73, v124, v2
	v_lshlrev_b32_e32 v1, 2, v0
	v_dot4c_i32_i8_e32 v54, v187, v11
	v_dot4c_i32_i8_e32 v86, v195, v3
	;; [unrolled: 1-line block ×7, first 2 shown]
	v_and_b32_e32 v248, 0xff, v8
	v_cvt_f32_ubyte0_e32 v118, v9
	v_dot4c_i32_i8_e32 v73, v125, v3
	v_lshrrev_b16_e32 v247, 8, v8
	v_cvt_f32_ubyte0_e32 v116, v10
	v_lshrrev_b32_e32 v84, 1, v0
	ds_read_b128 v[12:15], v1 offset:33280
	ds_read_b128 v[8:11], v1 offset:33296
	;; [unrolled: 1-line block ×4, first 2 shown]
	ds_read_b64 v[200:201], v84 offset:43584
	v_mov_b32_e32 v84, 0
	v_cvt_f32_ubyte0_e32 v136, v87
	s_waitcnt lgkmcnt(4)
	v_dot4c_i32_i8_e32 v84, v168, v12
	v_mov_b32_e32 v87, 0
	v_dot4c_i32_i8_e32 v84, v169, v13
	s_waitcnt lgkmcnt(2)
	v_dot4c_i32_i8_e32 v87, v162, v4
	v_dot4c_i32_i8_e32 v84, v178, v14
	;; [unrolled: 1-line block ×8, first 2 shown]
	s_waitcnt lgkmcnt(1)
	v_dot4c_i32_i8_e32 v87, v192, v0
	v_dot4c_i32_i8_e32 v84, v186, v10
	;; [unrolled: 1-line block ×6, first 2 shown]
	v_mul_lo_u32 v54, v54, v251
	v_mul_lo_u32 v84, v84, v251
	s_waitcnt lgkmcnt(0)
	v_cvt_f32_f16_e32 v203, v200
	v_cvt_f32_f16_e32 v202, v196
	v_cvt_f32_f16_sdwa v205, v200 dst_sel:DWORD dst_unused:UNUSED_PAD src0_sel:WORD_1
	v_cvt_f32_f16_sdwa v204, v196 dst_sel:DWORD dst_unused:UNUSED_PAD src0_sel:WORD_1
	v_cvt_f32_f16_e32 v198, v197
	v_cvt_f32_f16_sdwa v200, v197 dst_sel:DWORD dst_unused:UNUSED_PAD src0_sel:WORD_1
	v_cvt_f32_i32_e32 v197, v84
	v_cvt_f32_i32_e32 v196, v54
	v_mul_lo_u32 v54, v86, v254
	v_mul_lo_u32 v86, v87, v254
	v_cvt_f32_f16_e32 v199, v201
	v_cvt_f32_i32_e32 v87, v86
	v_cvt_f32_i32_e32 v86, v54
	v_mov_b32_e32 v54, 0
	v_pk_fma_f32 v[196:197], v[202:203], v[196:197], 0 op_sel_hi:[1,1,0]
	v_dot4c_i32_i8_e32 v54, v128, v12
	v_pk_fma_f32 v[86:87], v[198:199], v[86:87], v[196:197]
	v_dot4c_i32_i8_e32 v54, v129, v13
	v_mov_b32_e32 v196, 0
	v_cvt_f32_f16_sdwa v201, v201 dst_sel:DWORD dst_unused:UNUSED_PAD src0_sel:WORD_1
	v_dot4c_i32_i8_e32 v54, v144, v14
	v_dot4c_i32_i8_e32 v196, v138, v4
	;; [unrolled: 1-line block ×6, first 2 shown]
	v_pk_fma_f32 v[84:85], v[142:143], v[204:205], 0 op_sel_hi:[0,1,0]
	v_dot4c_i32_i8_e32 v54, v147, v9
	v_dot4c_i32_i8_e32 v196, v171, v7
	v_pk_fma_f32 v[84:85], v[188:189], v[200:201], v[84:85] op_sel_hi:[0,1,1]
	v_dot4c_i32_i8_e32 v54, v148, v10
	v_dot4c_i32_i8_e32 v196, v172, v0
	v_pk_mul_f32 v[84:85], v[84:85], v[102:103]
	v_dot4c_i32_i8_e32 v54, v149, v11
	v_dot4c_i32_i8_e32 v196, v173, v1
	v_pk_fma_f32 v[84:85], v[86:87], v[100:101], v[84:85] neg_lo:[0,0,1] neg_hi:[0,0,1]
	v_dot4c_i32_i8_e32 v196, v174, v2
	v_mul_lo_u32 v54, v54, v249
	v_pk_add_f32 v[52:53], v[52:53], v[84:85]
	v_dot4c_i32_i8_e32 v196, v175, v3
	v_cvt_f32_i32_e32 v85, v54
	v_mul_lo_u32 v54, v69, v252
	v_mul_lo_u32 v84, v255, v249
	;; [unrolled: 1-line block ×3, first 2 shown]
	v_cvt_f32_i32_e32 v196, v54
	v_mov_b32_e32 v54, 0
	v_cvt_f32_i32_e32 v197, v69
	v_dot4c_i32_i8_e32 v54, v130, v12
	v_mov_b32_e32 v69, 0
	v_cvt_f32_i32_e32 v84, v84
	v_dot4c_i32_i8_e32 v54, v131, v13
	v_dot4c_i32_i8_e32 v69, v140, v4
	;; [unrolled: 1-line block ×6, first 2 shown]
	v_pk_fma_f32 v[86:87], v[134:135], v[204:205], 0 op_sel_hi:[0,1,0]
	v_dot4c_i32_i8_e32 v54, v152, v8
	v_dot4c_i32_i8_e32 v69, v177, v7
	v_pk_fma_f32 v[84:85], v[202:203], v[84:85], 0 op_sel_hi:[1,1,0]
	v_pk_fma_f32 v[86:87], v[164:165], v[200:201], v[86:87] op_sel_hi:[0,1,1]
	v_dot4c_i32_i8_e32 v54, v153, v9
	v_dot4c_i32_i8_e32 v69, v180, v0
	v_pk_fma_f32 v[84:85], v[198:199], v[196:197], v[84:85]
	v_pk_mul_f32 v[86:87], v[86:87], v[106:107]
	v_dot4c_i32_i8_e32 v54, v154, v10
	v_dot4c_i32_i8_e32 v69, v181, v1
	v_pk_fma_f32 v[84:85], v[84:85], v[104:105], v[86:87] neg_lo:[0,0,1] neg_hi:[0,0,1]
	v_dot4c_i32_i8_e32 v54, v155, v11
	v_dot4c_i32_i8_e32 v69, v184, v2
	v_pk_add_f32 v[48:49], v[48:49], v[84:85]
	v_dot4c_i32_i8_e32 v69, v185, v3
	v_mul_lo_u32 v84, v55, v250
	v_mul_lo_u32 v54, v54, v250
	v_cvt_f32_i32_e32 v55, v54
	v_cvt_f32_i32_e32 v54, v84
	v_mul_lo_u32 v71, v71, v253
	v_mul_lo_u32 v69, v69, v253
	v_cvt_f32_i32_e32 v87, v69
	v_cvt_f32_i32_e32 v86, v71
	v_pk_fma_f32 v[84:85], v[136:137], v[204:205], 0 op_sel_hi:[0,1,0]
	v_pk_fma_f32 v[54:55], v[202:203], v[54:55], 0 op_sel_hi:[1,1,0]
	;; [unrolled: 1-line block ×3, first 2 shown]
	v_pk_fma_f32 v[54:55], v[198:199], v[86:87], v[54:55]
	v_pk_mul_f32 v[84:85], v[84:85], v[110:111]
	v_mov_b32_e32 v69, 0
	v_pk_fma_f32 v[54:55], v[54:55], v[108:109], v[84:85] neg_lo:[0,0,1] neg_hi:[0,0,1]
	v_mov_b32_e32 v71, 0
	v_pk_add_f32 v[42:43], v[42:43], v[54:55]
	v_mov_b32_e32 v54, 0
	v_dot4c_i32_i8_e32 v54, v132, v12
	v_dot4c_i32_i8_e32 v54, v133, v13
	;; [unrolled: 1-line block ×5, first 2 shown]
	v_mov_b32_e32 v8, 0
	v_dot4c_i32_i8_e32 v8, v126, v4
	v_dot4c_i32_i8_e32 v8, v127, v5
	;; [unrolled: 1-line block ×11, first 2 shown]
	v_mul_lo_u32 v0, v57, v248
	v_mul_lo_u32 v1, v54, v248
	v_cvt_f32_i32_e32 v1, v1
	v_cvt_f32_i32_e32 v0, v0
	v_mul_lo_u32 v4, v73, v247
	v_mul_lo_u32 v5, v8, v247
	v_cvt_f32_i32_e32 v5, v5
	v_cvt_f32_i32_e32 v4, v4
	v_pk_fma_f32 v[2:3], v[118:119], v[204:205], 0 op_sel_hi:[0,1,0]
	v_pk_fma_f32 v[0:1], v[202:203], v[0:1], 0 op_sel_hi:[1,1,0]
	;; [unrolled: 1-line block ×3, first 2 shown]
	v_pk_fma_f32 v[0:1], v[198:199], v[4:5], v[0:1]
	v_pk_mul_f32 v[2:3], v[2:3], v[114:115]
	v_mov_b32_e32 v57, 0
	v_pk_fma_f32 v[0:1], v[0:1], v[112:113], v[2:3] neg_lo:[0,0,1] neg_hi:[0,0,1]
	v_mov_b32_e32 v73, 0
	v_pk_add_f32 v[40:41], v[40:41], v[0:1]
	v_or_b32_e32 v0, s18, v212
	v_lshlrev_b32_e32 v1, 2, v0
	v_lshrrev_b32_e32 v54, 1, v0
	ds_read_b128 v[12:15], v1 offset:33280
	ds_read_b128 v[8:11], v1 offset:33296
	;; [unrolled: 1-line block ×4, first 2 shown]
	ds_read_b64 v[196:197], v54 offset:43584
	v_mov_b32_e32 v255, 0
	v_mov_b32_e32 v75, 0
	;; [unrolled: 1-line block ×4, first 2 shown]
	s_waitcnt lgkmcnt(4)
	v_dot4c_i32_i8_e32 v57, v168, v12
	s_waitcnt lgkmcnt(2)
	v_dot4c_i32_i8_e32 v69, v162, v4
	v_dot4c_i32_i8_e32 v71, v128, v12
	;; [unrolled: 1-line block ×32, first 2 shown]
	s_waitcnt lgkmcnt(1)
	v_dot4c_i32_i8_e32 v69, v192, v0
	v_dot4c_i32_i8_e32 v71, v146, v8
	;; [unrolled: 1-line block ×15, first 2 shown]
	v_or_b32_e32 v0, s18, v215
	v_dot4c_i32_i8_e32 v57, v186, v10
	v_dot4c_i32_i8_e32 v69, v194, v2
	v_dot4c_i32_i8_e32 v71, v148, v10
	v_dot4c_i32_i8_e32 v73, v174, v2
	v_dot4c_i32_i8_e32 v255, v154, v10
	v_dot4c_i32_i8_e32 v75, v184, v2
	v_dot4c_i32_i8_e32 v77, v160, v10
	v_dot4c_i32_i8_e32 v79, v124, v2
	v_lshlrev_b32_e32 v1, 2, v0
	v_lshrrev_b32_e32 v54, 1, v0
	v_dot4c_i32_i8_e32 v57, v187, v11
	v_dot4c_i32_i8_e32 v69, v195, v3
	;; [unrolled: 1-line block ×8, first 2 shown]
	ds_read_b128 v[12:15], v1 offset:33280
	ds_read_b128 v[8:11], v1 offset:33296
	;; [unrolled: 1-line block ×4, first 2 shown]
	ds_read_b64 v[54:55], v54 offset:43584
	v_mov_b32_e32 v84, 0
	s_waitcnt lgkmcnt(4)
	v_dot4c_i32_i8_e32 v84, v168, v12
	v_mov_b32_e32 v86, 0
	v_dot4c_i32_i8_e32 v84, v169, v13
	s_waitcnt lgkmcnt(2)
	v_dot4c_i32_i8_e32 v86, v162, v4
	v_dot4c_i32_i8_e32 v84, v178, v14
	;; [unrolled: 1-line block ×8, first 2 shown]
	s_waitcnt lgkmcnt(1)
	v_dot4c_i32_i8_e32 v86, v192, v0
	v_dot4c_i32_i8_e32 v84, v186, v10
	;; [unrolled: 1-line block ×6, first 2 shown]
	s_waitcnt lgkmcnt(0)
	v_cvt_f32_f16_e32 v203, v54
	v_cvt_f32_f16_sdwa v205, v54 dst_sel:DWORD dst_unused:UNUSED_PAD src0_sel:WORD_1
	v_cvt_f32_f16_sdwa v204, v196 dst_sel:DWORD dst_unused:UNUSED_PAD src0_sel:WORD_1
	v_cvt_f32_f16_e32 v199, v55
	v_cvt_f32_f16_sdwa v201, v55 dst_sel:DWORD dst_unused:UNUSED_PAD src0_sel:WORD_1
	v_mul_lo_u32 v54, v57, v251
	v_mul_lo_u32 v55, v84, v251
	v_cvt_f32_f16_e32 v202, v196
	v_cvt_f32_f16_sdwa v200, v197 dst_sel:DWORD dst_unused:UNUSED_PAD src0_sel:WORD_1
	v_cvt_f32_i32_e32 v55, v55
	v_cvt_f32_i32_e32 v54, v54
	v_mul_lo_u32 v57, v69, v254
	v_mul_lo_u32 v69, v86, v254
	v_cvt_f32_f16_e32 v198, v197
	v_cvt_f32_i32_e32 v87, v69
	v_cvt_f32_i32_e32 v86, v57
	v_pk_fma_f32 v[84:85], v[142:143], v[204:205], 0 op_sel_hi:[0,1,0]
	v_pk_fma_f32 v[54:55], v[54:55], v[202:203], 0 op_sel_hi:[1,1,0]
	;; [unrolled: 1-line block ×3, first 2 shown]
	v_pk_fma_f32 v[54:55], v[86:87], v[198:199], v[54:55]
	v_pk_mul_f32 v[84:85], v[84:85], v[102:103]
	v_mov_b32_e32 v57, 0
	v_pk_fma_f32 v[54:55], v[54:55], v[100:101], v[84:85] neg_lo:[0,0,1] neg_hi:[0,0,1]
	v_dot4c_i32_i8_e32 v57, v138, v4
	v_pk_add_f32 v[38:39], v[38:39], v[54:55]
	v_mov_b32_e32 v54, 0
	v_dot4c_i32_i8_e32 v54, v128, v12
	v_dot4c_i32_i8_e32 v54, v129, v13
	;; [unrolled: 1-line block ×15, first 2 shown]
	v_mul_lo_u32 v69, v71, v249
	v_mul_lo_u32 v54, v54, v249
	v_cvt_f32_i32_e32 v55, v54
	v_cvt_f32_i32_e32 v54, v69
	v_mul_lo_u32 v69, v73, v252
	v_mul_lo_u32 v57, v57, v252
	v_cvt_f32_i32_e32 v87, v57
	v_cvt_f32_i32_e32 v86, v69
	v_pk_fma_f32 v[84:85], v[134:135], v[204:205], 0 op_sel_hi:[0,1,0]
	v_pk_fma_f32 v[54:55], v[54:55], v[202:203], 0 op_sel_hi:[1,1,0]
	;; [unrolled: 1-line block ×3, first 2 shown]
	v_pk_fma_f32 v[54:55], v[86:87], v[198:199], v[54:55]
	v_pk_mul_f32 v[84:85], v[84:85], v[106:107]
	v_mov_b32_e32 v57, 0
	v_pk_fma_f32 v[54:55], v[54:55], v[104:105], v[84:85] neg_lo:[0,0,1] neg_hi:[0,0,1]
	v_dot4c_i32_i8_e32 v57, v140, v4
	v_pk_add_f32 v[36:37], v[36:37], v[54:55]
	v_mov_b32_e32 v54, 0
	v_dot4c_i32_i8_e32 v54, v130, v12
	v_dot4c_i32_i8_e32 v54, v131, v13
	;; [unrolled: 1-line block ×15, first 2 shown]
	v_mul_lo_u32 v69, v255, v250
	v_mul_lo_u32 v54, v54, v250
	v_cvt_f32_i32_e32 v55, v54
	v_cvt_f32_i32_e32 v54, v69
	v_mul_lo_u32 v69, v75, v253
	v_mul_lo_u32 v57, v57, v253
	v_cvt_f32_i32_e32 v87, v57
	v_cvt_f32_i32_e32 v86, v69
	v_pk_fma_f32 v[84:85], v[136:137], v[204:205], 0 op_sel_hi:[0,1,0]
	v_pk_fma_f32 v[54:55], v[54:55], v[202:203], 0 op_sel_hi:[1,1,0]
	;; [unrolled: 1-line block ×3, first 2 shown]
	v_pk_fma_f32 v[54:55], v[86:87], v[198:199], v[54:55]
	v_pk_mul_f32 v[84:85], v[84:85], v[110:111]
	v_mov_b32_e32 v57, 0
	v_pk_fma_f32 v[54:55], v[54:55], v[108:109], v[84:85] neg_lo:[0,0,1] neg_hi:[0,0,1]
	v_mov_b32_e32 v69, 0
	v_pk_add_f32 v[34:35], v[34:35], v[54:55]
	v_mov_b32_e32 v54, 0
	v_dot4c_i32_i8_e32 v54, v132, v12
	v_dot4c_i32_i8_e32 v54, v133, v13
	;; [unrolled: 1-line block ×5, first 2 shown]
	v_mov_b32_e32 v8, 0
	v_dot4c_i32_i8_e32 v8, v126, v4
	v_dot4c_i32_i8_e32 v8, v127, v5
	;; [unrolled: 1-line block ×11, first 2 shown]
	v_mul_lo_u32 v0, v77, v248
	v_mul_lo_u32 v1, v54, v248
	v_cvt_f32_i32_e32 v1, v1
	v_cvt_f32_i32_e32 v0, v0
	v_mul_lo_u32 v4, v79, v247
	v_mul_lo_u32 v5, v8, v247
	v_cvt_f32_i32_e32 v5, v5
	v_cvt_f32_i32_e32 v4, v4
	v_pk_fma_f32 v[2:3], v[118:119], v[204:205], 0 op_sel_hi:[0,1,0]
	v_pk_fma_f32 v[0:1], v[0:1], v[202:203], 0 op_sel_hi:[1,1,0]
	;; [unrolled: 1-line block ×3, first 2 shown]
	v_pk_fma_f32 v[0:1], v[4:5], v[198:199], v[0:1]
	v_pk_mul_f32 v[2:3], v[2:3], v[114:115]
	v_mov_b32_e32 v71, 0
	v_pk_fma_f32 v[0:1], v[0:1], v[112:113], v[2:3] neg_lo:[0,0,1] neg_hi:[0,0,1]
	v_mov_b32_e32 v73, 0
	v_pk_add_f32 v[32:33], v[32:33], v[0:1]
	v_or_b32_e32 v0, s18, v218
	v_lshlrev_b32_e32 v1, 2, v0
	v_lshrrev_b32_e32 v54, 1, v0
	ds_read_b128 v[12:15], v1 offset:33280
	ds_read_b128 v[8:11], v1 offset:33296
	;; [unrolled: 1-line block ×4, first 2 shown]
	ds_read_b64 v[196:197], v54 offset:43584
	v_mov_b32_e32 v75, 0
	v_mov_b32_e32 v77, 0
	;; [unrolled: 1-line block ×4, first 2 shown]
	s_waitcnt lgkmcnt(4)
	v_dot4c_i32_i8_e32 v57, v168, v12
	s_waitcnt lgkmcnt(2)
	v_dot4c_i32_i8_e32 v69, v162, v4
	v_dot4c_i32_i8_e32 v71, v128, v12
	;; [unrolled: 1-line block ×32, first 2 shown]
	s_waitcnt lgkmcnt(1)
	v_dot4c_i32_i8_e32 v69, v192, v0
	v_dot4c_i32_i8_e32 v71, v146, v8
	;; [unrolled: 1-line block ×15, first 2 shown]
	v_or_b32_e32 v0, s18, v221
	v_dot4c_i32_i8_e32 v57, v186, v10
	v_dot4c_i32_i8_e32 v69, v194, v2
	;; [unrolled: 1-line block ×8, first 2 shown]
	v_lshlrev_b32_e32 v1, 2, v0
	v_lshrrev_b32_e32 v54, 1, v0
	v_dot4c_i32_i8_e32 v57, v187, v11
	v_dot4c_i32_i8_e32 v69, v195, v3
	;; [unrolled: 1-line block ×8, first 2 shown]
	ds_read_b128 v[12:15], v1 offset:33280
	ds_read_b128 v[8:11], v1 offset:33296
	;; [unrolled: 1-line block ×4, first 2 shown]
	ds_read_b64 v[54:55], v54 offset:43584
	v_mov_b32_e32 v84, 0
	s_waitcnt lgkmcnt(4)
	v_dot4c_i32_i8_e32 v84, v168, v12
	v_mov_b32_e32 v86, 0
	v_dot4c_i32_i8_e32 v84, v169, v13
	s_waitcnt lgkmcnt(2)
	v_dot4c_i32_i8_e32 v86, v162, v4
	v_dot4c_i32_i8_e32 v84, v178, v14
	v_dot4c_i32_i8_e32 v86, v163, v5
	v_dot4c_i32_i8_e32 v84, v179, v15
	v_dot4c_i32_i8_e32 v86, v190, v6
	v_dot4c_i32_i8_e32 v84, v182, v8
	v_dot4c_i32_i8_e32 v86, v191, v7
	v_dot4c_i32_i8_e32 v84, v183, v9
	s_waitcnt lgkmcnt(1)
	v_dot4c_i32_i8_e32 v86, v192, v0
	v_dot4c_i32_i8_e32 v84, v186, v10
	;; [unrolled: 1-line block ×6, first 2 shown]
	s_waitcnt lgkmcnt(0)
	v_cvt_f32_f16_e32 v203, v54
	v_cvt_f32_f16_sdwa v205, v54 dst_sel:DWORD dst_unused:UNUSED_PAD src0_sel:WORD_1
	v_cvt_f32_f16_sdwa v204, v196 dst_sel:DWORD dst_unused:UNUSED_PAD src0_sel:WORD_1
	v_cvt_f32_f16_e32 v199, v55
	v_cvt_f32_f16_sdwa v201, v55 dst_sel:DWORD dst_unused:UNUSED_PAD src0_sel:WORD_1
	v_mul_lo_u32 v54, v57, v251
	v_mul_lo_u32 v55, v84, v251
	v_cvt_f32_f16_e32 v202, v196
	v_cvt_f32_f16_sdwa v200, v197 dst_sel:DWORD dst_unused:UNUSED_PAD src0_sel:WORD_1
	v_cvt_f32_i32_e32 v55, v55
	v_cvt_f32_i32_e32 v54, v54
	v_mul_lo_u32 v57, v69, v254
	v_mul_lo_u32 v69, v86, v254
	v_cvt_f32_f16_e32 v198, v197
	v_cvt_f32_i32_e32 v87, v69
	v_cvt_f32_i32_e32 v86, v57
	v_pk_fma_f32 v[84:85], v[142:143], v[204:205], 0 op_sel_hi:[0,1,0]
	v_pk_fma_f32 v[54:55], v[54:55], v[202:203], 0 op_sel_hi:[1,1,0]
	;; [unrolled: 1-line block ×3, first 2 shown]
	v_pk_fma_f32 v[54:55], v[86:87], v[198:199], v[54:55]
	v_pk_mul_f32 v[84:85], v[84:85], v[102:103]
	v_mov_b32_e32 v57, 0
	v_pk_fma_f32 v[54:55], v[54:55], v[100:101], v[84:85] neg_lo:[0,0,1] neg_hi:[0,0,1]
	v_dot4c_i32_i8_e32 v57, v138, v4
	v_pk_add_f32 v[30:31], v[30:31], v[54:55]
	v_mov_b32_e32 v54, 0
	v_dot4c_i32_i8_e32 v54, v128, v12
	v_dot4c_i32_i8_e32 v54, v129, v13
	;; [unrolled: 1-line block ×15, first 2 shown]
	v_mul_lo_u32 v69, v71, v249
	v_mul_lo_u32 v54, v54, v249
	v_cvt_f32_i32_e32 v55, v54
	v_cvt_f32_i32_e32 v54, v69
	v_mul_lo_u32 v69, v73, v252
	v_mul_lo_u32 v57, v57, v252
	v_cvt_f32_i32_e32 v87, v57
	v_cvt_f32_i32_e32 v86, v69
	v_pk_fma_f32 v[84:85], v[134:135], v[204:205], 0 op_sel_hi:[0,1,0]
	v_pk_fma_f32 v[54:55], v[54:55], v[202:203], 0 op_sel_hi:[1,1,0]
	v_pk_fma_f32 v[84:85], v[164:165], v[200:201], v[84:85] op_sel_hi:[0,1,1]
	v_pk_fma_f32 v[54:55], v[86:87], v[198:199], v[54:55]
	v_pk_mul_f32 v[84:85], v[84:85], v[106:107]
	v_mov_b32_e32 v57, 0
	v_pk_fma_f32 v[54:55], v[54:55], v[104:105], v[84:85] neg_lo:[0,0,1] neg_hi:[0,0,1]
	v_dot4c_i32_i8_e32 v57, v140, v4
	v_pk_add_f32 v[28:29], v[28:29], v[54:55]
	v_mov_b32_e32 v54, 0
	v_dot4c_i32_i8_e32 v54, v130, v12
	v_dot4c_i32_i8_e32 v54, v131, v13
	;; [unrolled: 1-line block ×15, first 2 shown]
	v_mul_lo_u32 v69, v75, v250
	v_mul_lo_u32 v54, v54, v250
	v_cvt_f32_i32_e32 v55, v54
	v_cvt_f32_i32_e32 v54, v69
	v_mul_lo_u32 v69, v77, v253
	v_mul_lo_u32 v57, v57, v253
	v_cvt_f32_i32_e32 v87, v57
	v_cvt_f32_i32_e32 v86, v69
	v_pk_fma_f32 v[84:85], v[136:137], v[204:205], 0 op_sel_hi:[0,1,0]
	v_pk_fma_f32 v[54:55], v[54:55], v[202:203], 0 op_sel_hi:[1,1,0]
	;; [unrolled: 1-line block ×3, first 2 shown]
	v_pk_fma_f32 v[54:55], v[86:87], v[198:199], v[54:55]
	v_pk_mul_f32 v[84:85], v[84:85], v[110:111]
	v_mov_b32_e32 v57, 0
	v_pk_fma_f32 v[54:55], v[54:55], v[108:109], v[84:85] neg_lo:[0,0,1] neg_hi:[0,0,1]
	v_mov_b32_e32 v69, 0
	v_pk_add_f32 v[26:27], v[26:27], v[54:55]
	v_mov_b32_e32 v54, 0
	v_dot4c_i32_i8_e32 v54, v132, v12
	v_dot4c_i32_i8_e32 v54, v133, v13
	;; [unrolled: 1-line block ×5, first 2 shown]
	v_mov_b32_e32 v8, 0
	v_dot4c_i32_i8_e32 v8, v126, v4
	v_dot4c_i32_i8_e32 v8, v127, v5
	;; [unrolled: 1-line block ×11, first 2 shown]
	v_mul_lo_u32 v0, v79, v248
	v_mul_lo_u32 v1, v54, v248
	v_cvt_f32_i32_e32 v1, v1
	v_cvt_f32_i32_e32 v0, v0
	v_mul_lo_u32 v4, v255, v247
	v_mul_lo_u32 v5, v8, v247
	v_cvt_f32_i32_e32 v5, v5
	v_cvt_f32_i32_e32 v4, v4
	v_pk_fma_f32 v[2:3], v[118:119], v[204:205], 0 op_sel_hi:[0,1,0]
	v_pk_fma_f32 v[0:1], v[0:1], v[202:203], 0 op_sel_hi:[1,1,0]
	;; [unrolled: 1-line block ×3, first 2 shown]
	v_pk_fma_f32 v[0:1], v[4:5], v[198:199], v[0:1]
	v_pk_mul_f32 v[2:3], v[2:3], v[114:115]
	v_mov_b32_e32 v71, 0
	v_pk_fma_f32 v[0:1], v[0:1], v[112:113], v[2:3] neg_lo:[0,0,1] neg_hi:[0,0,1]
	v_mov_b32_e32 v73, 0
	v_pk_add_f32 v[24:25], v[24:25], v[0:1]
	v_or_b32_e32 v0, s18, v224
	v_lshlrev_b32_e32 v1, 2, v0
	v_lshrrev_b32_e32 v54, 1, v0
	ds_read_b128 v[12:15], v1 offset:33280
	ds_read_b128 v[8:11], v1 offset:33296
	;; [unrolled: 1-line block ×4, first 2 shown]
	ds_read_b64 v[196:197], v54 offset:43584
	v_mov_b32_e32 v75, 0
	v_mov_b32_e32 v77, 0
	;; [unrolled: 1-line block ×4, first 2 shown]
	s_waitcnt lgkmcnt(4)
	v_dot4c_i32_i8_e32 v57, v168, v12
	s_waitcnt lgkmcnt(2)
	v_dot4c_i32_i8_e32 v69, v162, v4
	v_dot4c_i32_i8_e32 v71, v128, v12
	;; [unrolled: 1-line block ×32, first 2 shown]
	s_waitcnt lgkmcnt(1)
	v_dot4c_i32_i8_e32 v69, v192, v0
	v_dot4c_i32_i8_e32 v71, v146, v8
	;; [unrolled: 1-line block ×15, first 2 shown]
	v_or_b32_e32 v0, s18, v227
	v_dot4c_i32_i8_e32 v57, v186, v10
	v_dot4c_i32_i8_e32 v69, v194, v2
	;; [unrolled: 1-line block ×8, first 2 shown]
	v_lshlrev_b32_e32 v1, 2, v0
	v_lshrrev_b32_e32 v54, 1, v0
	v_dot4c_i32_i8_e32 v57, v187, v11
	v_dot4c_i32_i8_e32 v69, v195, v3
	;; [unrolled: 1-line block ×8, first 2 shown]
	ds_read_b128 v[12:15], v1 offset:33280
	ds_read_b128 v[8:11], v1 offset:33296
	;; [unrolled: 1-line block ×4, first 2 shown]
	ds_read_b64 v[54:55], v54 offset:43584
	v_mov_b32_e32 v79, 0
	s_waitcnt lgkmcnt(4)
	v_dot4c_i32_i8_e32 v79, v168, v12
	v_mov_b32_e32 v86, 0
	v_dot4c_i32_i8_e32 v79, v169, v13
	s_waitcnt lgkmcnt(2)
	v_dot4c_i32_i8_e32 v86, v162, v4
	v_dot4c_i32_i8_e32 v79, v178, v14
	;; [unrolled: 1-line block ×8, first 2 shown]
	s_waitcnt lgkmcnt(1)
	v_dot4c_i32_i8_e32 v86, v192, v0
	v_dot4c_i32_i8_e32 v79, v186, v10
	v_dot4c_i32_i8_e32 v86, v193, v1
	v_dot4c_i32_i8_e32 v79, v187, v11
	v_dot4c_i32_i8_e32 v86, v194, v2
	v_dot4c_i32_i8_e32 v86, v195, v3
	s_waitcnt lgkmcnt(0)
	v_cvt_f32_f16_e32 v183, v54
	v_cvt_f32_f16_sdwa v179, v54 dst_sel:DWORD dst_unused:UNUSED_PAD src0_sel:WORD_1
	v_cvt_f32_f16_sdwa v178, v196 dst_sel:DWORD dst_unused:UNUSED_PAD src0_sel:WORD_1
	v_cvt_f32_f16_e32 v169, v55
	v_cvt_f32_f16_sdwa v163, v55 dst_sel:DWORD dst_unused:UNUSED_PAD src0_sel:WORD_1
	v_mul_lo_u32 v54, v57, v251
	v_mul_lo_u32 v55, v79, v251
	v_cvt_f32_f16_e32 v182, v196
	v_cvt_f32_f16_sdwa v162, v197 dst_sel:DWORD dst_unused:UNUSED_PAD src0_sel:WORD_1
	v_cvt_f32_i32_e32 v55, v55
	v_cvt_f32_i32_e32 v54, v54
	v_mul_lo_u32 v57, v69, v254
	v_mul_lo_u32 v69, v86, v254
	v_cvt_f32_f16_e32 v168, v197
	v_cvt_f32_i32_e32 v87, v69
	v_cvt_f32_i32_e32 v86, v57
	v_pk_fma_f32 v[84:85], v[142:143], v[178:179], 0 op_sel_hi:[0,1,0]
	v_pk_fma_f32 v[54:55], v[54:55], v[182:183], 0 op_sel_hi:[1,1,0]
	;; [unrolled: 1-line block ×3, first 2 shown]
	v_pk_fma_f32 v[54:55], v[86:87], v[168:169], v[54:55]
	v_pk_mul_f32 v[84:85], v[84:85], v[102:103]
	v_mov_b32_e32 v57, 0
	v_pk_fma_f32 v[54:55], v[54:55], v[100:101], v[84:85] neg_lo:[0,0,1] neg_hi:[0,0,1]
	v_dot4c_i32_i8_e32 v57, v138, v4
	v_pk_add_f32 v[22:23], v[22:23], v[54:55]
	v_mov_b32_e32 v54, 0
	v_dot4c_i32_i8_e32 v54, v128, v12
	v_dot4c_i32_i8_e32 v54, v129, v13
	;; [unrolled: 1-line block ×15, first 2 shown]
	v_mul_lo_u32 v69, v71, v249
	v_mul_lo_u32 v54, v54, v249
	v_cvt_f32_i32_e32 v55, v54
	v_cvt_f32_i32_e32 v54, v69
	v_mul_lo_u32 v69, v73, v252
	v_mul_lo_u32 v57, v57, v252
	v_cvt_f32_i32_e32 v87, v57
	v_cvt_f32_i32_e32 v86, v69
	v_pk_fma_f32 v[84:85], v[134:135], v[178:179], 0 op_sel_hi:[0,1,0]
	v_pk_fma_f32 v[54:55], v[54:55], v[182:183], 0 op_sel_hi:[1,1,0]
	;; [unrolled: 1-line block ×3, first 2 shown]
	v_pk_fma_f32 v[54:55], v[86:87], v[168:169], v[54:55]
	v_pk_mul_f32 v[84:85], v[84:85], v[106:107]
	v_mov_b32_e32 v128, 0
	v_pk_fma_f32 v[54:55], v[54:55], v[104:105], v[84:85] neg_lo:[0,0,1] neg_hi:[0,0,1]
	v_dot4c_i32_i8_e32 v128, v132, v12
	v_pk_add_f32 v[20:21], v[20:21], v[54:55]
	v_mov_b32_e32 v54, 0
	v_dot4c_i32_i8_e32 v54, v130, v12
	v_dot4c_i32_i8_e32 v54, v131, v13
	;; [unrolled: 1-line block ×8, first 2 shown]
	v_mov_b32_e32 v57, 0
	v_dot4c_i32_i8_e32 v128, v158, v8
	v_mov_b32_e32 v8, 0
	v_dot4c_i32_i8_e32 v57, v140, v4
	v_dot4c_i32_i8_e32 v8, v126, v4
	;; [unrolled: 1-line block ×21, first 2 shown]
	v_mul_lo_u32 v69, v75, v250
	v_mul_lo_u32 v54, v54, v250
	v_dot4c_i32_i8_e32 v8, v125, v3
	v_mul_lo_u32 v0, v199, v248
	v_mul_lo_u32 v1, v128, v248
	v_cvt_f32_i32_e32 v55, v54
	v_cvt_f32_i32_e32 v54, v69
	v_mul_lo_u32 v69, v77, v253
	v_mul_lo_u32 v57, v57, v253
	v_cvt_f32_i32_e32 v1, v1
	v_cvt_f32_i32_e32 v0, v0
	;; [unrolled: 4-line block ×3, first 2 shown]
	v_cvt_f32_i32_e32 v5, v5
	v_cvt_f32_i32_e32 v4, v4
	v_pk_fma_f32 v[84:85], v[136:137], v[178:179], 0 op_sel_hi:[0,1,0]
	v_pk_fma_f32 v[2:3], v[118:119], v[178:179], 0 op_sel_hi:[0,1,0]
	;; [unrolled: 1-line block ×6, first 2 shown]
	v_pk_fma_f32 v[54:55], v[86:87], v[168:169], v[54:55]
	v_pk_mul_f32 v[84:85], v[84:85], v[110:111]
	v_pk_fma_f32 v[0:1], v[4:5], v[168:169], v[0:1]
	v_pk_mul_f32 v[2:3], v[2:3], v[114:115]
	v_pk_fma_f32 v[54:55], v[54:55], v[108:109], v[84:85] neg_lo:[0,0,1] neg_hi:[0,0,1]
	v_pk_fma_f32 v[0:1], v[0:1], v[112:113], v[2:3] neg_lo:[0,0,1] neg_hi:[0,0,1]
	v_pk_add_f32 v[18:19], v[18:19], v[54:55]
	v_pk_add_f32 v[16:17], v[16:17], v[0:1]
	s_mov_b32 s19, 8
	s_and_b64 vcc, exec, s[4:5]
	s_mov_b64 s[4:5], 0
	s_cbranch_vccnz .LBB133_6
; %bb.7:                                ;   in Loop: Header=BB133_5 Depth=1
	v_add_u32_e32 v14, s17, v230
	v_add_u32_e32 v0, v14, v206
	;; [unrolled: 1-line block ×6, first 2 shown]
	v_mad_i64_i32 v[0:1], s[4:5], v0, 36, v[92:93]
	v_mad_i64_i32 v[2:3], s[4:5], v2, 36, v[92:93]
	;; [unrolled: 1-line block ×5, first 2 shown]
	v_add_u32_e32 v10, v14, v220
	v_add_u32_e32 v12, v14, v223
	;; [unrolled: 1-line block ×3, first 2 shown]
	s_barrier
	v_mad_i64_i32 v[10:11], s[4:5], v10, 36, v[92:93]
	v_mad_i64_i32 v[12:13], s[4:5], v12, 36, v[92:93]
	;; [unrolled: 1-line block ×3, first 2 shown]
	global_load_dword v54, v[0:1], off offset:4
	s_nop 0
	global_load_dword v2, v[2:3], off offset:4
	s_nop 0
	;; [unrolled: 2-line block ×3, first 2 shown]
	global_load_dword v4, v[6:7], off offset:4
	global_load_dword v5, v[8:9], off offset:4
	s_nop 0
	global_load_dword v6, v[10:11], off offset:4
	global_load_dword v7, v[12:13], off offset:4
	;; [unrolled: 1-line block ×3, first 2 shown]
	v_add_u32_e32 v0, 4, v246
	v_mad_u64_u32 v[0:1], s[4:5], v0, 36, s[2:3]
	global_load_dword v0, v[0:1], off
	s_mov_b32 s4, 16
	s_waitcnt vmcnt(8)
	ds_write_b32 v207, v54
	s_waitcnt vmcnt(7)
	ds_write_b32 v210, v2
	;; [unrolled: 2-line block ×9, first 2 shown]
	s_waitcnt lgkmcnt(0)
	s_barrier
	ds_read_b32 v0, v229
	ds_read_b32 v1, v231 offset:128
	ds_read_b32 v2, v232 offset:256
	;; [unrolled: 1-line block ×3, first 2 shown]
	s_waitcnt lgkmcnt(2)
	v_cvt_f32_f16_e32 v104, v1
	v_cvt_f32_f16_e32 v100, v0
	v_cvt_f32_f16_sdwa v102, v0 dst_sel:DWORD dst_unused:UNUSED_PAD src0_sel:WORD_1
	v_cvt_f32_f16_sdwa v106, v1 dst_sel:DWORD dst_unused:UNUSED_PAD src0_sel:WORD_1
	s_waitcnt lgkmcnt(1)
	v_cvt_f32_f16_e32 v108, v2
	v_cvt_f32_f16_sdwa v110, v2 dst_sel:DWORD dst_unused:UNUSED_PAD src0_sel:WORD_1
	s_waitcnt lgkmcnt(0)
	v_cvt_f32_f16_e32 v112, v3
	v_cvt_f32_f16_sdwa v114, v3 dst_sel:DWORD dst_unused:UNUSED_PAD src0_sel:WORD_1
	v_mov_b32_e32 v101, v100
	v_mov_b32_e32 v103, v102
	;; [unrolled: 1-line block ×8, first 2 shown]
.LBB133_8:                              ;   Parent Loop BB133_5 Depth=1
                                        ; =>  This Inner Loop Header: Depth=2
	s_lshr_b32 s5, s4, 2
	s_and_b32 s17, s5, 0x3ffffffe
	s_lshl_b32 s5, s4, 1
	s_and_b32 s5, s5, 16
	v_or_b32_e32 v0, s5, v119
	v_lshlrev_b32_e32 v1, 2, v0
	v_lshrrev_b32_e32 v54, 1, v0
	s_add_i32 s17, s17, 0xa200
	s_lshl_b32 s18, s4, 3
	ds_read_b128 v[12:15], v1 offset:33280
	ds_read_b128 v[8:11], v1 offset:33296
	;; [unrolled: 1-line block ×4, first 2 shown]
	ds_read_b64 v[196:197], v54 offset:43584
	v_add3_u32 v54, s17, v238, v239
	v_add_u32_e32 v55, s18, v234
	ds_read2_b32 v[180:181], v55 offset1:1
	ds_read2_b32 v[182:183], v55 offset0:2 offset1:3
	ds_read2_b32 v[184:185], v55 offset0:4 offset1:5
	;; [unrolled: 1-line block ×3, first 2 shown]
	ds_read_u16 v57, v54
	ds_read_u16 v54, v54 offset:8
	ds_read2_b32 v[162:163], v55 offset0:8 offset1:9
	ds_read2_b32 v[190:191], v55 offset0:10 offset1:11
	;; [unrolled: 1-line block ×4, first 2 shown]
	s_waitcnt lgkmcnt(4)
	v_cvt_f32_ubyte0_e32 v142, v54
	v_cvt_f32_ubyte1_e32 v188, v54
	v_add3_u32 v54, s17, v240, v241
	v_add_u32_e32 v55, s18, v235
	v_and_b32_e32 v250, 0xff, v57
	v_lshrrev_b16_e32 v253, 8, v57
	ds_read2_b32 v[132:133], v55 offset1:1
	ds_read2_b32 v[150:151], v55 offset0:2 offset1:3
	ds_read2_b32 v[156:157], v55 offset0:4 offset1:5
	;; [unrolled: 1-line block ×3, first 2 shown]
	ds_read_u16 v57, v54
	ds_read_u16 v54, v54 offset:8
	ds_read2_b32 v[140:141], v55 offset0:8 offset1:9
	ds_read2_b32 v[170:171], v55 offset0:10 offset1:11
	;; [unrolled: 1-line block ×4, first 2 shown]
	s_waitcnt lgkmcnt(4)
	v_cvt_f32_ubyte0_e32 v136, v54
	v_cvt_f32_ubyte1_e32 v166, v54
	v_add3_u32 v54, s17, v242, v243
	v_add_u32_e32 v55, s18, v236
	ds_read2_b32 v[130:131], v55 offset1:1
	ds_read2_b32 v[146:147], v55 offset0:2 offset1:3
	ds_read2_b32 v[152:153], v55 offset0:4 offset1:5
	;; [unrolled: 1-line block ×3, first 2 shown]
	ds_read_u16 v75, v54
	ds_read_u16 v54, v54 offset:8
	v_mov_b32_e32 v69, 0
	v_mov_b32_e32 v254, 0
	v_and_b32_e32 v249, 0xff, v57
	s_waitcnt lgkmcnt(1)
	v_and_b32_e32 v248, 0xff, v75
	v_lshrrev_b16_e32 v251, 8, v75
	v_add_u32_e32 v75, s18, v237
	ds_read2_b32 v[128:129], v75 offset1:1
	ds_read2_b32 v[144:145], v75 offset0:2 offset1:3
	ds_read2_b32 v[148:149], v75 offset0:4 offset1:5
	;; [unrolled: 1-line block ×3, first 2 shown]
	v_lshrrev_b16_e32 v252, 8, v57
	v_mov_b32_e32 v57, 0
	ds_read2_b32 v[138:139], v55 offset0:8 offset1:9
	ds_read2_b32 v[168:169], v55 offset0:10 offset1:11
	;; [unrolled: 1-line block ×4, first 2 shown]
	v_mov_b32_e32 v55, 0
	v_dot4c_i32_i8_e32 v69, v180, v12
	v_dot4c_i32_i8_e32 v254, v132, v12
	;; [unrolled: 1-line block ×3, first 2 shown]
	s_waitcnt lgkmcnt(7)
	v_dot4c_i32_i8_e32 v55, v128, v12
	v_dot4c_i32_i8_e32 v69, v181, v13
	v_dot4c_i32_i8_e32 v254, v133, v13
	v_dot4c_i32_i8_e32 v57, v131, v13
	v_dot4c_i32_i8_e32 v55, v129, v13
	v_dot4c_i32_i8_e32 v69, v182, v14
	v_dot4c_i32_i8_e32 v254, v150, v14
	v_dot4c_i32_i8_e32 v57, v146, v14
	s_waitcnt lgkmcnt(6)
	v_dot4c_i32_i8_e32 v55, v144, v14
	v_dot4c_i32_i8_e32 v69, v183, v15
	;; [unrolled: 1-line block ×8, first 2 shown]
	v_cvt_f32_ubyte0_e32 v134, v54
	v_cvt_f32_ubyte1_e32 v164, v54
	v_add3_u32 v54, s17, v244, v245
	s_waitcnt lgkmcnt(5)
	v_dot4c_i32_i8_e32 v55, v148, v8
	v_dot4c_i32_i8_e32 v69, v185, v9
	;; [unrolled: 1-line block ×5, first 2 shown]
	ds_read_u16 v8, v54
	ds_read_u16 v9, v54 offset:8
	ds_read2_b32 v[126:127], v75 offset0:8 offset1:9
	ds_read2_b32 v[120:121], v75 offset0:10 offset1:11
	;; [unrolled: 1-line block ×4, first 2 shown]
	v_mov_b32_e32 v71, 0
	v_mov_b32_e32 v73, 0
	;; [unrolled: 1-line block ×4, first 2 shown]
	v_dot4c_i32_i8_e32 v71, v162, v4
	v_dot4c_i32_i8_e32 v73, v140, v4
	s_waitcnt lgkmcnt(9)
	v_dot4c_i32_i8_e32 v77, v138, v4
	s_waitcnt lgkmcnt(3)
	v_dot4c_i32_i8_e32 v54, v126, v4
	v_dot4c_i32_i8_e32 v71, v163, v5
	;; [unrolled: 1-line block ×8, first 2 shown]
	s_waitcnt lgkmcnt(2)
	v_dot4c_i32_i8_e32 v54, v120, v6
	v_dot4c_i32_i8_e32 v71, v191, v7
	;; [unrolled: 1-line block ×8, first 2 shown]
	s_waitcnt lgkmcnt(1)
	v_dot4c_i32_i8_e32 v54, v122, v0
	v_dot4c_i32_i8_e32 v71, v193, v1
	;; [unrolled: 1-line block ×5, first 2 shown]
	v_or_b32_e32 v0, s5, v209
	v_dot4c_i32_i8_e32 v69, v186, v10
	v_dot4c_i32_i8_e32 v71, v194, v2
	v_dot4c_i32_i8_e32 v254, v160, v10
	v_dot4c_i32_i8_e32 v73, v178, v2
	v_dot4c_i32_i8_e32 v57, v158, v10
	v_dot4c_i32_i8_e32 v77, v176, v2
	v_dot4c_i32_i8_e32 v55, v154, v10
	s_waitcnt lgkmcnt(0)
	v_dot4c_i32_i8_e32 v54, v124, v2
	v_lshlrev_b32_e32 v1, 2, v0
	v_dot4c_i32_i8_e32 v69, v187, v11
	v_dot4c_i32_i8_e32 v71, v195, v3
	;; [unrolled: 1-line block ×7, first 2 shown]
	v_and_b32_e32 v247, 0xff, v8
	v_cvt_f32_ubyte0_e32 v118, v9
	v_dot4c_i32_i8_e32 v54, v125, v3
	v_lshrrev_b16_e32 v246, 8, v8
	v_cvt_f32_ubyte1_e32 v116, v9
	v_lshrrev_b32_e32 v75, 1, v0
	ds_read_b128 v[12:15], v1 offset:33280
	ds_read_b128 v[8:11], v1 offset:33296
	;; [unrolled: 1-line block ×4, first 2 shown]
	ds_read_b64 v[84:85], v75 offset:43584
	v_mov_b32_e32 v79, 0
	v_mov_b32_e32 v75, 0
	s_waitcnt lgkmcnt(2)
	v_dot4c_i32_i8_e32 v79, v162, v4
	v_dot4c_i32_i8_e32 v79, v163, v5
	;; [unrolled: 1-line block ×7, first 2 shown]
	s_waitcnt lgkmcnt(1)
	v_dot4c_i32_i8_e32 v79, v192, v0
	v_dot4c_i32_i8_e32 v75, v183, v15
	;; [unrolled: 1-line block ×5, first 2 shown]
	v_mul_lo_u32 v69, v69, v250
	v_dot4c_i32_i8_e32 v75, v185, v9
	v_dot4c_i32_i8_e32 v79, v195, v3
	s_waitcnt lgkmcnt(0)
	v_cvt_f32_f16_e32 v203, v84
	v_cvt_f32_f16_sdwa v205, v84 dst_sel:DWORD dst_unused:UNUSED_PAD src0_sel:WORD_1
	v_cvt_f32_i32_e32 v84, v69
	v_mul_lo_u32 v69, v71, v253
	v_dot4c_i32_i8_e32 v75, v186, v10
	v_cvt_f32_f16_e32 v202, v196
	v_cvt_f32_f16_sdwa v204, v196 dst_sel:DWORD dst_unused:UNUSED_PAD src0_sel:WORD_1
	v_mul_lo_u32 v71, v79, v253
	v_cvt_f32_i32_e32 v196, v69
	v_mov_b32_e32 v69, 0
	v_dot4c_i32_i8_e32 v75, v187, v11
	v_cvt_f32_f16_e32 v198, v197
	v_cvt_f32_f16_sdwa v200, v197 dst_sel:DWORD dst_unused:UNUSED_PAD src0_sel:WORD_1
	v_cvt_f32_i32_e32 v197, v71
	v_dot4c_i32_i8_e32 v69, v132, v12
	v_mov_b32_e32 v71, 0
	v_mul_lo_u32 v75, v75, v250
	v_dot4c_i32_i8_e32 v69, v133, v13
	v_dot4c_i32_i8_e32 v71, v140, v4
	v_cvt_f32_f16_e32 v199, v85
	v_cvt_f32_f16_sdwa v201, v85 dst_sel:DWORD dst_unused:UNUSED_PAD src0_sel:WORD_1
	v_cvt_f32_i32_e32 v85, v75
	v_dot4c_i32_i8_e32 v69, v150, v14
	v_dot4c_i32_i8_e32 v71, v141, v5
	;; [unrolled: 1-line block ×6, first 2 shown]
	v_pk_fma_f32 v[86:87], v[142:143], v[204:205], 0 op_sel_hi:[0,1,0]
	v_dot4c_i32_i8_e32 v69, v157, v9
	v_dot4c_i32_i8_e32 v71, v174, v0
	v_pk_fma_f32 v[84:85], v[202:203], v[84:85], 0 op_sel_hi:[1,1,0]
	v_pk_fma_f32 v[86:87], v[188:189], v[200:201], v[86:87] op_sel_hi:[0,1,1]
	v_dot4c_i32_i8_e32 v69, v160, v10
	v_dot4c_i32_i8_e32 v71, v175, v1
	v_pk_fma_f32 v[84:85], v[198:199], v[196:197], v[84:85]
	v_pk_mul_f32 v[86:87], v[86:87], v[102:103]
	v_dot4c_i32_i8_e32 v69, v161, v11
	v_dot4c_i32_i8_e32 v71, v178, v2
	v_pk_fma_f32 v[84:85], v[84:85], v[100:101], v[86:87] neg_lo:[0,0,1] neg_hi:[0,0,1]
	v_dot4c_i32_i8_e32 v71, v179, v3
	v_mul_lo_u32 v75, v254, v249
	v_mul_lo_u32 v69, v69, v249
	v_pk_add_f32 v[52:53], v[52:53], v[84:85]
	v_cvt_f32_i32_e32 v85, v69
	v_cvt_f32_i32_e32 v84, v75
	v_mul_lo_u32 v69, v73, v252
	v_mul_lo_u32 v71, v71, v252
	v_cvt_f32_i32_e32 v197, v71
	v_cvt_f32_i32_e32 v196, v69
	v_pk_fma_f32 v[86:87], v[136:137], v[204:205], 0 op_sel_hi:[0,1,0]
	v_pk_fma_f32 v[84:85], v[202:203], v[84:85], 0 op_sel_hi:[1,1,0]
	;; [unrolled: 1-line block ×3, first 2 shown]
	v_pk_fma_f32 v[84:85], v[198:199], v[196:197], v[84:85]
	v_pk_mul_f32 v[86:87], v[86:87], v[106:107]
	v_mul_lo_u32 v57, v57, v248
	v_pk_fma_f32 v[84:85], v[84:85], v[104:105], v[86:87] neg_lo:[0,0,1] neg_hi:[0,0,1]
	v_mov_b32_e32 v69, 0
	v_pk_add_f32 v[48:49], v[48:49], v[84:85]
	v_cvt_f32_i32_e32 v84, v57
	v_mul_lo_u32 v57, v77, v251
	v_cvt_f32_i32_e32 v196, v57
	v_mov_b32_e32 v57, 0
	v_dot4c_i32_i8_e32 v69, v130, v12
	v_dot4c_i32_i8_e32 v57, v128, v12
	;; [unrolled: 1-line block ×10, first 2 shown]
	v_mov_b32_e32 v8, 0
	v_dot4c_i32_i8_e32 v8, v126, v4
	v_mov_b32_e32 v71, 0
	v_dot4c_i32_i8_e32 v8, v127, v5
	v_dot4c_i32_i8_e32 v71, v138, v4
	;; [unrolled: 1-line block ×16, first 2 shown]
	v_mul_lo_u32 v0, v55, v247
	v_mul_lo_u32 v1, v57, v247
	v_dot4c_i32_i8_e32 v69, v153, v9
	v_cvt_f32_i32_e32 v1, v1
	v_cvt_f32_i32_e32 v0, v0
	v_mul_lo_u32 v4, v54, v246
	v_mul_lo_u32 v5, v8, v246
	v_dot4c_i32_i8_e32 v69, v158, v10
	v_cvt_f32_i32_e32 v5, v5
	v_cvt_f32_i32_e32 v4, v4
	v_dot4c_i32_i8_e32 v69, v159, v11
	v_dot4c_i32_i8_e32 v71, v176, v2
	v_dot4c_i32_i8_e32 v71, v177, v3
	v_pk_fma_f32 v[2:3], v[118:119], v[204:205], 0 op_sel_hi:[0,1,0]
	v_mul_lo_u32 v69, v69, v248
	v_cvt_f32_i32_e32 v85, v69
	v_mul_lo_u32 v69, v71, v251
	v_pk_fma_f32 v[0:1], v[202:203], v[0:1], 0 op_sel_hi:[1,1,0]
	v_pk_fma_f32 v[2:3], v[116:117], v[200:201], v[2:3] op_sel_hi:[0,1,1]
	v_cvt_f32_i32_e32 v197, v69
	v_pk_fma_f32 v[0:1], v[198:199], v[4:5], v[0:1]
	v_pk_mul_f32 v[2:3], v[2:3], v[114:115]
	v_pk_fma_f32 v[84:85], v[202:203], v[84:85], 0 op_sel_hi:[1,1,0]
	v_pk_fma_f32 v[0:1], v[0:1], v[112:113], v[2:3] neg_lo:[0,0,1] neg_hi:[0,0,1]
	v_pk_fma_f32 v[84:85], v[198:199], v[196:197], v[84:85]
	v_pk_add_f32 v[40:41], v[40:41], v[0:1]
	v_or_b32_e32 v0, s5, v212
	v_lshlrev_b32_e32 v1, 2, v0
	v_lshrrev_b32_e32 v54, 1, v0
	ds_read_b128 v[12:15], v1 offset:33280
	ds_read_b128 v[8:11], v1 offset:33296
	;; [unrolled: 1-line block ×4, first 2 shown]
	ds_read_b64 v[196:197], v54 offset:43584
	v_mov_b32_e32 v57, 0
	v_mov_b32_e32 v69, 0
	;; [unrolled: 1-line block ×8, first 2 shown]
	s_waitcnt lgkmcnt(4)
	v_dot4c_i32_i8_e32 v57, v180, v12
	s_waitcnt lgkmcnt(2)
	v_dot4c_i32_i8_e32 v69, v162, v4
	v_dot4c_i32_i8_e32 v71, v132, v12
	;; [unrolled: 1-line block ×31, first 2 shown]
	v_pk_fma_f32 v[86:87], v[134:135], v[204:205], 0 op_sel_hi:[0,1,0]
	v_dot4c_i32_i8_e32 v57, v184, v8
	s_waitcnt lgkmcnt(1)
	v_dot4c_i32_i8_e32 v69, v192, v0
	v_dot4c_i32_i8_e32 v71, v156, v8
	;; [unrolled: 1-line block ×7, first 2 shown]
	v_pk_fma_f32 v[86:87], v[164:165], v[200:201], v[86:87] op_sel_hi:[0,1,1]
	v_dot4c_i32_i8_e32 v57, v185, v9
	v_dot4c_i32_i8_e32 v69, v193, v1
	;; [unrolled: 1-line block ×8, first 2 shown]
	v_or_b32_e32 v0, s5, v215
	v_pk_mul_f32 v[86:87], v[86:87], v[110:111]
	v_dot4c_i32_i8_e32 v57, v186, v10
	v_dot4c_i32_i8_e32 v69, v194, v2
	;; [unrolled: 1-line block ×8, first 2 shown]
	v_lshlrev_b32_e32 v1, 2, v0
	v_lshrrev_b32_e32 v54, 1, v0
	v_pk_fma_f32 v[84:85], v[84:85], v[108:109], v[86:87] neg_lo:[0,0,1] neg_hi:[0,0,1]
	v_dot4c_i32_i8_e32 v57, v187, v11
	v_dot4c_i32_i8_e32 v69, v195, v3
	;; [unrolled: 1-line block ×8, first 2 shown]
	ds_read_b128 v[12:15], v1 offset:33280
	ds_read_b128 v[8:11], v1 offset:33296
	;; [unrolled: 1-line block ×4, first 2 shown]
	ds_read_b64 v[54:55], v54 offset:43584
	v_pk_add_f32 v[42:43], v[42:43], v[84:85]
	v_mov_b32_e32 v84, 0
	s_waitcnt lgkmcnt(4)
	v_dot4c_i32_i8_e32 v84, v180, v12
	v_mov_b32_e32 v86, 0
	v_dot4c_i32_i8_e32 v84, v181, v13
	s_waitcnt lgkmcnt(2)
	v_dot4c_i32_i8_e32 v86, v162, v4
	v_dot4c_i32_i8_e32 v84, v182, v14
	;; [unrolled: 1-line block ×8, first 2 shown]
	s_waitcnt lgkmcnt(1)
	v_dot4c_i32_i8_e32 v86, v192, v0
	v_dot4c_i32_i8_e32 v84, v186, v10
	;; [unrolled: 1-line block ×6, first 2 shown]
	s_waitcnt lgkmcnt(0)
	v_cvt_f32_f16_e32 v203, v54
	v_cvt_f32_f16_sdwa v205, v54 dst_sel:DWORD dst_unused:UNUSED_PAD src0_sel:WORD_1
	v_cvt_f32_f16_sdwa v204, v196 dst_sel:DWORD dst_unused:UNUSED_PAD src0_sel:WORD_1
	v_cvt_f32_f16_e32 v199, v55
	v_cvt_f32_f16_sdwa v201, v55 dst_sel:DWORD dst_unused:UNUSED_PAD src0_sel:WORD_1
	v_mul_lo_u32 v54, v57, v250
	v_mul_lo_u32 v55, v84, v250
	v_cvt_f32_f16_e32 v202, v196
	v_cvt_f32_f16_sdwa v200, v197 dst_sel:DWORD dst_unused:UNUSED_PAD src0_sel:WORD_1
	v_cvt_f32_i32_e32 v55, v55
	v_cvt_f32_i32_e32 v54, v54
	v_mul_lo_u32 v57, v69, v253
	v_mul_lo_u32 v69, v86, v253
	v_cvt_f32_f16_e32 v198, v197
	v_cvt_f32_i32_e32 v87, v69
	v_cvt_f32_i32_e32 v86, v57
	v_pk_fma_f32 v[84:85], v[142:143], v[204:205], 0 op_sel_hi:[0,1,0]
	v_pk_fma_f32 v[54:55], v[54:55], v[202:203], 0 op_sel_hi:[1,1,0]
	;; [unrolled: 1-line block ×3, first 2 shown]
	v_pk_fma_f32 v[54:55], v[86:87], v[198:199], v[54:55]
	v_pk_mul_f32 v[84:85], v[84:85], v[102:103]
	v_mov_b32_e32 v57, 0
	v_pk_fma_f32 v[54:55], v[54:55], v[100:101], v[84:85] neg_lo:[0,0,1] neg_hi:[0,0,1]
	v_dot4c_i32_i8_e32 v57, v140, v4
	v_pk_add_f32 v[38:39], v[38:39], v[54:55]
	v_mov_b32_e32 v54, 0
	v_dot4c_i32_i8_e32 v54, v132, v12
	v_dot4c_i32_i8_e32 v54, v133, v13
	;; [unrolled: 1-line block ×15, first 2 shown]
	v_mul_lo_u32 v69, v71, v249
	v_mul_lo_u32 v54, v54, v249
	v_cvt_f32_i32_e32 v55, v54
	v_cvt_f32_i32_e32 v54, v69
	v_mul_lo_u32 v69, v73, v252
	v_mul_lo_u32 v57, v57, v252
	v_cvt_f32_i32_e32 v87, v57
	v_cvt_f32_i32_e32 v86, v69
	v_pk_fma_f32 v[84:85], v[136:137], v[204:205], 0 op_sel_hi:[0,1,0]
	v_pk_fma_f32 v[54:55], v[54:55], v[202:203], 0 op_sel_hi:[1,1,0]
	;; [unrolled: 1-line block ×3, first 2 shown]
	v_pk_fma_f32 v[54:55], v[86:87], v[198:199], v[54:55]
	v_pk_mul_f32 v[84:85], v[84:85], v[106:107]
	v_mov_b32_e32 v57, 0
	v_pk_fma_f32 v[54:55], v[54:55], v[104:105], v[84:85] neg_lo:[0,0,1] neg_hi:[0,0,1]
	v_dot4c_i32_i8_e32 v57, v138, v4
	v_pk_add_f32 v[36:37], v[36:37], v[54:55]
	v_mov_b32_e32 v54, 0
	v_dot4c_i32_i8_e32 v54, v130, v12
	v_dot4c_i32_i8_e32 v54, v131, v13
	;; [unrolled: 1-line block ×15, first 2 shown]
	v_mul_lo_u32 v69, v75, v248
	v_mul_lo_u32 v54, v54, v248
	v_cvt_f32_i32_e32 v55, v54
	v_cvt_f32_i32_e32 v54, v69
	v_mul_lo_u32 v69, v77, v251
	v_mul_lo_u32 v57, v57, v251
	v_cvt_f32_i32_e32 v87, v57
	v_cvt_f32_i32_e32 v86, v69
	v_pk_fma_f32 v[84:85], v[134:135], v[204:205], 0 op_sel_hi:[0,1,0]
	v_pk_fma_f32 v[54:55], v[54:55], v[202:203], 0 op_sel_hi:[1,1,0]
	;; [unrolled: 1-line block ×3, first 2 shown]
	v_pk_fma_f32 v[54:55], v[86:87], v[198:199], v[54:55]
	v_pk_mul_f32 v[84:85], v[84:85], v[110:111]
	v_mov_b32_e32 v57, 0
	v_pk_fma_f32 v[54:55], v[54:55], v[108:109], v[84:85] neg_lo:[0,0,1] neg_hi:[0,0,1]
	v_mov_b32_e32 v69, 0
	v_pk_add_f32 v[34:35], v[34:35], v[54:55]
	v_mov_b32_e32 v54, 0
	v_dot4c_i32_i8_e32 v54, v128, v12
	v_dot4c_i32_i8_e32 v54, v129, v13
	;; [unrolled: 1-line block ×5, first 2 shown]
	v_mov_b32_e32 v8, 0
	v_dot4c_i32_i8_e32 v8, v126, v4
	v_dot4c_i32_i8_e32 v8, v127, v5
	;; [unrolled: 1-line block ×11, first 2 shown]
	v_mul_lo_u32 v0, v79, v247
	v_mul_lo_u32 v1, v54, v247
	v_cvt_f32_i32_e32 v1, v1
	v_cvt_f32_i32_e32 v0, v0
	v_mul_lo_u32 v4, v254, v246
	v_mul_lo_u32 v5, v8, v246
	v_cvt_f32_i32_e32 v5, v5
	v_cvt_f32_i32_e32 v4, v4
	v_pk_fma_f32 v[2:3], v[118:119], v[204:205], 0 op_sel_hi:[0,1,0]
	v_pk_fma_f32 v[0:1], v[0:1], v[202:203], 0 op_sel_hi:[1,1,0]
	;; [unrolled: 1-line block ×3, first 2 shown]
	v_pk_fma_f32 v[0:1], v[4:5], v[198:199], v[0:1]
	v_pk_mul_f32 v[2:3], v[2:3], v[114:115]
	v_mov_b32_e32 v71, 0
	v_pk_fma_f32 v[0:1], v[0:1], v[112:113], v[2:3] neg_lo:[0,0,1] neg_hi:[0,0,1]
	v_mov_b32_e32 v73, 0
	v_pk_add_f32 v[32:33], v[32:33], v[0:1]
	v_or_b32_e32 v0, s5, v218
	v_lshlrev_b32_e32 v1, 2, v0
	v_lshrrev_b32_e32 v54, 1, v0
	ds_read_b128 v[12:15], v1 offset:33280
	ds_read_b128 v[8:11], v1 offset:33296
	;; [unrolled: 1-line block ×4, first 2 shown]
	ds_read_b64 v[196:197], v54 offset:43584
	v_mov_b32_e32 v75, 0
	v_mov_b32_e32 v77, 0
	;; [unrolled: 1-line block ×4, first 2 shown]
	s_waitcnt lgkmcnt(4)
	v_dot4c_i32_i8_e32 v57, v180, v12
	s_waitcnt lgkmcnt(2)
	v_dot4c_i32_i8_e32 v69, v162, v4
	v_dot4c_i32_i8_e32 v71, v132, v12
	;; [unrolled: 1-line block ×32, first 2 shown]
	s_waitcnt lgkmcnt(1)
	v_dot4c_i32_i8_e32 v69, v192, v0
	v_dot4c_i32_i8_e32 v71, v156, v8
	;; [unrolled: 1-line block ×15, first 2 shown]
	v_or_b32_e32 v0, s5, v221
	v_dot4c_i32_i8_e32 v57, v186, v10
	v_dot4c_i32_i8_e32 v69, v194, v2
	;; [unrolled: 1-line block ×8, first 2 shown]
	v_lshlrev_b32_e32 v1, 2, v0
	v_lshrrev_b32_e32 v54, 1, v0
	v_dot4c_i32_i8_e32 v57, v187, v11
	v_dot4c_i32_i8_e32 v69, v195, v3
	;; [unrolled: 1-line block ×8, first 2 shown]
	ds_read_b128 v[12:15], v1 offset:33280
	ds_read_b128 v[8:11], v1 offset:33296
	;; [unrolled: 1-line block ×4, first 2 shown]
	ds_read_b64 v[54:55], v54 offset:43584
	v_mov_b32_e32 v84, 0
	s_waitcnt lgkmcnt(4)
	v_dot4c_i32_i8_e32 v84, v180, v12
	v_mov_b32_e32 v86, 0
	v_dot4c_i32_i8_e32 v84, v181, v13
	s_waitcnt lgkmcnt(2)
	v_dot4c_i32_i8_e32 v86, v162, v4
	v_dot4c_i32_i8_e32 v84, v182, v14
	;; [unrolled: 1-line block ×8, first 2 shown]
	s_waitcnt lgkmcnt(1)
	v_dot4c_i32_i8_e32 v86, v192, v0
	v_dot4c_i32_i8_e32 v84, v186, v10
	;; [unrolled: 1-line block ×6, first 2 shown]
	s_waitcnt lgkmcnt(0)
	v_cvt_f32_f16_e32 v203, v54
	v_cvt_f32_f16_sdwa v205, v54 dst_sel:DWORD dst_unused:UNUSED_PAD src0_sel:WORD_1
	v_cvt_f32_f16_sdwa v204, v196 dst_sel:DWORD dst_unused:UNUSED_PAD src0_sel:WORD_1
	v_cvt_f32_f16_e32 v199, v55
	v_cvt_f32_f16_sdwa v201, v55 dst_sel:DWORD dst_unused:UNUSED_PAD src0_sel:WORD_1
	v_mul_lo_u32 v54, v57, v250
	v_mul_lo_u32 v55, v84, v250
	v_cvt_f32_f16_e32 v202, v196
	v_cvt_f32_f16_sdwa v200, v197 dst_sel:DWORD dst_unused:UNUSED_PAD src0_sel:WORD_1
	v_cvt_f32_i32_e32 v55, v55
	v_cvt_f32_i32_e32 v54, v54
	v_mul_lo_u32 v57, v69, v253
	v_mul_lo_u32 v69, v86, v253
	v_cvt_f32_f16_e32 v198, v197
	v_cvt_f32_i32_e32 v87, v69
	v_cvt_f32_i32_e32 v86, v57
	v_pk_fma_f32 v[84:85], v[142:143], v[204:205], 0 op_sel_hi:[0,1,0]
	v_pk_fma_f32 v[54:55], v[54:55], v[202:203], 0 op_sel_hi:[1,1,0]
	;; [unrolled: 1-line block ×3, first 2 shown]
	v_pk_fma_f32 v[54:55], v[86:87], v[198:199], v[54:55]
	v_pk_mul_f32 v[84:85], v[84:85], v[102:103]
	v_mov_b32_e32 v57, 0
	v_pk_fma_f32 v[54:55], v[54:55], v[100:101], v[84:85] neg_lo:[0,0,1] neg_hi:[0,0,1]
	v_dot4c_i32_i8_e32 v57, v140, v4
	v_pk_add_f32 v[30:31], v[30:31], v[54:55]
	v_mov_b32_e32 v54, 0
	v_dot4c_i32_i8_e32 v54, v132, v12
	v_dot4c_i32_i8_e32 v54, v133, v13
	;; [unrolled: 1-line block ×15, first 2 shown]
	v_mul_lo_u32 v69, v71, v249
	v_mul_lo_u32 v54, v54, v249
	v_cvt_f32_i32_e32 v55, v54
	v_cvt_f32_i32_e32 v54, v69
	v_mul_lo_u32 v69, v73, v252
	v_mul_lo_u32 v57, v57, v252
	v_cvt_f32_i32_e32 v87, v57
	v_cvt_f32_i32_e32 v86, v69
	v_pk_fma_f32 v[84:85], v[136:137], v[204:205], 0 op_sel_hi:[0,1,0]
	v_pk_fma_f32 v[54:55], v[54:55], v[202:203], 0 op_sel_hi:[1,1,0]
	;; [unrolled: 1-line block ×3, first 2 shown]
	v_pk_fma_f32 v[54:55], v[86:87], v[198:199], v[54:55]
	v_pk_mul_f32 v[84:85], v[84:85], v[106:107]
	v_mov_b32_e32 v57, 0
	v_pk_fma_f32 v[54:55], v[54:55], v[104:105], v[84:85] neg_lo:[0,0,1] neg_hi:[0,0,1]
	v_dot4c_i32_i8_e32 v57, v138, v4
	v_pk_add_f32 v[28:29], v[28:29], v[54:55]
	v_mov_b32_e32 v54, 0
	v_dot4c_i32_i8_e32 v54, v130, v12
	v_dot4c_i32_i8_e32 v54, v131, v13
	;; [unrolled: 1-line block ×15, first 2 shown]
	v_mul_lo_u32 v69, v75, v248
	v_mul_lo_u32 v54, v54, v248
	v_cvt_f32_i32_e32 v55, v54
	v_cvt_f32_i32_e32 v54, v69
	v_mul_lo_u32 v69, v77, v251
	v_mul_lo_u32 v57, v57, v251
	v_cvt_f32_i32_e32 v87, v57
	v_cvt_f32_i32_e32 v86, v69
	v_pk_fma_f32 v[84:85], v[134:135], v[204:205], 0 op_sel_hi:[0,1,0]
	v_pk_fma_f32 v[54:55], v[54:55], v[202:203], 0 op_sel_hi:[1,1,0]
	;; [unrolled: 1-line block ×3, first 2 shown]
	v_pk_fma_f32 v[54:55], v[86:87], v[198:199], v[54:55]
	v_pk_mul_f32 v[84:85], v[84:85], v[110:111]
	v_mov_b32_e32 v57, 0
	v_pk_fma_f32 v[54:55], v[54:55], v[108:109], v[84:85] neg_lo:[0,0,1] neg_hi:[0,0,1]
	v_mov_b32_e32 v69, 0
	v_pk_add_f32 v[26:27], v[26:27], v[54:55]
	v_mov_b32_e32 v54, 0
	v_dot4c_i32_i8_e32 v54, v128, v12
	v_dot4c_i32_i8_e32 v54, v129, v13
	;; [unrolled: 1-line block ×5, first 2 shown]
	v_mov_b32_e32 v8, 0
	v_dot4c_i32_i8_e32 v8, v126, v4
	v_dot4c_i32_i8_e32 v8, v127, v5
	;; [unrolled: 1-line block ×11, first 2 shown]
	v_mul_lo_u32 v0, v79, v247
	v_mul_lo_u32 v1, v54, v247
	v_cvt_f32_i32_e32 v1, v1
	v_cvt_f32_i32_e32 v0, v0
	v_mul_lo_u32 v4, v254, v246
	v_mul_lo_u32 v5, v8, v246
	v_cvt_f32_i32_e32 v5, v5
	v_cvt_f32_i32_e32 v4, v4
	v_pk_fma_f32 v[2:3], v[118:119], v[204:205], 0 op_sel_hi:[0,1,0]
	v_pk_fma_f32 v[0:1], v[0:1], v[202:203], 0 op_sel_hi:[1,1,0]
	v_pk_fma_f32 v[2:3], v[116:117], v[200:201], v[2:3] op_sel_hi:[0,1,1]
	v_pk_fma_f32 v[0:1], v[4:5], v[198:199], v[0:1]
	v_pk_mul_f32 v[2:3], v[2:3], v[114:115]
	v_mov_b32_e32 v71, 0
	v_pk_fma_f32 v[0:1], v[0:1], v[112:113], v[2:3] neg_lo:[0,0,1] neg_hi:[0,0,1]
	v_mov_b32_e32 v73, 0
	v_pk_add_f32 v[24:25], v[24:25], v[0:1]
	v_or_b32_e32 v0, s5, v224
	v_lshlrev_b32_e32 v1, 2, v0
	v_lshrrev_b32_e32 v54, 1, v0
	ds_read_b128 v[12:15], v1 offset:33280
	ds_read_b128 v[8:11], v1 offset:33296
	ds_read_b128 v[4:7], v1 offset:33312
	ds_read_b128 v[0:3], v1 offset:33328
	ds_read_b64 v[196:197], v54 offset:43584
	v_mov_b32_e32 v75, 0
	v_mov_b32_e32 v77, 0
	;; [unrolled: 1-line block ×4, first 2 shown]
	s_waitcnt lgkmcnt(4)
	v_dot4c_i32_i8_e32 v57, v180, v12
	s_waitcnt lgkmcnt(2)
	v_dot4c_i32_i8_e32 v69, v162, v4
	v_dot4c_i32_i8_e32 v71, v132, v12
	;; [unrolled: 1-line block ×32, first 2 shown]
	s_waitcnt lgkmcnt(1)
	v_dot4c_i32_i8_e32 v69, v192, v0
	v_dot4c_i32_i8_e32 v71, v156, v8
	;; [unrolled: 1-line block ×15, first 2 shown]
	v_or_b32_e32 v0, s5, v227
	v_dot4c_i32_i8_e32 v57, v186, v10
	v_dot4c_i32_i8_e32 v69, v194, v2
	;; [unrolled: 1-line block ×8, first 2 shown]
	v_lshlrev_b32_e32 v1, 2, v0
	v_lshrrev_b32_e32 v54, 1, v0
	v_dot4c_i32_i8_e32 v57, v187, v11
	v_dot4c_i32_i8_e32 v69, v195, v3
	;; [unrolled: 1-line block ×8, first 2 shown]
	ds_read_b128 v[12:15], v1 offset:33280
	ds_read_b128 v[8:11], v1 offset:33296
	;; [unrolled: 1-line block ×4, first 2 shown]
	ds_read_b64 v[54:55], v54 offset:43584
	v_mov_b32_e32 v79, 0
	s_waitcnt lgkmcnt(4)
	v_dot4c_i32_i8_e32 v79, v180, v12
	v_mov_b32_e32 v86, 0
	v_dot4c_i32_i8_e32 v79, v181, v13
	s_waitcnt lgkmcnt(2)
	v_dot4c_i32_i8_e32 v86, v162, v4
	v_dot4c_i32_i8_e32 v79, v182, v14
	;; [unrolled: 1-line block ×8, first 2 shown]
	s_waitcnt lgkmcnt(1)
	v_dot4c_i32_i8_e32 v86, v192, v0
	v_dot4c_i32_i8_e32 v79, v186, v10
	;; [unrolled: 1-line block ×6, first 2 shown]
	s_waitcnt lgkmcnt(0)
	v_cvt_f32_f16_e32 v185, v54
	v_cvt_f32_f16_sdwa v183, v54 dst_sel:DWORD dst_unused:UNUSED_PAD src0_sel:WORD_1
	v_cvt_f32_f16_sdwa v182, v196 dst_sel:DWORD dst_unused:UNUSED_PAD src0_sel:WORD_1
	v_cvt_f32_f16_e32 v181, v55
	v_cvt_f32_f16_sdwa v163, v55 dst_sel:DWORD dst_unused:UNUSED_PAD src0_sel:WORD_1
	v_mul_lo_u32 v54, v57, v250
	v_mul_lo_u32 v55, v79, v250
	v_cvt_f32_f16_e32 v184, v196
	v_cvt_f32_f16_sdwa v162, v197 dst_sel:DWORD dst_unused:UNUSED_PAD src0_sel:WORD_1
	v_cvt_f32_i32_e32 v55, v55
	v_cvt_f32_i32_e32 v54, v54
	v_mul_lo_u32 v57, v69, v253
	v_mul_lo_u32 v69, v86, v253
	v_cvt_f32_f16_e32 v180, v197
	v_cvt_f32_i32_e32 v87, v69
	v_cvt_f32_i32_e32 v86, v57
	v_pk_fma_f32 v[84:85], v[142:143], v[182:183], 0 op_sel_hi:[0,1,0]
	v_pk_fma_f32 v[54:55], v[54:55], v[184:185], 0 op_sel_hi:[1,1,0]
	;; [unrolled: 1-line block ×3, first 2 shown]
	v_pk_fma_f32 v[54:55], v[86:87], v[180:181], v[54:55]
	v_pk_mul_f32 v[84:85], v[84:85], v[102:103]
	v_mov_b32_e32 v57, 0
	v_pk_fma_f32 v[54:55], v[54:55], v[100:101], v[84:85] neg_lo:[0,0,1] neg_hi:[0,0,1]
	v_dot4c_i32_i8_e32 v57, v140, v4
	v_pk_add_f32 v[22:23], v[22:23], v[54:55]
	v_mov_b32_e32 v54, 0
	v_dot4c_i32_i8_e32 v54, v132, v12
	v_dot4c_i32_i8_e32 v54, v133, v13
	;; [unrolled: 1-line block ×15, first 2 shown]
	v_mul_lo_u32 v69, v71, v249
	v_mul_lo_u32 v54, v54, v249
	v_cvt_f32_i32_e32 v55, v54
	v_cvt_f32_i32_e32 v54, v69
	v_mul_lo_u32 v69, v73, v252
	v_mul_lo_u32 v57, v57, v252
	v_cvt_f32_i32_e32 v87, v57
	v_cvt_f32_i32_e32 v86, v69
	v_pk_fma_f32 v[84:85], v[136:137], v[182:183], 0 op_sel_hi:[0,1,0]
	v_pk_fma_f32 v[54:55], v[54:55], v[184:185], 0 op_sel_hi:[1,1,0]
	;; [unrolled: 1-line block ×3, first 2 shown]
	v_pk_fma_f32 v[54:55], v[86:87], v[180:181], v[54:55]
	v_pk_mul_f32 v[84:85], v[84:85], v[106:107]
	v_mov_b32_e32 v57, 0
	v_pk_fma_f32 v[54:55], v[54:55], v[104:105], v[84:85] neg_lo:[0,0,1] neg_hi:[0,0,1]
	v_dot4c_i32_i8_e32 v57, v138, v4
	v_pk_add_f32 v[20:21], v[20:21], v[54:55]
	v_mov_b32_e32 v54, 0
	v_dot4c_i32_i8_e32 v54, v130, v12
	v_mov_b32_e32 v130, 0
	v_dot4c_i32_i8_e32 v130, v128, v12
	v_dot4c_i32_i8_e32 v54, v131, v13
	;; [unrolled: 1-line block ×9, first 2 shown]
	v_mov_b32_e32 v8, 0
	v_dot4c_i32_i8_e32 v8, v126, v4
	v_dot4c_i32_i8_e32 v57, v139, v5
	;; [unrolled: 1-line block ×20, first 2 shown]
	v_mul_lo_u32 v69, v75, v248
	v_mul_lo_u32 v54, v54, v248
	v_dot4c_i32_i8_e32 v8, v125, v3
	v_mul_lo_u32 v0, v199, v247
	v_mul_lo_u32 v1, v130, v247
	v_cvt_f32_i32_e32 v55, v54
	v_cvt_f32_i32_e32 v54, v69
	v_mul_lo_u32 v69, v77, v251
	v_mul_lo_u32 v57, v57, v251
	v_cvt_f32_i32_e32 v1, v1
	v_cvt_f32_i32_e32 v0, v0
	;; [unrolled: 4-line block ×3, first 2 shown]
	v_cvt_f32_i32_e32 v5, v5
	v_cvt_f32_i32_e32 v4, v4
	v_pk_fma_f32 v[84:85], v[134:135], v[182:183], 0 op_sel_hi:[0,1,0]
	v_pk_fma_f32 v[2:3], v[118:119], v[182:183], 0 op_sel_hi:[0,1,0]
	;; [unrolled: 1-line block ×6, first 2 shown]
	v_pk_fma_f32 v[54:55], v[86:87], v[180:181], v[54:55]
	v_pk_mul_f32 v[84:85], v[84:85], v[110:111]
	v_pk_fma_f32 v[0:1], v[4:5], v[180:181], v[0:1]
	v_pk_mul_f32 v[2:3], v[2:3], v[114:115]
	v_pk_fma_f32 v[54:55], v[54:55], v[108:109], v[84:85] neg_lo:[0,0,1] neg_hi:[0,0,1]
	v_pk_fma_f32 v[0:1], v[0:1], v[112:113], v[2:3] neg_lo:[0,0,1] neg_hi:[0,0,1]
	s_add_i32 s5, s4, 8
	v_pk_add_f32 v[18:19], v[18:19], v[54:55]
	v_pk_add_f32 v[16:17], v[16:17], v[0:1]
	s_cmp_lt_u32 s4, 24
	s_mov_b32 s4, s5
	s_cbranch_scc1 .LBB133_8
; %bb.9:                                ;   in Loop: Header=BB133_5 Depth=1
	s_add_i32 s0, s0, 1
	s_cmp_eq_u32 s0, s7
	s_barrier
	s_cbranch_scc0 .LBB133_5
; %bb.10:
	scratch_load_dword v1, off, off offset:24 ; 4-byte Folded Reload
	scratch_load_dword v2, off, off offset:28 ; 4-byte Folded Reload
.LBB133_11:
	s_waitcnt vmcnt(0)
	v_cmp_gt_u32_e32 vcc, s8, v2
	s_and_saveexec_b64 s[0:1], vcc
	s_cbranch_execz .LBB133_62
; %bb.12:
	v_add_u32_e32 v0, s6, v45
	v_mul_lo_u32 v5, v2, s10
	v_cmp_gt_u32_e32 vcc, s10, v0
	s_and_saveexec_b64 s[0:1], vcc
	s_cbranch_execz .LBB133_14
; %bb.13:
	v_add_u32_e32 v2, v0, v5
	v_mov_b32_e32 v3, 0
	s_waitcnt lgkmcnt(0)
	v_lshl_add_u64 v[2:3], v[2:3], 2, s[12:13]
	global_store_dword v[2:3], v52, off
.LBB133_14:
	s_or_b64 exec, exec, s[0:1]
	v_add_u32_e32 v2, 32, v0
	v_cmp_gt_u32_e64 s[0:1], s10, v2
	s_and_saveexec_b64 s[2:3], s[0:1]
	s_cbranch_execz .LBB133_16
; %bb.15:
	v_add_u32_e32 v6, v2, v5
	v_mov_b32_e32 v7, 0
	s_waitcnt lgkmcnt(0)
	v_lshl_add_u64 v[6:7], v[6:7], 2, s[12:13]
	global_store_dword v[6:7], v48, off
.LBB133_16:
	s_or_b64 exec, exec, s[2:3]
	v_add_u32_e32 v3, 64, v0
	v_cmp_gt_u32_e64 s[2:3], s10, v3
	s_and_saveexec_b64 s[4:5], s[2:3]
	s_cbranch_execz .LBB133_18
; %bb.17:
	v_add_u32_e32 v6, v3, v5
	v_mov_b32_e32 v7, 0
	s_waitcnt lgkmcnt(0)
	v_lshl_add_u64 v[6:7], v[6:7], 2, s[12:13]
	global_store_dword v[6:7], v42, off
.LBB133_18:
	s_or_b64 exec, exec, s[4:5]
	v_add_u32_e32 v4, 0x60, v0
	v_cmp_gt_u32_e64 s[4:5], s10, v4
	s_and_saveexec_b64 s[6:7], s[4:5]
	s_cbranch_execz .LBB133_20
; %bb.19:
	v_add_u32_e32 v6, v4, v5
	v_mov_b32_e32 v7, 0
	s_waitcnt lgkmcnt(0)
	v_lshl_add_u64 v[6:7], v[6:7], 2, s[12:13]
	global_store_dword v[6:7], v40, off
.LBB133_20:
	s_or_b64 exec, exec, s[6:7]
	v_add3_u32 v5, v1, s11, 8
	v_cmp_gt_u32_e64 s[6:7], s8, v5
	s_and_b64 exec, exec, s[6:7]
	s_cbranch_execz .LBB133_62
; %bb.21:
	v_mul_lo_u32 v5, v5, s10
	s_and_saveexec_b64 s[6:7], vcc
	s_cbranch_execnz .LBB133_63
; %bb.22:
	s_or_b64 exec, exec, s[6:7]
	s_and_saveexec_b64 s[6:7], s[0:1]
	s_cbranch_execnz .LBB133_64
.LBB133_23:
	s_or_b64 exec, exec, s[6:7]
	s_and_saveexec_b64 s[6:7], s[2:3]
	s_cbranch_execnz .LBB133_65
.LBB133_24:
	s_or_b64 exec, exec, s[6:7]
	s_and_saveexec_b64 s[6:7], s[4:5]
	s_cbranch_execz .LBB133_26
.LBB133_25:
	v_add_u32_e32 v6, v5, v4
	v_mov_b32_e32 v7, 0
	s_waitcnt lgkmcnt(0)
	v_lshl_add_u64 v[6:7], v[6:7], 2, s[12:13]
	global_store_dword v[6:7], v41, off
.LBB133_26:
	s_or_b64 exec, exec, s[6:7]
	v_add3_u32 v5, v1, s11, 16
	v_cmp_gt_u32_e64 s[6:7], s8, v5
	s_and_b64 exec, exec, s[6:7]
	s_cbranch_execz .LBB133_62
; %bb.27:
	v_mul_lo_u32 v5, v5, s10
	s_and_saveexec_b64 s[6:7], vcc
	s_cbranch_execnz .LBB133_66
; %bb.28:
	s_or_b64 exec, exec, s[6:7]
	s_and_saveexec_b64 s[6:7], s[0:1]
	s_cbranch_execnz .LBB133_67
.LBB133_29:
	s_or_b64 exec, exec, s[6:7]
	s_and_saveexec_b64 s[6:7], s[2:3]
	s_cbranch_execnz .LBB133_68
.LBB133_30:
	s_or_b64 exec, exec, s[6:7]
	s_and_saveexec_b64 s[6:7], s[4:5]
	s_cbranch_execz .LBB133_32
.LBB133_31:
	v_add_u32_e32 v6, v5, v4
	v_mov_b32_e32 v7, 0
	s_waitcnt lgkmcnt(0)
	v_lshl_add_u64 v[6:7], v[6:7], 2, s[12:13]
	global_store_dword v[6:7], v32, off
.LBB133_32:
	s_or_b64 exec, exec, s[6:7]
	v_add3_u32 v5, v1, s11, 24
	v_cmp_gt_u32_e64 s[6:7], s8, v5
	s_and_b64 exec, exec, s[6:7]
	s_cbranch_execz .LBB133_62
; %bb.33:
	v_mul_lo_u32 v5, v5, s10
	s_and_saveexec_b64 s[6:7], vcc
	s_cbranch_execnz .LBB133_69
; %bb.34:
	s_or_b64 exec, exec, s[6:7]
	s_and_saveexec_b64 s[6:7], s[0:1]
	s_cbranch_execnz .LBB133_70
.LBB133_35:
	s_or_b64 exec, exec, s[6:7]
	s_and_saveexec_b64 s[6:7], s[2:3]
	s_cbranch_execnz .LBB133_71
.LBB133_36:
	s_or_b64 exec, exec, s[6:7]
	s_and_saveexec_b64 s[6:7], s[4:5]
	s_cbranch_execz .LBB133_38
.LBB133_37:
	v_add_u32_e32 v6, v5, v4
	v_mov_b32_e32 v7, 0
	s_waitcnt lgkmcnt(0)
	v_lshl_add_u64 v[6:7], v[6:7], 2, s[12:13]
	global_store_dword v[6:7], v33, off
.LBB133_38:
	s_or_b64 exec, exec, s[6:7]
	v_add3_u32 v5, v1, s11, 32
	v_cmp_gt_u32_e64 s[6:7], s8, v5
	s_and_b64 exec, exec, s[6:7]
	s_cbranch_execz .LBB133_62
; %bb.39:
	v_mul_lo_u32 v5, v5, s10
	s_and_saveexec_b64 s[6:7], vcc
	s_cbranch_execnz .LBB133_72
; %bb.40:
	s_or_b64 exec, exec, s[6:7]
	s_and_saveexec_b64 s[6:7], s[0:1]
	s_cbranch_execnz .LBB133_73
.LBB133_41:
	s_or_b64 exec, exec, s[6:7]
	s_and_saveexec_b64 s[6:7], s[2:3]
	s_cbranch_execnz .LBB133_74
.LBB133_42:
	s_or_b64 exec, exec, s[6:7]
	s_and_saveexec_b64 s[6:7], s[4:5]
	s_cbranch_execz .LBB133_44
.LBB133_43:
	v_add_u32_e32 v6, v5, v4
	v_mov_b32_e32 v7, 0
	s_waitcnt lgkmcnt(0)
	v_lshl_add_u64 v[6:7], v[6:7], 2, s[12:13]
	global_store_dword v[6:7], v24, off
.LBB133_44:
	s_or_b64 exec, exec, s[6:7]
	v_add3_u32 v5, v1, s11, 40
	v_cmp_gt_u32_e64 s[6:7], s8, v5
	s_and_b64 exec, exec, s[6:7]
	s_cbranch_execz .LBB133_62
; %bb.45:
	v_mul_lo_u32 v5, v5, s10
	s_and_saveexec_b64 s[6:7], vcc
	s_cbranch_execnz .LBB133_75
; %bb.46:
	s_or_b64 exec, exec, s[6:7]
	s_and_saveexec_b64 s[6:7], s[0:1]
	s_cbranch_execnz .LBB133_76
.LBB133_47:
	s_or_b64 exec, exec, s[6:7]
	s_and_saveexec_b64 s[6:7], s[2:3]
	s_cbranch_execnz .LBB133_77
.LBB133_48:
	s_or_b64 exec, exec, s[6:7]
	s_and_saveexec_b64 s[6:7], s[4:5]
	s_cbranch_execz .LBB133_50
.LBB133_49:
	v_add_u32_e32 v6, v5, v4
	v_mov_b32_e32 v7, 0
	s_waitcnt lgkmcnt(0)
	v_lshl_add_u64 v[6:7], v[6:7], 2, s[12:13]
	global_store_dword v[6:7], v25, off
.LBB133_50:
	s_or_b64 exec, exec, s[6:7]
	v_add3_u32 v5, v1, s11, 48
	v_cmp_gt_u32_e64 s[6:7], s8, v5
	s_and_b64 exec, exec, s[6:7]
	s_cbranch_execz .LBB133_62
; %bb.51:
	v_mul_lo_u32 v5, v5, s10
	s_and_saveexec_b64 s[6:7], vcc
	s_cbranch_execnz .LBB133_78
; %bb.52:
	s_or_b64 exec, exec, s[6:7]
	s_and_saveexec_b64 s[6:7], s[0:1]
	s_cbranch_execnz .LBB133_79
.LBB133_53:
	s_or_b64 exec, exec, s[6:7]
	s_and_saveexec_b64 s[6:7], s[2:3]
	s_cbranch_execnz .LBB133_80
.LBB133_54:
	s_or_b64 exec, exec, s[6:7]
	s_and_saveexec_b64 s[6:7], s[4:5]
	s_cbranch_execz .LBB133_56
.LBB133_55:
	v_add_u32_e32 v6, v5, v4
	v_mov_b32_e32 v7, 0
	s_waitcnt lgkmcnt(0)
	v_lshl_add_u64 v[6:7], v[6:7], 2, s[12:13]
	global_store_dword v[6:7], v16, off
.LBB133_56:
	s_or_b64 exec, exec, s[6:7]
	v_add3_u32 v1, v1, s11, 56
	v_cmp_gt_u32_e64 s[6:7], s8, v1
	s_and_b64 exec, exec, s[6:7]
	s_cbranch_execz .LBB133_62
; %bb.57:
	v_mul_lo_u32 v1, v1, s10
	s_and_saveexec_b64 s[6:7], vcc
	s_cbranch_execnz .LBB133_81
; %bb.58:
	s_or_b64 exec, exec, s[6:7]
	s_and_saveexec_b64 s[6:7], s[0:1]
	s_cbranch_execnz .LBB133_82
.LBB133_59:
	s_or_b64 exec, exec, s[6:7]
	s_and_saveexec_b64 s[0:1], s[2:3]
	s_cbranch_execnz .LBB133_83
.LBB133_60:
	s_or_b64 exec, exec, s[0:1]
	s_and_b64 exec, exec, s[4:5]
	s_cbranch_execz .LBB133_62
.LBB133_61:
	v_add_u32_e32 v0, v1, v4
	v_mov_b32_e32 v1, 0
	s_waitcnt lgkmcnt(0)
	v_lshl_add_u64 v[0:1], v[0:1], 2, s[12:13]
	global_store_dword v[0:1], v17, off
.LBB133_62:
	s_endpgm
.LBB133_63:
	v_add_u32_e32 v6, v5, v0
	v_mov_b32_e32 v7, 0
	s_waitcnt lgkmcnt(0)
	v_lshl_add_u64 v[6:7], v[6:7], 2, s[12:13]
	global_store_dword v[6:7], v53, off
	s_or_b64 exec, exec, s[6:7]
	s_and_saveexec_b64 s[6:7], s[0:1]
	s_cbranch_execz .LBB133_23
.LBB133_64:
	v_add_u32_e32 v6, v5, v2
	v_mov_b32_e32 v7, 0
	s_waitcnt lgkmcnt(0)
	v_lshl_add_u64 v[6:7], v[6:7], 2, s[12:13]
	global_store_dword v[6:7], v49, off
	s_or_b64 exec, exec, s[6:7]
	s_and_saveexec_b64 s[6:7], s[2:3]
	s_cbranch_execz .LBB133_24
.LBB133_65:
	v_add_u32_e32 v6, v5, v3
	v_mov_b32_e32 v7, 0
	s_waitcnt lgkmcnt(0)
	v_lshl_add_u64 v[6:7], v[6:7], 2, s[12:13]
	global_store_dword v[6:7], v43, off
	s_or_b64 exec, exec, s[6:7]
	s_and_saveexec_b64 s[6:7], s[4:5]
	s_cbranch_execnz .LBB133_25
	s_branch .LBB133_26
.LBB133_66:
	v_add_u32_e32 v6, v5, v0
	v_mov_b32_e32 v7, 0
	s_waitcnt lgkmcnt(0)
	v_lshl_add_u64 v[6:7], v[6:7], 2, s[12:13]
	global_store_dword v[6:7], v38, off
	s_or_b64 exec, exec, s[6:7]
	s_and_saveexec_b64 s[6:7], s[0:1]
	s_cbranch_execz .LBB133_29
.LBB133_67:
	v_add_u32_e32 v6, v5, v2
	v_mov_b32_e32 v7, 0
	s_waitcnt lgkmcnt(0)
	v_lshl_add_u64 v[6:7], v[6:7], 2, s[12:13]
	global_store_dword v[6:7], v36, off
	s_or_b64 exec, exec, s[6:7]
	s_and_saveexec_b64 s[6:7], s[2:3]
	s_cbranch_execz .LBB133_30
.LBB133_68:
	v_add_u32_e32 v6, v5, v3
	v_mov_b32_e32 v7, 0
	s_waitcnt lgkmcnt(0)
	v_lshl_add_u64 v[6:7], v[6:7], 2, s[12:13]
	global_store_dword v[6:7], v34, off
	s_or_b64 exec, exec, s[6:7]
	s_and_saveexec_b64 s[6:7], s[4:5]
	s_cbranch_execnz .LBB133_31
	s_branch .LBB133_32
.LBB133_69:
	v_add_u32_e32 v6, v5, v0
	v_mov_b32_e32 v7, 0
	s_waitcnt lgkmcnt(0)
	v_lshl_add_u64 v[6:7], v[6:7], 2, s[12:13]
	global_store_dword v[6:7], v39, off
	s_or_b64 exec, exec, s[6:7]
	s_and_saveexec_b64 s[6:7], s[0:1]
	s_cbranch_execz .LBB133_35
.LBB133_70:
	v_add_u32_e32 v6, v5, v2
	v_mov_b32_e32 v7, 0
	s_waitcnt lgkmcnt(0)
	v_lshl_add_u64 v[6:7], v[6:7], 2, s[12:13]
	global_store_dword v[6:7], v37, off
	s_or_b64 exec, exec, s[6:7]
	s_and_saveexec_b64 s[6:7], s[2:3]
	s_cbranch_execz .LBB133_36
.LBB133_71:
	v_add_u32_e32 v6, v5, v3
	v_mov_b32_e32 v7, 0
	s_waitcnt lgkmcnt(0)
	v_lshl_add_u64 v[6:7], v[6:7], 2, s[12:13]
	global_store_dword v[6:7], v35, off
	s_or_b64 exec, exec, s[6:7]
	s_and_saveexec_b64 s[6:7], s[4:5]
	s_cbranch_execnz .LBB133_37
	s_branch .LBB133_38
.LBB133_72:
	v_add_u32_e32 v6, v5, v0
	v_mov_b32_e32 v7, 0
	s_waitcnt lgkmcnt(0)
	v_lshl_add_u64 v[6:7], v[6:7], 2, s[12:13]
	global_store_dword v[6:7], v30, off
	s_or_b64 exec, exec, s[6:7]
	s_and_saveexec_b64 s[6:7], s[0:1]
	s_cbranch_execz .LBB133_41
.LBB133_73:
	v_add_u32_e32 v6, v5, v2
	v_mov_b32_e32 v7, 0
	s_waitcnt lgkmcnt(0)
	v_lshl_add_u64 v[6:7], v[6:7], 2, s[12:13]
	global_store_dword v[6:7], v28, off
	s_or_b64 exec, exec, s[6:7]
	s_and_saveexec_b64 s[6:7], s[2:3]
	s_cbranch_execz .LBB133_42
.LBB133_74:
	v_add_u32_e32 v6, v5, v3
	v_mov_b32_e32 v7, 0
	s_waitcnt lgkmcnt(0)
	v_lshl_add_u64 v[6:7], v[6:7], 2, s[12:13]
	global_store_dword v[6:7], v26, off
	s_or_b64 exec, exec, s[6:7]
	s_and_saveexec_b64 s[6:7], s[4:5]
	s_cbranch_execnz .LBB133_43
	s_branch .LBB133_44
.LBB133_75:
	v_add_u32_e32 v6, v5, v0
	v_mov_b32_e32 v7, 0
	s_waitcnt lgkmcnt(0)
	v_lshl_add_u64 v[6:7], v[6:7], 2, s[12:13]
	global_store_dword v[6:7], v31, off
	s_or_b64 exec, exec, s[6:7]
	s_and_saveexec_b64 s[6:7], s[0:1]
	s_cbranch_execz .LBB133_47
.LBB133_76:
	v_add_u32_e32 v6, v5, v2
	v_mov_b32_e32 v7, 0
	s_waitcnt lgkmcnt(0)
	v_lshl_add_u64 v[6:7], v[6:7], 2, s[12:13]
	global_store_dword v[6:7], v29, off
	s_or_b64 exec, exec, s[6:7]
	s_and_saveexec_b64 s[6:7], s[2:3]
	s_cbranch_execz .LBB133_48
.LBB133_77:
	v_add_u32_e32 v6, v5, v3
	v_mov_b32_e32 v7, 0
	s_waitcnt lgkmcnt(0)
	v_lshl_add_u64 v[6:7], v[6:7], 2, s[12:13]
	global_store_dword v[6:7], v27, off
	s_or_b64 exec, exec, s[6:7]
	s_and_saveexec_b64 s[6:7], s[4:5]
	s_cbranch_execnz .LBB133_49
	s_branch .LBB133_50
.LBB133_78:
	v_add_u32_e32 v6, v5, v0
	v_mov_b32_e32 v7, 0
	s_waitcnt lgkmcnt(0)
	v_lshl_add_u64 v[6:7], v[6:7], 2, s[12:13]
	global_store_dword v[6:7], v22, off
	s_or_b64 exec, exec, s[6:7]
	s_and_saveexec_b64 s[6:7], s[0:1]
	s_cbranch_execz .LBB133_53
.LBB133_79:
	v_add_u32_e32 v6, v5, v2
	v_mov_b32_e32 v7, 0
	s_waitcnt lgkmcnt(0)
	v_lshl_add_u64 v[6:7], v[6:7], 2, s[12:13]
	global_store_dword v[6:7], v20, off
	s_or_b64 exec, exec, s[6:7]
	s_and_saveexec_b64 s[6:7], s[2:3]
	s_cbranch_execz .LBB133_54
.LBB133_80:
	v_add_u32_e32 v6, v5, v3
	v_mov_b32_e32 v7, 0
	s_waitcnt lgkmcnt(0)
	v_lshl_add_u64 v[6:7], v[6:7], 2, s[12:13]
	global_store_dword v[6:7], v18, off
	s_or_b64 exec, exec, s[6:7]
	s_and_saveexec_b64 s[6:7], s[4:5]
	s_cbranch_execnz .LBB133_55
	s_branch .LBB133_56
.LBB133_81:
	v_add_u32_e32 v6, v1, v0
	v_mov_b32_e32 v7, 0
	s_waitcnt lgkmcnt(0)
	v_lshl_add_u64 v[6:7], v[6:7], 2, s[12:13]
	global_store_dword v[6:7], v23, off
	s_or_b64 exec, exec, s[6:7]
	s_and_saveexec_b64 s[6:7], s[0:1]
	s_cbranch_execz .LBB133_59
.LBB133_82:
	v_add_u32_e32 v6, v1, v2
	v_mov_b32_e32 v7, 0
	s_waitcnt lgkmcnt(0)
	v_lshl_add_u64 v[6:7], v[6:7], 2, s[12:13]
	global_store_dword v[6:7], v21, off
	s_or_b64 exec, exec, s[6:7]
	s_and_saveexec_b64 s[0:1], s[2:3]
	s_cbranch_execz .LBB133_60
.LBB133_83:
	v_add_u32_e32 v2, v1, v3
	v_mov_b32_e32 v3, 0
	s_waitcnt lgkmcnt(0)
	v_lshl_add_u64 v[2:3], v[2:3], 2, s[12:13]
	global_store_dword v[2:3], v19, off
	s_or_b64 exec, exec, s[0:1]
	s_and_b64 exec, exec, s[4:5]
	s_cbranch_execnz .LBB133_61
	s_branch .LBB133_62
	.section	.rodata,"a",@progbits
	.p2align	6, 0x0
	.amdhsa_kernel _ZL12mul_mat_q5_KIfLb0EEvPKvS1_PT_iiiii
		.amdhsa_group_segment_fixed_size 45136
		.amdhsa_private_segment_fixed_size 36
		.amdhsa_kernarg_size 44
		.amdhsa_user_sgpr_count 2
		.amdhsa_user_sgpr_dispatch_ptr 0
		.amdhsa_user_sgpr_queue_ptr 0
		.amdhsa_user_sgpr_kernarg_segment_ptr 1
		.amdhsa_user_sgpr_dispatch_id 0
		.amdhsa_user_sgpr_kernarg_preload_length 0
		.amdhsa_user_sgpr_kernarg_preload_offset 0
		.amdhsa_user_sgpr_private_segment_size 0
		.amdhsa_uses_dynamic_stack 0
		.amdhsa_enable_private_segment 1
		.amdhsa_system_sgpr_workgroup_id_x 1
		.amdhsa_system_sgpr_workgroup_id_y 1
		.amdhsa_system_sgpr_workgroup_id_z 0
		.amdhsa_system_sgpr_workgroup_info 0
		.amdhsa_system_vgpr_workitem_id 1
		.amdhsa_next_free_vgpr 256
		.amdhsa_next_free_sgpr 21
		.amdhsa_accum_offset 256
		.amdhsa_reserve_vcc 1
		.amdhsa_float_round_mode_32 0
		.amdhsa_float_round_mode_16_64 0
		.amdhsa_float_denorm_mode_32 3
		.amdhsa_float_denorm_mode_16_64 3
		.amdhsa_dx10_clamp 1
		.amdhsa_ieee_mode 1
		.amdhsa_fp16_overflow 0
		.amdhsa_tg_split 0
		.amdhsa_exception_fp_ieee_invalid_op 0
		.amdhsa_exception_fp_denorm_src 0
		.amdhsa_exception_fp_ieee_div_zero 0
		.amdhsa_exception_fp_ieee_overflow 0
		.amdhsa_exception_fp_ieee_underflow 0
		.amdhsa_exception_fp_ieee_inexact 0
		.amdhsa_exception_int_div_zero 0
	.end_amdhsa_kernel
	.section	.text._ZL12mul_mat_q5_KIfLb0EEvPKvS1_PT_iiiii,"axG",@progbits,_ZL12mul_mat_q5_KIfLb0EEvPKvS1_PT_iiiii,comdat
.Lfunc_end133:
	.size	_ZL12mul_mat_q5_KIfLb0EEvPKvS1_PT_iiiii, .Lfunc_end133-_ZL12mul_mat_q5_KIfLb0EEvPKvS1_PT_iiiii
                                        ; -- End function
	.section	.AMDGPU.csdata,"",@progbits
; Kernel info:
; codeLenInByte = 16756
; NumSgprs: 27
; NumVgprs: 256
; NumAgprs: 0
; TotalNumVgprs: 256
; ScratchSize: 36
; MemoryBound: 0
; FloatMode: 240
; IeeeMode: 1
; LDSByteSize: 45136 bytes/workgroup (compile time only)
; SGPRBlocks: 3
; VGPRBlocks: 31
; NumSGPRsForWavesPerEU: 27
; NumVGPRsForWavesPerEU: 256
; AccumOffset: 256
; Occupancy: 1
; WaveLimiterHint : 0
; COMPUTE_PGM_RSRC2:SCRATCH_EN: 1
; COMPUTE_PGM_RSRC2:USER_SGPR: 2
; COMPUTE_PGM_RSRC2:TRAP_HANDLER: 0
; COMPUTE_PGM_RSRC2:TGID_X_EN: 1
; COMPUTE_PGM_RSRC2:TGID_Y_EN: 1
; COMPUTE_PGM_RSRC2:TGID_Z_EN: 0
; COMPUTE_PGM_RSRC2:TIDIG_COMP_CNT: 1
; COMPUTE_PGM_RSRC3_GFX90A:ACCUM_OFFSET: 63
; COMPUTE_PGM_RSRC3_GFX90A:TG_SPLIT: 0
	.section	.text._ZL12mul_mat_q5_KIfLb1EEvPKvS1_PT_iiiii,"axG",@progbits,_ZL12mul_mat_q5_KIfLb1EEvPKvS1_PT_iiiii,comdat
	.globl	_ZL12mul_mat_q5_KIfLb1EEvPKvS1_PT_iiiii ; -- Begin function _ZL12mul_mat_q5_KIfLb1EEvPKvS1_PT_iiiii
	.p2align	8
	.type	_ZL12mul_mat_q5_KIfLb1EEvPKvS1_PT_iiiii,@function
_ZL12mul_mat_q5_KIfLb1EEvPKvS1_PT_iiiii: ; @_ZL12mul_mat_q5_KIfLb1EEvPKvS1_PT_iiiii
; %bb.0:
	s_load_dwordx4 s[8:11], s[0:1], 0x18
	s_load_dword s14, s[0:1], 0x28
	s_lshl_b32 s15, s3, 6
	v_bfe_u32 v40, v0, 10, 10
	s_waitcnt lgkmcnt(0)
	s_cmpk_gt_i32 s8, 0xff
	s_cbranch_scc1 .LBB134_2
; %bb.1:
	v_bfe_u32 v1, v0, 10, 10
	v_and_b32_e32 v72, 0x3ff, v0
	v_add_u32_e32 v2, s15, v1
	s_mov_b64 s[4:5], 0
	s_mov_b32 s3, 0
	s_branch .LBB134_3
.LBB134_2:
	s_mov_b64 s[4:5], -1
                                        ; implicit-def: $sgpr3
                                        ; implicit-def: $vgpr1
                                        ; implicit-def: $vgpr72
                                        ; implicit-def: $vgpr2
.LBB134_3:
	s_load_dwordx2 s[12:13], s[0:1], 0x10
	s_lshl_b32 s6, s2, 7
	s_andn2_b64 vcc, exec, s[4:5]
	v_mov_b32_e32 v17, s3
	v_mov_b32_e32 v16, s3
	;; [unrolled: 1-line block ×32, first 2 shown]
	s_cbranch_vccnz .LBB134_11
; %bb.4:
	s_ashr_i32 s4, s8, 31
	s_lshr_b32 s4, s4, 24
	s_load_dwordx4 s[0:3], s[0:1], 0x0
	s_add_i32 s4, s8, s4
	s_ashr_i32 s7, s4, 8
	s_ashr_i32 s4, s11, 31
	s_lshr_b32 s4, s4, 27
	s_add_i32 s4, s11, s4
	s_mul_i32 s5, s7, s6
	s_ashr_i32 s4, s4, 5
	s_mul_hi_i32 s16, s5, 0xb0
	s_mulk_i32 s5, 0xb0
	s_waitcnt lgkmcnt(0)
	s_add_u32 s11, s0, s5
	v_and_b32_e32 v72, 0x3ff, v0
	s_addc_u32 s16, s1, s16
	s_not_b32 s0, s6
	v_lshlrev_b32_e32 v0, 1, v72
	v_and_b32_e32 v2, 7, v72
	s_add_i32 s5, s0, s9
	v_and_or_b32 v0, v0, 48, v2
	v_lshrrev_b32_e32 v1, 2, v72
	v_min_i32_e32 v2, s5, v40
	v_lshlrev_b32_e32 v0, 2, v0
	s_movk_i32 s1, 0x104
	v_add_u32_e32 v3, 8, v40
	v_mul_lo_u32 v4, v2, s7
	v_mad_u64_u32 v[50:51], s[18:19], v2, s1, v[0:1]
	v_min_i32_e32 v2, s5, v3
	scratch_store_dwordx2 off, v[4:5], off  ; 8-byte Folded Spill
	v_mul_lo_u32 v4, v2, s7
	scratch_store_dwordx2 off, v[4:5], off offset:8 ; 8-byte Folded Spill
	v_add_u32_e32 v5, 16, v40
	v_mad_u64_u32 v[56:57], s[18:19], v2, s1, v[0:1]
	v_min_i32_e32 v2, s5, v5
	v_add_u32_e32 v8, 24, v40
	v_mul_lo_u32 v4, v2, s7
	v_mad_u64_u32 v[60:61], s[18:19], v2, s1, v[0:1]
	v_min_i32_e32 v2, s5, v8
	v_add_u32_e32 v9, 32, v40
	scratch_store_dwordx2 off, v[4:5], off offset:16 ; 8-byte Folded Spill
	v_mul_lo_u32 v4, v2, s7
	v_mad_u64_u32 v[64:65], s[18:19], v2, s1, v[0:1]
	v_min_i32_e32 v2, s5, v9
	v_add_u32_e32 v10, 40, v40
	scratch_store_dwordx2 off, v[4:5], off offset:24 ; 8-byte Folded Spill
	;; [unrolled: 5-line block ×4, first 2 shown]
	v_mul_lo_u32 v4, v2, s7
	v_mad_u64_u32 v[80:81], s[18:19], v2, s1, v[0:1]
	v_min_i32_e32 v2, s5, v12
	scratch_store_dwordx2 off, v[4:5], off offset:48 ; 8-byte Folded Spill
	v_mul_lo_u32 v4, v2, s7
	v_mad_u64_u32 v[84:85], s[18:19], v2, s1, v[0:1]
	v_add_u32_e32 v2, 64, v40
	v_min_i32_e32 v2, s5, v2
	scratch_store_dwordx2 off, v[4:5], off offset:56 ; 8-byte Folded Spill
	v_mul_lo_u32 v4, v2, s7
	v_mad_u64_u32 v[88:89], s[18:19], v2, s1, v[0:1]
	v_add_u32_e32 v2, 0x48, v40
	v_min_i32_e32 v2, s5, v2
	scratch_store_dwordx2 off, v[4:5], off offset:64 ; 8-byte Folded Spill
	v_mul_lo_u32 v4, v2, s7
	v_mad_u64_u32 v[92:93], s[18:19], v2, s1, v[0:1]
	v_add_u32_e32 v2, 0x50, v40
	v_min_i32_e32 v2, s5, v2
	scratch_store_dwordx2 off, v[4:5], off offset:72 ; 8-byte Folded Spill
	v_mul_lo_u32 v4, v2, s7
	v_mad_u64_u32 v[96:97], s[18:19], v2, s1, v[0:1]
	v_add_u32_e32 v2, 0x58, v40
	v_min_i32_e32 v2, s5, v2
	scratch_store_dwordx2 off, v[4:5], off offset:80 ; 8-byte Folded Spill
	v_mul_lo_u32 v4, v2, s7
	v_mad_u64_u32 v[100:101], s[18:19], v2, s1, v[0:1]
	v_add_u32_e32 v2, 0x60, v40
	v_min_i32_e32 v2, s5, v2
	scratch_store_dwordx2 off, v[4:5], off offset:88 ; 8-byte Folded Spill
	v_mul_lo_u32 v4, v2, s7
	v_mad_u64_u32 v[104:105], s[18:19], v2, s1, v[0:1]
	v_add_u32_e32 v2, 0x68, v40
	v_min_i32_e32 v2, s5, v2
	v_mul_lo_u32 v106, v2, s7
	v_mad_u64_u32 v[108:109], s[18:19], v2, s1, v[0:1]
	v_add_u32_e32 v2, 0x70, v40
	v_min_i32_e32 v2, s5, v2
	v_mul_lo_u32 v110, v2, s7
	v_mad_u64_u32 v[112:113], s[18:19], v2, s1, v[0:1]
	v_add_u32_e32 v2, 0x78, v40
	v_min_i32_e32 v2, s5, v2
	v_lshlrev_b32_e32 v57, 5, v40
	v_mad_u64_u32 v[116:117], s[18:19], v2, s1, v[0:1]
	v_add_u32_e32 v0, v57, v72
	v_and_b32_e32 v0, 0x7f, v0
	v_min_i32_e32 v0, s5, v0
	v_mul_lo_u32 v114, v2, s7
	v_ashrrev_i32_e32 v2, 31, v0
	v_lshrrev_b32_e32 v2, 27, v2
	v_add_u32_e32 v2, v0, v2
	v_ashrrev_i32_e32 v2, 5, v2
	v_mul_lo_u32 v118, v0, s7
	v_lshlrev_b32_e32 v2, 2, v2
	v_lshlrev_b32_e32 v0, 2, v0
	s_mov_b32 s9, 0xae40
	v_add3_u32 v61, v2, v0, s9
	v_and_b32_e32 v0, 3, v72
	v_add_u32_e32 v2, 0xfe, v0
	v_cmp_gt_u32_e32 vcc, 2, v0
	v_and_b32_e32 v59, 6, v1
	v_lshl_add_u32 v1, v40, 3, v1
	v_cndmask_b32_e32 v2, v2, v0, vcc
	v_and_b32_e32 v6, 0xff, v2
	v_cmp_ne_u32_e32 vcc, 0, v0
	v_lshlrev_b32_e32 v79, 1, v6
	v_lshlrev_b32_e32 v14, 2, v0
	v_addc_co_u32_e32 v2, vcc, 0, v6, vcc
	v_and_b32_e32 v6, 0x7f, v1
	v_min_i32_e32 v7, s5, v6
	v_ashrrev_i32_e32 v13, 31, v7
	v_xor_b32_e32 v6, 64, v6
	v_lshrrev_b32_e32 v13, 29, v13
	v_min_i32_e32 v6, s5, v6
	v_mul_lo_u32 v120, v7, s7
	v_add_u32_e32 v13, v7, v13
	v_lshlrev_b32_e32 v15, 4, v7
	v_ashrrev_i32_e32 v7, 31, v6
	v_lshrrev_b32_e32 v7, 29, v7
	v_and_b32_e32 v1, 63, v1
	v_add_u32_e32 v7, v6, v7
	s_add_i32 s5, s10, -1
	v_or_b32_e32 v19, s15, v1
	v_ashrrev_i32_e32 v7, 3, v7
	v_min_i32_e32 v19, s5, v19
	v_cmp_lt_u32_e32 vcc, 1, v0
	s_mov_b32 s17, 0xa200
	v_lshlrev_b32_e32 v7, 2, v7
	v_add_u32_e32 v21, s15, v40
	v_mad_u64_u32 v[126:127], s[18:19], v19, s4, v[0:1]
	v_lshl_or_b32 v0, v1, 4, v14
	v_mul_lo_u32 v122, v6, s7
	v_add3_u32 v16, v7, v14, s17
	v_lshlrev_b32_e32 v17, 4, v6
	v_cvt_f64_i32_e32 v[6:7], s5
	v_add_u32_e32 v69, 0xaa40, v0
	v_cvt_f64_u32_e32 v[0:1], v21
	v_ashrrev_i32_e32 v13, 3, v13
	v_min_f64 v[0:1], v[0:1], v[6:7]
	v_lshlrev_b32_e32 v13, 2, v13
	v_and_b32_e32 v18, 31, v72
	v_cvt_i32_f64_e32 v0, v[0:1]
	v_add3_u32 v13, v13, v14, s17
	v_mul_lo_u32 v75, s4, v0
	v_or_b32_e32 v0, v57, v18
	v_mov_b32_e32 v14, 0x8200
	v_lshl_add_u32 v102, v0, 2, v14
	v_add_u32_e32 v0, 8, v21
	v_cvt_f64_u32_e32 v[0:1], v0
	v_min_f64 v[0:1], v[0:1], v[6:7]
	v_cvt_i32_f64_e32 v0, v[0:1]
	v_lshlrev_b32_e32 v83, 5, v3
	v_mul_lo_u32 v81, s4, v0
	v_or_b32_e32 v0, v83, v18
	v_lshl_add_u32 v85, v0, 2, v14
	v_add_u32_e32 v0, 16, v21
	v_cvt_f64_u32_e32 v[0:1], v0
	v_min_f64 v[0:1], v[0:1], v[6:7]
	v_cvt_i32_f64_e32 v0, v[0:1]
	v_lshlrev_b32_e32 v89, 5, v5
	v_mul_lo_u32 v87, s4, v0
	v_or_b32_e32 v0, v89, v18
	v_lshl_add_u32 v91, v0, 2, v14
	v_add_u32_e32 v0, 24, v21
	v_cvt_f64_u32_e32 v[0:1], v0
	v_min_f64 v[0:1], v[0:1], v[6:7]
	v_cvt_i32_f64_e32 v0, v[0:1]
	v_lshlrev_b32_e32 v95, 5, v8
	v_mul_lo_u32 v93, s4, v0
	v_or_b32_e32 v0, v95, v18
	v_lshl_add_u32 v97, v0, 2, v14
	v_add_u32_e32 v0, 32, v21
	v_cvt_f64_u32_e32 v[0:1], v0
	v_min_f64 v[0:1], v[0:1], v[6:7]
	v_cvt_i32_f64_e32 v0, v[0:1]
	v_lshlrev_b32_e32 v101, 5, v9
	v_mul_lo_u32 v99, s4, v0
	v_or_b32_e32 v0, v101, v18
	v_lshl_add_u32 v103, v0, 2, v14
	v_add_u32_e32 v0, 40, v21
	v_cvt_f64_u32_e32 v[0:1], v0
	v_min_f64 v[0:1], v[0:1], v[6:7]
	v_cvt_i32_f64_e32 v0, v[0:1]
	v_lshlrev_b32_e32 v107, 5, v10
	v_mul_lo_u32 v105, s4, v0
	v_or_b32_e32 v0, v107, v18
	v_lshl_add_u32 v109, v0, 2, v14
	v_add_u32_e32 v0, 48, v21
	v_cvt_f64_u32_e32 v[0:1], v0
	v_min_f64 v[0:1], v[0:1], v[6:7]
	v_cvt_i32_f64_e32 v0, v[0:1]
	v_lshlrev_b32_e32 v113, 5, v11
	v_mul_lo_u32 v111, s4, v0
	v_or_b32_e32 v0, v113, v18
	v_lshl_add_u32 v115, v0, 2, v14
	v_add_u32_e32 v0, 56, v21
	v_cvt_f64_u32_e32 v[0:1], v0
	v_min_f64 v[0:1], v[0:1], v[6:7]
	v_cvt_i32_f64_e32 v0, v[0:1]
	v_lshlrev_b32_e32 v119, 5, v12
	v_lshrrev_b32_e32 v22, 5, v72
	v_mul_lo_u32 v117, s4, v0
	v_or_b32_e32 v0, v119, v18
	v_lshlrev_b32_e32 v53, 2, v72
	v_lshl_add_u32 v121, v0, 2, v14
	v_lshlrev_b32_e32 v0, 2, v22
	v_add3_u32 v123, v0, v53, s9
	v_add_u32_e32 v0, 32, v72
	v_lshrrev_b32_e32 v127, 3, v0
	v_lshlrev_b32_e32 v1, 2, v0
	v_and_b32_e32 v0, 60, v127
	v_add3_u32 v149, v53, v0, s9
	v_add_u32_e32 v0, 64, v72
	v_lshrrev_b32_e32 v151, 3, v0
	v_lshlrev_b32_e32 v3, 2, v0
	v_and_b32_e32 v0, 60, v151
	v_add3_u32 v197, v53, v0, s9
	v_add_u32_e32 v0, 0x60, v72
	v_lshrrev_b32_e32 v221, 3, v0
	scratch_store_dwordx2 off, v[4:5], off offset:96 ; 8-byte Folded Spill
	v_lshlrev_b32_e32 v5, 2, v0
	v_and_b32_e32 v0, 60, v221
	v_add3_u32 v238, v53, v0, s9
	v_mov_b32_e32 v0, 0x2080
	v_mad_u32_u24 v240, v72, s1, v0
	v_mov_b32_e32 v0, 0x4100
	s_mov_b32 s0, 0
	v_mad_u32_u24 v241, v72, s1, v0
	v_mov_b32_e32 v0, 0x6180
	v_mov_b32_e32 v43, 0
	v_and_b32_e32 v4, 4, v53
	v_mad_u32_u24 v242, v72, s1, v0
	s_mov_b32 s1, s0
	v_and_b32_e32 v44, 28, v53
	v_mov_b32_e32 v45, v43
	v_cndmask_b32_e32 v65, 0, v4, vcc
	v_cndmask_b32_e64 v4, 0, 1, vcc
	v_mov_b64_e32 v[76:77], s[0:1]
	s_movk_i32 s8, 0xb0
	v_and_b32_e32 v42, 0x7c, v53
	v_or_b32_e32 v63, 1, v59
	v_lshl_add_u64 v[124:125], s[2:3], 0, v[44:45]
	v_lshrrev_b32_e32 v73, 3, v72
	scratch_store_dword off, v21, off offset:108 ; 4-byte Folded Spill
	v_mov_b32_e32 v78, v22
	v_mul_u32_u24_e32 v239, 0x104, v72
	s_mov_b32 s1, 0x10101010
	v_lshlrev_b32_e32 v128, 2, v2
	v_lshlrev_b32_e32 v130, 2, v4
	s_mov_b32 s9, 0x30303030
	v_add_u32_e32 v243, v13, v15
	v_add_u32_e32 v244, v16, v17
	v_mov_b32_e32 v129, v43
	v_mov_b32_e32 v131, v43
	v_lshlrev_b32_e32 v245, 2, v1
	v_lshlrev_b32_e32 v246, 2, v3
	;; [unrolled: 1-line block ×3, first 2 shown]
	v_mov_b64_e32 v[38:39], v[76:77]
	v_mov_b64_e32 v[30:31], v[76:77]
	;; [unrolled: 1-line block ×15, first 2 shown]
	scratch_store_dword off, v40, off offset:104 ; 4-byte Folded Spill
.LBB134_5:                              ; =>This Loop Header: Depth=1
                                        ;     Child Loop BB134_6 Depth 2
                                        ;     Child Loop BB134_8 Depth 2
	scratch_load_dwordx2 v[4:5], off, off   ; 8-byte Folded Reload
	scratch_load_dwordx2 v[8:9], off, off offset:8 ; 8-byte Folded Reload
	s_mul_i32 s4, s0, 0xb0
	s_mul_hi_u32 s5, s0, 0xb0
	s_add_u32 s4, s11, s4
	s_addc_u32 s5, s16, s5
	v_mov_b64_e32 v[0:1], s[4:5]
	v_mad_u64_u32 v[2:3], s[4:5], v78, s8, v[0:1]
	s_lshl_b32 s17, s0, 3
	v_add_u32_e32 v161, s17, v126
	s_mov_b32 s19, 0
	s_waitcnt vmcnt(1)
	v_mad_i64_i32 v[4:5], s[4:5], v4, s8, v[2:3]
	v_lshl_add_u64 v[6:7], v[4:5], 0, v[42:43]
	v_lshl_add_u64 v[4:5], v[4:5], 0, v[44:45]
	s_waitcnt vmcnt(0)
	v_mad_i64_i32 v[8:9], s[4:5], v8, s8, v[2:3]
	v_lshl_add_u64 v[10:11], v[8:9], 0, v[42:43]
	global_load_dword v12, v[6:7], off offset:48
	global_load_dword v13, v[4:5], off offset:16
	;; [unrolled: 1-line block ×3, first 2 shown]
	s_nop 0
	scratch_load_dwordx2 v[4:5], off, off offset:16 ; 8-byte Folded Reload
	v_lshl_add_u64 v[6:7], v[8:9], 0, v[44:45]
	global_load_dword v15, v[6:7], off offset:16
	s_waitcnt vmcnt(3)
	v_ashrrev_i32_e32 v135, v59, v13
	v_and_b32_e32 v134, 0xf0f0f0f, v12
	s_waitcnt vmcnt(1)
	v_mad_i64_i32 v[4:5], s[4:5], v4, s8, v[2:3]
	v_lshl_add_u64 v[6:7], v[4:5], 0, v[42:43]
	v_lshl_add_u64 v[4:5], v[4:5], 0, v[44:45]
	global_load_dword v40, v[6:7], off offset:48
	global_load_dword v41, v[4:5], off offset:16
	s_nop 0
	scratch_load_dwordx2 v[4:5], off, off offset:24 ; 8-byte Folded Reload
	v_lshrrev_b32_e32 v12, 4, v12
	v_ashrrev_i32_e32 v13, v63, v13
	v_and_b32_e32 v136, 0xf0f0f0f, v14
	v_lshrrev_b32_e32 v14, 4, v14
	s_waitcnt vmcnt(3)
	v_ashrrev_i32_e32 v137, v59, v15
	v_ashrrev_i32_e32 v15, v63, v15
	v_and_b32_e32 v12, 0xf0f0f0f, v12
	v_lshlrev_b32_e32 v135, 4, v135
	v_lshlrev_b32_e32 v13, 4, v13
	v_and_b32_e32 v14, 0xf0f0f0f, v14
	v_lshlrev_b32_e32 v137, 4, v137
	s_waitcnt vmcnt(1)
	v_ashrrev_i32_e32 v139, v59, v41
	s_waitcnt vmcnt(0)
	v_mad_i64_i32 v[4:5], s[4:5], v4, s8, v[2:3]
	v_lshl_add_u64 v[6:7], v[4:5], 0, v[42:43]
	v_lshl_add_u64 v[4:5], v[4:5], 0, v[44:45]
	global_load_dword v48, v[6:7], off offset:48
	global_load_dword v49, v[4:5], off offset:16
	s_nop 0
	scratch_load_dwordx2 v[4:5], off, off offset:32 ; 8-byte Folded Reload
	v_and_b32_e32 v138, 0xf0f0f0f, v40
	v_lshrrev_b32_e32 v40, 4, v40
	v_ashrrev_i32_e32 v41, v63, v41
	s_waitcnt vmcnt(0)
	v_mad_i64_i32 v[4:5], s[4:5], v4, s8, v[2:3]
	v_lshl_add_u64 v[6:7], v[4:5], 0, v[42:43]
	v_lshl_add_u64 v[4:5], v[4:5], 0, v[44:45]
	global_load_dword v51, v[6:7], off offset:48
	global_load_dword v52, v[4:5], off offset:16
	s_nop 0
	scratch_load_dwordx2 v[4:5], off, off offset:40 ; 8-byte Folded Reload
	s_waitcnt vmcnt(0)
	v_mad_i64_i32 v[4:5], s[4:5], v4, s8, v[2:3]
	v_lshl_add_u64 v[6:7], v[4:5], 0, v[42:43]
	v_lshl_add_u64 v[4:5], v[4:5], 0, v[44:45]
	global_load_dword v58, v[6:7], off offset:48
	global_load_dword v62, v[4:5], off offset:16
	s_nop 0
	scratch_load_dwordx2 v[4:5], off, off offset:48 ; 8-byte Folded Reload
	s_waitcnt vmcnt(0)
	v_mad_i64_i32 v[4:5], s[4:5], v4, s8, v[2:3]
	v_lshl_add_u64 v[6:7], v[4:5], 0, v[42:43]
	global_load_dword v66, v[6:7], off offset:48
	s_nop 0
	scratch_load_dwordx2 v[6:7], off, off offset:56 ; 8-byte Folded Reload
	v_lshl_add_u64 v[4:5], v[4:5], 0, v[44:45]
	global_load_dword v67, v[4:5], off offset:16
	s_nop 0
	scratch_load_dwordx2 v[4:5], off, off offset:64 ; 8-byte Folded Reload
	scratch_load_dwordx2 v[8:9], off, off offset:72 ; 8-byte Folded Reload
	s_waitcnt vmcnt(3)
	v_mad_i64_i32 v[6:7], s[4:5], v6, s8, v[2:3]
	v_lshl_add_u64 v[10:11], v[6:7], 0, v[42:43]
	v_lshl_add_u64 v[6:7], v[6:7], 0, v[44:45]
	global_load_dword v132, v[10:11], off offset:48
	global_load_dword v133, v[6:7], off offset:16
	s_waitcnt vmcnt(3)
	v_mad_i64_i32 v[4:5], s[4:5], v4, s8, v[2:3]
	v_lshl_add_u64 v[10:11], v[4:5], 0, v[42:43]
	v_lshl_add_u64 v[4:5], v[4:5], 0, v[44:45]
	s_waitcnt vmcnt(2)
	v_mad_i64_i32 v[8:9], s[4:5], v8, s8, v[2:3]
	global_load_dword v140, v[10:11], off offset:48
	v_lshlrev_b32_e32 v10, 4, v15
	global_load_dword v15, v[4:5], off offset:16
	v_and_or_b32 v4, v135, s1, v134
	v_and_or_b32 v5, v13, s1, v12
	v_lshl_add_u64 v[6:7], v[8:9], 0, v[42:43]
	v_and_or_b32 v12, v137, s1, v136
	v_and_or_b32 v10, v10, s1, v14
	ds_write2_b32 v50, v4, v5 offset1:8
	v_lshl_add_u64 v[4:5], v[8:9], 0, v[44:45]
	v_and_b32_e32 v11, 0xf0f0f0f, v40
	v_lshlrev_b32_e32 v40, 4, v139
	global_load_dword v13, v[6:7], off offset:48
	ds_write2_b32 v56, v12, v10 offset1:8
	global_load_dword v12, v[4:5], off offset:16
	v_lshlrev_b32_e32 v4, 4, v41
	v_and_or_b32 v5, v40, s1, v138
	v_and_or_b32 v4, v4, s1, v11
	ds_write2_b32 v60, v5, v4 offset1:8
	v_lshrrev_b32_e32 v5, 4, v48
	v_ashrrev_i32_e32 v6, v59, v49
	v_ashrrev_i32_e32 v7, v63, v49
	v_and_b32_e32 v4, 0xf0f0f0f, v48
	v_and_b32_e32 v5, 0xf0f0f0f, v5
	v_lshlrev_b32_e32 v6, 4, v6
	v_lshlrev_b32_e32 v7, 4, v7
	v_and_or_b32 v4, v6, s1, v4
	v_and_or_b32 v5, v7, s1, v5
	ds_write2_b32 v64, v4, v5 offset1:8
	v_lshrrev_b32_e32 v5, 4, v51
	v_ashrrev_i32_e32 v6, v59, v52
	v_ashrrev_i32_e32 v7, v63, v52
	v_and_b32_e32 v4, 0xf0f0f0f, v51
	v_and_b32_e32 v5, 0xf0f0f0f, v5
	v_lshlrev_b32_e32 v6, 4, v6
	;; [unrolled: 10-line block ×4, first 2 shown]
	v_lshlrev_b32_e32 v7, 4, v7
	v_and_or_b32 v4, v6, s1, v4
	v_and_or_b32 v5, v7, s1, v5
	ds_write2_b32 v80, v4, v5 offset1:8
	scratch_load_dwordx2 v[8:9], off, off offset:88 ; 8-byte Folded Reload
	s_waitcnt vmcnt(6)
	v_lshrrev_b32_e32 v5, 4, v132
	s_waitcnt vmcnt(5)
	v_ashrrev_i32_e32 v6, v59, v133
	v_ashrrev_i32_e32 v7, v63, v133
	v_and_b32_e32 v4, 0xf0f0f0f, v132
	v_and_b32_e32 v5, 0xf0f0f0f, v5
	v_lshlrev_b32_e32 v6, 4, v6
	v_lshlrev_b32_e32 v7, 4, v7
	v_and_or_b32 v4, v6, s1, v4
	v_and_or_b32 v5, v7, s1, v5
	ds_write2_b32 v84, v4, v5 offset1:8
	scratch_load_dwordx2 v[4:5], off, off offset:80 ; 8-byte Folded Reload
	s_waitcnt vmcnt(1)
	v_mad_i64_i32 v[8:9], s[4:5], v8, s8, v[2:3]
	v_lshl_add_u64 v[10:11], v[8:9], 0, v[42:43]
	v_lshl_add_u64 v[8:9], v[8:9], 0, v[44:45]
	s_waitcnt vmcnt(0)
	v_mad_i64_i32 v[4:5], s[4:5], v4, s8, v[2:3]
	v_lshl_add_u64 v[6:7], v[4:5], 0, v[42:43]
	v_lshl_add_u64 v[4:5], v[4:5], 0, v[44:45]
	global_load_dword v40, v[6:7], off offset:48
	global_load_dword v41, v[4:5], off offset:16
	;; [unrolled: 1-line block ×4, first 2 shown]
	v_lshrrev_b32_e32 v5, 4, v140
	v_ashrrev_i32_e32 v6, v59, v15
	v_ashrrev_i32_e32 v7, v63, v15
	v_and_b32_e32 v4, 0xf0f0f0f, v140
	v_and_b32_e32 v5, 0xf0f0f0f, v5
	v_lshlrev_b32_e32 v6, 4, v6
	v_lshlrev_b32_e32 v7, 4, v7
	v_and_or_b32 v4, v6, s1, v4
	v_and_or_b32 v5, v7, s1, v5
	ds_write2_b32 v88, v4, v5 offset1:8
	v_lshrrev_b32_e32 v5, 4, v13
	v_ashrrev_i32_e32 v6, v59, v12
	v_ashrrev_i32_e32 v7, v63, v12
	v_and_b32_e32 v4, 0xf0f0f0f, v13
	v_and_b32_e32 v5, 0xf0f0f0f, v5
	v_lshlrev_b32_e32 v6, 4, v6
	v_lshlrev_b32_e32 v7, 4, v7
	v_and_or_b32 v4, v6, s1, v4
	v_and_or_b32 v5, v7, s1, v5
	ds_write2_b32 v92, v4, v5 offset1:8
	scratch_load_dwordx2 v[4:5], off, off offset:96 ; 8-byte Folded Reload
	v_mad_i64_i32 v[8:9], s[4:5], v106, s8, v[2:3]
	v_mad_i64_i32 v[12:13], s[4:5], v110, s8, v[2:3]
	v_lshl_add_u64 v[10:11], v[8:9], 0, v[42:43]
	v_lshl_add_u64 v[8:9], v[8:9], 0, v[44:45]
	;; [unrolled: 1-line block ×4, first 2 shown]
	s_waitcnt vmcnt(0)
	v_mad_i64_i32 v[4:5], s[4:5], v4, s8, v[2:3]
	v_mad_i64_i32 v[2:3], s[4:5], v114, s8, v[2:3]
	v_lshl_add_u64 v[6:7], v[4:5], 0, v[42:43]
	v_lshl_add_u64 v[48:49], v[2:3], 0, v[42:43]
	;; [unrolled: 1-line block ×4, first 2 shown]
	global_load_dword v58, v[6:7], off offset:48
	global_load_dword v62, v[4:5], off offset:16
	;; [unrolled: 1-line block ×6, first 2 shown]
	s_nop 0
	global_load_dword v48, v[48:49], off offset:48
	s_nop 0
	global_load_dword v49, v[2:3], off offset:16
	v_mad_i64_i32 v[2:3], s[4:5], v118, s8, v[0:1]
	v_mad_i64_i32 v[4:5], s[4:5], v120, s8, v[0:1]
	;; [unrolled: 1-line block ×3, first 2 shown]
	v_lshl_add_u64 v[4:5], v[4:5], 0, 4
	v_lshl_add_u64 v[0:1], v[0:1], 0, 4
	;; [unrolled: 1-line block ×6, first 2 shown]
	global_load_dword v134, v[2:3], off
	global_load_dword v135, v[6:7], off
	global_load_dword v136, v[4:5], off
	global_load_dword v137, v[8:9], off
	global_load_dword v138, v[0:1], off
	v_add_u32_e32 v14, s17, v73
	v_add_u32_e32 v0, v14, v75
	;; [unrolled: 1-line block ×6, first 2 shown]
	v_mad_i64_i32 v[0:1], s[4:5], v0, 36, v[124:125]
	v_mad_i64_i32 v[2:3], s[4:5], v2, 36, v[124:125]
	v_mad_i64_i32 v[4:5], s[4:5], v4, 36, v[124:125]
	v_mad_i64_i32 v[6:7], s[4:5], v6, 36, v[124:125]
	v_mad_i64_i32 v[8:9], s[4:5], v8, 36, v[124:125]
	v_add_u32_e32 v10, v14, v105
	v_add_u32_e32 v12, v14, v111
	v_add_u32_e32 v14, v14, v117
	v_mad_i64_i32 v[10:11], s[4:5], v10, 36, v[124:125]
	v_mad_i64_i32 v[12:13], s[4:5], v12, 36, v[124:125]
	;; [unrolled: 1-line block ×3, first 2 shown]
	global_load_dword v139, v[0:1], off offset:4
	s_nop 0
	global_load_dword v2, v[2:3], off offset:4
	s_nop 0
	;; [unrolled: 2-line block ×3, first 2 shown]
	global_load_dword v4, v[6:7], off offset:4
	global_load_dword v5, v[8:9], off offset:4
	s_nop 0
	global_load_dword v6, v[10:11], off offset:4
	global_load_dword v7, v[12:13], off offset:4
	;; [unrolled: 1-line block ×3, first 2 shown]
	v_mad_u64_u32 v[0:1], s[4:5], v161, 36, s[2:3]
	global_load_dword v0, v[0:1], off
	v_lshrrev_b32_e32 v9, 4, v40
	v_ashrrev_i32_e32 v10, v59, v41
	v_ashrrev_i32_e32 v11, v63, v41
	v_and_b32_e32 v1, 0xf0f0f0f, v40
	v_and_b32_e32 v9, 0xf0f0f0f, v9
	v_lshlrev_b32_e32 v10, 4, v10
	v_lshlrev_b32_e32 v11, 4, v11
	v_and_or_b32 v1, v10, s1, v1
	v_and_or_b32 v9, v11, s1, v9
	ds_write2_b32 v96, v1, v9 offset1:8
	v_lshrrev_b32_e32 v9, 4, v51
	v_ashrrev_i32_e32 v10, v59, v52
	v_ashrrev_i32_e32 v11, v63, v52
	v_and_b32_e32 v1, 0xf0f0f0f, v51
	v_and_b32_e32 v9, 0xf0f0f0f, v9
	v_lshlrev_b32_e32 v10, 4, v10
	v_lshlrev_b32_e32 v11, 4, v11
	v_and_or_b32 v1, v10, s1, v1
	v_and_or_b32 v9, v11, s1, v9
	ds_write2_b32 v100, v1, v9 offset1:8
	s_mov_b64 s[4:5], -1
	s_waitcnt vmcnt(21)
	v_lshrrev_b32_e32 v9, 4, v58
	s_waitcnt vmcnt(20)
	v_ashrrev_i32_e32 v10, v59, v62
	v_ashrrev_i32_e32 v11, v63, v62
	v_and_b32_e32 v1, 0xf0f0f0f, v58
	v_and_b32_e32 v9, 0xf0f0f0f, v9
	v_lshlrev_b32_e32 v10, 4, v10
	v_lshlrev_b32_e32 v11, 4, v11
	v_and_or_b32 v1, v10, s1, v1
	v_and_or_b32 v9, v11, s1, v9
	ds_write2_b32 v104, v1, v9 offset1:8
	s_waitcnt vmcnt(19)
	v_lshrrev_b32_e32 v9, 4, v66
	s_waitcnt vmcnt(18)
	v_ashrrev_i32_e32 v10, v59, v67
	v_ashrrev_i32_e32 v11, v63, v67
	v_and_b32_e32 v1, 0xf0f0f0f, v66
	v_and_b32_e32 v9, 0xf0f0f0f, v9
	v_lshlrev_b32_e32 v10, 4, v10
	v_lshlrev_b32_e32 v11, 4, v11
	v_and_or_b32 v1, v10, s1, v1
	v_and_or_b32 v9, v11, s1, v9
	ds_write2_b32 v108, v1, v9 offset1:8
	;; [unrolled: 12-line block ×4, first 2 shown]
	s_waitcnt vmcnt(13)
	ds_write_b32 v61, v134
	s_waitcnt vmcnt(12)
	v_ashrrev_i32_e32 v1, v65, v135
	v_and_b32_e32 v1, 0xf0f0f0f, v1
	s_waitcnt vmcnt(11)
	v_ashrrev_i32_e32 v9, v79, v136
	v_and_or_b32 v1, v9, s9, v1
	ds_write_b32 v243, v1
	s_waitcnt vmcnt(10)
	v_ashrrev_i32_e32 v1, v65, v137
	v_and_b32_e32 v1, 0xf0f0f0f, v1
	s_waitcnt vmcnt(9)
	v_ashrrev_i32_e32 v9, v79, v138
	v_and_or_b32 v1, v9, s9, v1
	ds_write_b32 v244, v1
	s_waitcnt vmcnt(8)
	ds_write_b32 v102, v139
	s_waitcnt vmcnt(7)
	;; [unrolled: 2-line block ×9, first 2 shown]
	ds_write_b32 v69, v0
	s_waitcnt lgkmcnt(0)
	s_barrier
	ds_read_b32 v0, v123
	ds_read_b32 v1, v149 offset:128
	ds_read_b32 v2, v197 offset:256
	;; [unrolled: 1-line block ×3, first 2 shown]
	s_waitcnt lgkmcnt(3)
	v_cvt_f32_f16_e32 v132, v0
	v_cvt_f32_f16_sdwa v134, v0 dst_sel:DWORD dst_unused:UNUSED_PAD src0_sel:WORD_1
	s_waitcnt lgkmcnt(2)
	v_cvt_f32_f16_e32 v136, v1
	v_cvt_f32_f16_sdwa v138, v1 dst_sel:DWORD dst_unused:UNUSED_PAD src0_sel:WORD_1
	s_waitcnt lgkmcnt(1)
	v_cvt_f32_f16_e32 v140, v2
	v_cvt_f32_f16_sdwa v142, v2 dst_sel:DWORD dst_unused:UNUSED_PAD src0_sel:WORD_1
	s_waitcnt lgkmcnt(0)
	v_cvt_f32_f16_e32 v144, v3
	v_cvt_f32_f16_sdwa v146, v3 dst_sel:DWORD dst_unused:UNUSED_PAD src0_sel:WORD_1
	v_mov_b32_e32 v133, v132
	v_mov_b32_e32 v135, v134
	;; [unrolled: 1-line block ×8, first 2 shown]
.LBB134_6:                              ;   Parent Loop BB134_5 Depth=1
                                        ; =>  This Inner Loop Header: Depth=2
	s_lshl_b32 s18, s19, 1
	s_lshr_b32 s20, s19, 2
	v_or_b32_e32 v0, s18, v57
	s_add_i32 s20, s20, 0xa200
	v_lshlrev_b32_e32 v1, 2, v0
	v_lshrrev_b32_e32 v40, 1, v0
	v_lshlrev_b32_e32 v248, 2, v73
	v_lshlrev_b32_e32 v249, 2, v53
	s_lshl_b32 s19, s19, 3
	ds_read_b128 v[12:15], v1 offset:33280
	ds_read_b128 v[8:11], v1 offset:33296
	;; [unrolled: 1-line block ×4, first 2 shown]
	ds_read_b64 v[228:229], v40 offset:43584
	v_add3_u32 v40, s20, v248, v249
	v_add_u32_e32 v41, s19, v239
	ds_read2_b32 v[198:199], v41 offset1:1
	ds_read2_b32 v[206:207], v41 offset0:2 offset1:3
	ds_read2_b32 v[210:211], v41 offset0:4 offset1:5
	;; [unrolled: 1-line block ×3, first 2 shown]
	ds_read_u16 v48, v40
	ds_read_u8 v49, v40 offset:8
	ds_read_u8 v40, v40 offset:9
	v_lshlrev_b32_e32 v250, 2, v127
	ds_read2_b32 v[194:195], v41 offset0:8 offset1:9
	ds_read2_b32 v[222:223], v41 offset0:10 offset1:11
	;; [unrolled: 1-line block ×4, first 2 shown]
	s_waitcnt lgkmcnt(4)
	v_cvt_f32_ubyte0_e32 v220, v40
	v_add3_u32 v40, s20, v250, v245
	v_add_u32_e32 v41, s19, v240
	v_cvt_f32_ubyte0_e32 v170, v49
	ds_read2_b32 v[168:169], v41 offset1:1
	ds_read2_b32 v[176:177], v41 offset0:2 offset1:3
	ds_read2_b32 v[178:179], v41 offset0:4 offset1:5
	;; [unrolled: 1-line block ×3, first 2 shown]
	ds_read_u16 v49, v40
	ds_read_u8 v52, v40 offset:8
	ds_read_u8 v40, v40 offset:9
	v_lshlrev_b32_e32 v251, 2, v151
	ds_read2_b32 v[164:165], v41 offset0:8 offset1:9
	ds_read2_b32 v[202:203], v41 offset0:10 offset1:11
	;; [unrolled: 1-line block ×4, first 2 shown]
	s_waitcnt lgkmcnt(4)
	v_cvt_f32_ubyte0_e32 v196, v40
	v_add3_u32 v40, s20, v251, v246
	v_add_u32_e32 v41, s19, v241
	v_and_b32_e32 v201, 0xff, v49
	v_lshrrev_b16_e32 v255, 8, v49
	ds_read2_b32 v[172:173], v41 offset1:1
	ds_read2_b32 v[182:183], v41 offset0:2 offset1:3
	ds_read2_b32 v[184:185], v41 offset0:4 offset1:5
	;; [unrolled: 1-line block ×3, first 2 shown]
	ds_read_u16 v49, v40
	ds_read_u8 v58, v40 offset:8
	ds_read_u8 v40, v40 offset:9
	ds_read2_b32 v[166:167], v41 offset0:8 offset1:9
	ds_read2_b32 v[212:213], v41 offset0:10 offset1:11
	;; [unrolled: 1-line block ×4, first 2 shown]
	v_add_u32_e32 v41, s19, v242
	ds_read2_b32 v[174:175], v41 offset1:1
	ds_read2_b32 v[188:189], v41 offset0:2 offset1:3
	ds_read2_b32 v[190:191], v41 offset0:4 offset1:5
	;; [unrolled: 1-line block ×3, first 2 shown]
	v_mov_b32_e32 v62, 0
	v_and_b32_e32 v254, 0xff, v48
	v_lshrrev_b16_e32 v51, 8, v48
	v_mov_b32_e32 v48, 0
	v_cvt_f32_ubyte0_e32 v160, v52
	v_mov_b32_e32 v52, 0
	s_waitcnt lgkmcnt(9)
	v_cvt_f32_ubyte0_e32 v162, v58
	v_mov_b32_e32 v58, 0
	v_dot4c_i32_i8_e32 v62, v198, v12
	v_dot4c_i32_i8_e32 v48, v168, v12
	;; [unrolled: 1-line block ×3, first 2 shown]
	s_waitcnt lgkmcnt(3)
	v_dot4c_i32_i8_e32 v58, v174, v12
	v_dot4c_i32_i8_e32 v62, v199, v13
	;; [unrolled: 1-line block ×8, first 2 shown]
	s_waitcnt lgkmcnt(2)
	v_dot4c_i32_i8_e32 v58, v188, v14
	v_dot4c_i32_i8_e32 v62, v207, v15
	;; [unrolled: 1-line block ×8, first 2 shown]
	v_lshlrev_b32_e32 v252, 2, v221
	s_waitcnt lgkmcnt(1)
	v_dot4c_i32_i8_e32 v58, v190, v8
	v_dot4c_i32_i8_e32 v62, v211, v9
	;; [unrolled: 1-line block ×4, first 2 shown]
	v_cvt_f32_ubyte0_e32 v200, v40
	v_add3_u32 v40, s20, v252, v247
	v_dot4c_i32_i8_e32 v58, v191, v9
	v_dot4c_i32_i8_e32 v62, v214, v10
	;; [unrolled: 1-line block ×4, first 2 shown]
	s_waitcnt lgkmcnt(0)
	v_dot4c_i32_i8_e32 v58, v192, v10
	ds_read_u16 v8, v40
	ds_read_u8 v9, v40 offset:8
	ds_read_u8 v10, v40 offset:9
	ds_read2_b32 v[158:159], v41 offset0:8 offset1:9
	ds_read2_b32 v[152:153], v41 offset0:10 offset1:11
	;; [unrolled: 1-line block ×4, first 2 shown]
	v_mov_b32_e32 v66, 0
	v_mov_b32_e32 v82, 0
	;; [unrolled: 1-line block ×4, first 2 shown]
	v_dot4c_i32_i8_e32 v66, v194, v4
	v_dot4c_i32_i8_e32 v82, v164, v4
	v_dot4c_i32_i8_e32 v86, v166, v4
	s_waitcnt lgkmcnt(3)
	v_dot4c_i32_i8_e32 v90, v158, v4
	v_dot4c_i32_i8_e32 v66, v195, v5
	v_dot4c_i32_i8_e32 v82, v165, v5
	v_dot4c_i32_i8_e32 v86, v167, v5
	v_dot4c_i32_i8_e32 v90, v159, v5
	v_dot4c_i32_i8_e32 v66, v222, v6
	v_dot4c_i32_i8_e32 v82, v202, v6
	v_dot4c_i32_i8_e32 v86, v212, v6
	s_waitcnt lgkmcnt(2)
	v_dot4c_i32_i8_e32 v90, v152, v6
	v_dot4c_i32_i8_e32 v66, v223, v7
	v_dot4c_i32_i8_e32 v82, v203, v7
	v_dot4c_i32_i8_e32 v86, v213, v7
	v_dot4c_i32_i8_e32 v90, v153, v7
	;; [unrolled: 9-line block ×3, first 2 shown]
	v_or_b32_e32 v0, s18, v83
	v_dot4c_i32_i8_e32 v66, v226, v2
	v_dot4c_i32_i8_e32 v82, v208, v2
	;; [unrolled: 1-line block ×3, first 2 shown]
	s_waitcnt lgkmcnt(0)
	v_dot4c_i32_i8_e32 v90, v156, v2
	v_lshlrev_b32_e32 v1, 2, v0
	v_dot4c_i32_i8_e32 v62, v215, v11
	v_dot4c_i32_i8_e32 v66, v227, v3
	;; [unrolled: 1-line block ×7, first 2 shown]
	v_and_b32_e32 v171, 0xff, v8
	v_cvt_f32_ubyte0_e32 v150, v9
	v_dot4c_i32_i8_e32 v90, v157, v3
	v_lshrrev_b16_e32 v163, 8, v8
	v_cvt_f32_ubyte0_e32 v148, v10
	v_lshrrev_b32_e32 v40, 1, v0
	ds_read_b128 v[12:15], v1 offset:33280
	ds_read_b128 v[8:11], v1 offset:33296
	;; [unrolled: 1-line block ×4, first 2 shown]
	ds_read_b64 v[232:233], v40 offset:43584
	v_mov_b32_e32 v40, 0
	s_waitcnt lgkmcnt(4)
	v_dot4c_i32_i8_e32 v40, v198, v12
	v_mov_b32_e32 v67, 0
	v_dot4c_i32_i8_e32 v40, v199, v13
	s_waitcnt lgkmcnt(2)
	v_dot4c_i32_i8_e32 v67, v194, v4
	v_dot4c_i32_i8_e32 v40, v206, v14
	;; [unrolled: 1-line block ×8, first 2 shown]
	s_waitcnt lgkmcnt(1)
	v_dot4c_i32_i8_e32 v67, v224, v0
	v_dot4c_i32_i8_e32 v40, v214, v10
	;; [unrolled: 1-line block ×6, first 2 shown]
	s_waitcnt lgkmcnt(0)
	v_cvt_f32_f16_sdwa v237, v232 dst_sel:DWORD dst_unused:UNUSED_PAD src0_sel:WORD_1
	v_cvt_f32_f16_sdwa v236, v228 dst_sel:DWORD dst_unused:UNUSED_PAD src0_sel:WORD_1
	v_mul_lo_u32 v41, v62, v254
	v_mul_lo_u32 v40, v40, v254
	v_cvt_f32_f16_e32 v235, v232
	v_cvt_f32_f16_e32 v234, v228
	;; [unrolled: 1-line block ×4, first 2 shown]
	v_cvt_f32_f16_sdwa v233, v233 dst_sel:DWORD dst_unused:UNUSED_PAD src0_sel:WORD_1
	v_cvt_f32_f16_sdwa v232, v229 dst_sel:DWORD dst_unused:UNUSED_PAD src0_sel:WORD_1
	v_cvt_f32_i32_e32 v229, v40
	v_cvt_f32_i32_e32 v228, v41
	v_mul_lo_u32 v62, v66, v51
	v_mul_lo_u32 v66, v67, v51
	v_cvt_f32_i32_e32 v67, v66
	v_cvt_f32_i32_e32 v66, v62
	v_pk_fma_f32 v[40:41], v[170:171], v[236:237], 0 op_sel_hi:[0,1,0]
	v_pk_fma_f32 v[228:229], v[234:235], v[228:229], 0 op_sel_hi:[1,1,0]
	;; [unrolled: 1-line block ×3, first 2 shown]
	v_pk_fma_f32 v[66:67], v[230:231], v[66:67], v[228:229]
	v_pk_mul_f32 v[40:41], v[40:41], v[134:135]
	v_mov_b32_e32 v62, 0
	v_pk_fma_f32 v[40:41], v[66:67], v[132:133], v[40:41] neg_lo:[0,0,1] neg_hi:[0,0,1]
	v_dot4c_i32_i8_e32 v62, v164, v4
	v_pk_add_f32 v[76:77], v[76:77], v[40:41]
	v_mov_b32_e32 v40, 0
	v_dot4c_i32_i8_e32 v40, v168, v12
	v_dot4c_i32_i8_e32 v40, v169, v13
	;; [unrolled: 1-line block ×15, first 2 shown]
	v_mul_lo_u32 v48, v48, v201
	v_mul_lo_u32 v40, v40, v201
	v_cvt_f32_i32_e32 v41, v40
	v_cvt_f32_i32_e32 v40, v48
	v_mul_lo_u32 v48, v82, v255
	v_mul_lo_u32 v62, v62, v255
	v_cvt_f32_i32_e32 v229, v62
	v_cvt_f32_i32_e32 v228, v48
	v_pk_fma_f32 v[66:67], v[160:161], v[236:237], 0 op_sel_hi:[0,1,0]
	v_pk_fma_f32 v[40:41], v[234:235], v[40:41], 0 op_sel_hi:[1,1,0]
	;; [unrolled: 1-line block ×3, first 2 shown]
	v_pk_fma_f32 v[40:41], v[230:231], v[228:229], v[40:41]
	v_pk_mul_f32 v[66:67], v[66:67], v[138:139]
	v_mov_b32_e32 v48, 0
	v_pk_fma_f32 v[40:41], v[40:41], v[136:137], v[66:67] neg_lo:[0,0,1] neg_hi:[0,0,1]
	v_dot4c_i32_i8_e32 v48, v166, v4
	v_pk_add_f32 v[70:71], v[70:71], v[40:41]
	v_mov_b32_e32 v40, 0
	v_dot4c_i32_i8_e32 v40, v172, v12
	v_dot4c_i32_i8_e32 v40, v173, v13
	v_dot4c_i32_i8_e32 v40, v182, v14
	v_dot4c_i32_i8_e32 v48, v167, v5
	v_dot4c_i32_i8_e32 v40, v183, v15
	v_dot4c_i32_i8_e32 v48, v212, v6
	v_dot4c_i32_i8_e32 v40, v184, v8
	v_dot4c_i32_i8_e32 v48, v213, v7
	v_dot4c_i32_i8_e32 v40, v185, v9
	v_dot4c_i32_i8_e32 v48, v216, v0
	v_dot4c_i32_i8_e32 v40, v186, v10
	v_dot4c_i32_i8_e32 v48, v217, v1
	v_and_b32_e32 v253, 0xff, v49
	v_dot4c_i32_i8_e32 v40, v187, v11
	v_dot4c_i32_i8_e32 v48, v218, v2
	v_lshrrev_b16_e32 v49, 8, v49
	v_dot4c_i32_i8_e32 v48, v219, v3
	v_mul_lo_u32 v52, v52, v253
	v_mul_lo_u32 v40, v40, v253
	v_cvt_f32_i32_e32 v41, v40
	v_cvt_f32_i32_e32 v40, v52
	v_mul_lo_u32 v52, v86, v49
	v_mul_lo_u32 v48, v48, v49
	v_cvt_f32_i32_e32 v229, v48
	v_cvt_f32_i32_e32 v228, v52
	v_pk_fma_f32 v[66:67], v[162:163], v[236:237], 0 op_sel_hi:[0,1,0]
	v_pk_fma_f32 v[40:41], v[234:235], v[40:41], 0 op_sel_hi:[1,1,0]
	;; [unrolled: 1-line block ×3, first 2 shown]
	v_pk_fma_f32 v[40:41], v[230:231], v[228:229], v[40:41]
	v_pk_mul_f32 v[66:67], v[66:67], v[142:143]
	v_mov_b32_e32 v48, 0
	v_pk_fma_f32 v[40:41], v[40:41], v[140:141], v[66:67] neg_lo:[0,0,1] neg_hi:[0,0,1]
	v_mov_b32_e32 v52, 0
	v_pk_add_f32 v[54:55], v[54:55], v[40:41]
	v_mov_b32_e32 v40, 0
	v_dot4c_i32_i8_e32 v40, v174, v12
	v_dot4c_i32_i8_e32 v40, v175, v13
	;; [unrolled: 1-line block ×5, first 2 shown]
	v_mov_b32_e32 v8, 0
	v_dot4c_i32_i8_e32 v8, v158, v4
	v_dot4c_i32_i8_e32 v8, v159, v5
	;; [unrolled: 1-line block ×11, first 2 shown]
	v_mul_lo_u32 v0, v58, v171
	v_mul_lo_u32 v1, v40, v171
	v_cvt_f32_i32_e32 v1, v1
	v_cvt_f32_i32_e32 v0, v0
	v_mul_lo_u32 v4, v90, v163
	v_mul_lo_u32 v5, v8, v163
	v_cvt_f32_i32_e32 v5, v5
	v_cvt_f32_i32_e32 v4, v4
	v_pk_fma_f32 v[2:3], v[150:151], v[236:237], 0 op_sel_hi:[0,1,0]
	v_pk_fma_f32 v[0:1], v[234:235], v[0:1], 0 op_sel_hi:[1,1,0]
	;; [unrolled: 1-line block ×3, first 2 shown]
	v_pk_fma_f32 v[0:1], v[230:231], v[4:5], v[0:1]
	v_pk_mul_f32 v[2:3], v[2:3], v[146:147]
	v_mov_b32_e32 v58, 0
	v_pk_fma_f32 v[0:1], v[0:1], v[144:145], v[2:3] neg_lo:[0,0,1] neg_hi:[0,0,1]
	v_mov_b32_e32 v62, 0
	v_pk_add_f32 v[46:47], v[46:47], v[0:1]
	v_or_b32_e32 v0, s18, v89
	v_lshlrev_b32_e32 v1, 2, v0
	v_lshrrev_b32_e32 v40, 1, v0
	ds_read_b128 v[12:15], v1 offset:33280
	ds_read_b128 v[8:11], v1 offset:33296
	;; [unrolled: 1-line block ×4, first 2 shown]
	ds_read_b64 v[228:229], v40 offset:43584
	v_mov_b32_e32 v82, 0
	v_mov_b32_e32 v86, 0
	;; [unrolled: 1-line block ×4, first 2 shown]
	s_waitcnt lgkmcnt(4)
	v_dot4c_i32_i8_e32 v48, v198, v12
	s_waitcnt lgkmcnt(2)
	v_dot4c_i32_i8_e32 v52, v194, v4
	v_dot4c_i32_i8_e32 v58, v168, v12
	;; [unrolled: 1-line block ×32, first 2 shown]
	s_waitcnt lgkmcnt(1)
	v_dot4c_i32_i8_e32 v52, v224, v0
	v_dot4c_i32_i8_e32 v58, v178, v8
	;; [unrolled: 1-line block ×15, first 2 shown]
	v_or_b32_e32 v0, s18, v95
	v_dot4c_i32_i8_e32 v48, v214, v10
	v_dot4c_i32_i8_e32 v52, v226, v2
	;; [unrolled: 1-line block ×8, first 2 shown]
	v_lshlrev_b32_e32 v1, 2, v0
	v_lshrrev_b32_e32 v40, 1, v0
	v_dot4c_i32_i8_e32 v48, v215, v11
	v_dot4c_i32_i8_e32 v52, v227, v3
	;; [unrolled: 1-line block ×8, first 2 shown]
	ds_read_b128 v[12:15], v1 offset:33280
	ds_read_b128 v[8:11], v1 offset:33296
	;; [unrolled: 1-line block ×4, first 2 shown]
	ds_read_b64 v[40:41], v40 offset:43584
	v_mov_b32_e32 v66, 0
	s_waitcnt lgkmcnt(4)
	v_dot4c_i32_i8_e32 v66, v198, v12
	v_mov_b32_e32 v98, 0
	v_dot4c_i32_i8_e32 v66, v199, v13
	s_waitcnt lgkmcnt(2)
	v_dot4c_i32_i8_e32 v98, v194, v4
	v_dot4c_i32_i8_e32 v66, v206, v14
	;; [unrolled: 1-line block ×8, first 2 shown]
	s_waitcnt lgkmcnt(1)
	v_dot4c_i32_i8_e32 v98, v224, v0
	v_dot4c_i32_i8_e32 v66, v214, v10
	;; [unrolled: 1-line block ×6, first 2 shown]
	s_waitcnt lgkmcnt(0)
	v_cvt_f32_f16_e32 v235, v40
	v_cvt_f32_f16_sdwa v237, v40 dst_sel:DWORD dst_unused:UNUSED_PAD src0_sel:WORD_1
	v_cvt_f32_f16_sdwa v236, v228 dst_sel:DWORD dst_unused:UNUSED_PAD src0_sel:WORD_1
	v_cvt_f32_f16_e32 v231, v41
	v_cvt_f32_f16_sdwa v233, v41 dst_sel:DWORD dst_unused:UNUSED_PAD src0_sel:WORD_1
	v_mul_lo_u32 v40, v48, v254
	v_mul_lo_u32 v41, v66, v254
	v_cvt_f32_f16_e32 v234, v228
	v_cvt_f32_f16_sdwa v232, v229 dst_sel:DWORD dst_unused:UNUSED_PAD src0_sel:WORD_1
	v_cvt_f32_i32_e32 v41, v41
	v_cvt_f32_i32_e32 v40, v40
	v_mul_lo_u32 v48, v52, v51
	v_mul_lo_u32 v52, v98, v51
	v_cvt_f32_f16_e32 v230, v229
	v_cvt_f32_i32_e32 v229, v52
	v_cvt_f32_i32_e32 v228, v48
	v_pk_fma_f32 v[66:67], v[170:171], v[236:237], 0 op_sel_hi:[0,1,0]
	v_pk_fma_f32 v[40:41], v[40:41], v[234:235], 0 op_sel_hi:[1,1,0]
	;; [unrolled: 1-line block ×3, first 2 shown]
	v_pk_fma_f32 v[40:41], v[228:229], v[230:231], v[40:41]
	v_pk_mul_f32 v[66:67], v[66:67], v[134:135]
	v_mov_b32_e32 v48, 0
	v_pk_fma_f32 v[40:41], v[40:41], v[132:133], v[66:67] neg_lo:[0,0,1] neg_hi:[0,0,1]
	v_dot4c_i32_i8_e32 v48, v164, v4
	v_pk_add_f32 v[38:39], v[38:39], v[40:41]
	v_mov_b32_e32 v40, 0
	v_dot4c_i32_i8_e32 v40, v168, v12
	v_dot4c_i32_i8_e32 v40, v169, v13
	;; [unrolled: 1-line block ×15, first 2 shown]
	v_mul_lo_u32 v52, v58, v201
	v_mul_lo_u32 v40, v40, v201
	v_cvt_f32_i32_e32 v41, v40
	v_cvt_f32_i32_e32 v40, v52
	v_mul_lo_u32 v52, v62, v255
	v_mul_lo_u32 v48, v48, v255
	v_cvt_f32_i32_e32 v229, v48
	v_cvt_f32_i32_e32 v228, v52
	v_pk_fma_f32 v[66:67], v[160:161], v[236:237], 0 op_sel_hi:[0,1,0]
	v_pk_fma_f32 v[40:41], v[40:41], v[234:235], 0 op_sel_hi:[1,1,0]
	;; [unrolled: 1-line block ×3, first 2 shown]
	v_pk_fma_f32 v[40:41], v[228:229], v[230:231], v[40:41]
	v_pk_mul_f32 v[66:67], v[66:67], v[138:139]
	v_mov_b32_e32 v48, 0
	v_pk_fma_f32 v[40:41], v[40:41], v[136:137], v[66:67] neg_lo:[0,0,1] neg_hi:[0,0,1]
	v_dot4c_i32_i8_e32 v48, v166, v4
	v_pk_add_f32 v[36:37], v[36:37], v[40:41]
	v_mov_b32_e32 v40, 0
	v_dot4c_i32_i8_e32 v40, v172, v12
	v_dot4c_i32_i8_e32 v40, v173, v13
	;; [unrolled: 1-line block ×15, first 2 shown]
	v_mul_lo_u32 v52, v82, v253
	v_mul_lo_u32 v40, v40, v253
	v_cvt_f32_i32_e32 v41, v40
	v_cvt_f32_i32_e32 v40, v52
	v_mul_lo_u32 v52, v86, v49
	v_mul_lo_u32 v48, v48, v49
	v_cvt_f32_i32_e32 v229, v48
	v_cvt_f32_i32_e32 v228, v52
	v_pk_fma_f32 v[66:67], v[162:163], v[236:237], 0 op_sel_hi:[0,1,0]
	v_pk_fma_f32 v[40:41], v[40:41], v[234:235], 0 op_sel_hi:[1,1,0]
	v_pk_fma_f32 v[66:67], v[200:201], v[232:233], v[66:67] op_sel_hi:[0,1,1]
	v_pk_fma_f32 v[40:41], v[228:229], v[230:231], v[40:41]
	v_pk_mul_f32 v[66:67], v[66:67], v[142:143]
	v_mov_b32_e32 v48, 0
	v_pk_fma_f32 v[40:41], v[40:41], v[140:141], v[66:67] neg_lo:[0,0,1] neg_hi:[0,0,1]
	v_mov_b32_e32 v52, 0
	v_pk_add_f32 v[34:35], v[34:35], v[40:41]
	v_mov_b32_e32 v40, 0
	v_dot4c_i32_i8_e32 v40, v174, v12
	v_dot4c_i32_i8_e32 v40, v175, v13
	;; [unrolled: 1-line block ×5, first 2 shown]
	v_mov_b32_e32 v8, 0
	v_dot4c_i32_i8_e32 v8, v158, v4
	v_dot4c_i32_i8_e32 v8, v159, v5
	;; [unrolled: 1-line block ×11, first 2 shown]
	v_mul_lo_u32 v0, v90, v171
	v_mul_lo_u32 v1, v40, v171
	v_cvt_f32_i32_e32 v1, v1
	v_cvt_f32_i32_e32 v0, v0
	v_mul_lo_u32 v4, v94, v163
	v_mul_lo_u32 v5, v8, v163
	v_cvt_f32_i32_e32 v5, v5
	v_cvt_f32_i32_e32 v4, v4
	v_pk_fma_f32 v[2:3], v[150:151], v[236:237], 0 op_sel_hi:[0,1,0]
	v_pk_fma_f32 v[0:1], v[0:1], v[234:235], 0 op_sel_hi:[1,1,0]
	;; [unrolled: 1-line block ×3, first 2 shown]
	v_pk_fma_f32 v[0:1], v[4:5], v[230:231], v[0:1]
	v_pk_mul_f32 v[2:3], v[2:3], v[146:147]
	v_mov_b32_e32 v58, 0
	v_pk_fma_f32 v[0:1], v[0:1], v[144:145], v[2:3] neg_lo:[0,0,1] neg_hi:[0,0,1]
	v_mov_b32_e32 v62, 0
	v_pk_add_f32 v[32:33], v[32:33], v[0:1]
	v_or_b32_e32 v0, s18, v101
	v_lshlrev_b32_e32 v1, 2, v0
	v_lshrrev_b32_e32 v40, 1, v0
	ds_read_b128 v[12:15], v1 offset:33280
	ds_read_b128 v[8:11], v1 offset:33296
	;; [unrolled: 1-line block ×4, first 2 shown]
	ds_read_b64 v[228:229], v40 offset:43584
	v_mov_b32_e32 v82, 0
	v_mov_b32_e32 v86, 0
	;; [unrolled: 1-line block ×4, first 2 shown]
	s_waitcnt lgkmcnt(4)
	v_dot4c_i32_i8_e32 v48, v198, v12
	s_waitcnt lgkmcnt(2)
	v_dot4c_i32_i8_e32 v52, v194, v4
	v_dot4c_i32_i8_e32 v58, v168, v12
	;; [unrolled: 1-line block ×32, first 2 shown]
	s_waitcnt lgkmcnt(1)
	v_dot4c_i32_i8_e32 v52, v224, v0
	v_dot4c_i32_i8_e32 v58, v178, v8
	;; [unrolled: 1-line block ×15, first 2 shown]
	v_or_b32_e32 v0, s18, v107
	v_dot4c_i32_i8_e32 v48, v214, v10
	v_dot4c_i32_i8_e32 v52, v226, v2
	;; [unrolled: 1-line block ×8, first 2 shown]
	v_lshlrev_b32_e32 v1, 2, v0
	v_lshrrev_b32_e32 v40, 1, v0
	v_dot4c_i32_i8_e32 v48, v215, v11
	v_dot4c_i32_i8_e32 v52, v227, v3
	v_dot4c_i32_i8_e32 v58, v181, v11
	v_dot4c_i32_i8_e32 v62, v209, v3
	v_dot4c_i32_i8_e32 v82, v187, v11
	v_dot4c_i32_i8_e32 v86, v219, v3
	v_dot4c_i32_i8_e32 v90, v193, v11
	v_dot4c_i32_i8_e32 v94, v157, v3
	ds_read_b128 v[12:15], v1 offset:33280
	ds_read_b128 v[8:11], v1 offset:33296
	;; [unrolled: 1-line block ×4, first 2 shown]
	ds_read_b64 v[40:41], v40 offset:43584
	v_mov_b32_e32 v66, 0
	s_waitcnt lgkmcnt(4)
	v_dot4c_i32_i8_e32 v66, v198, v12
	v_mov_b32_e32 v98, 0
	v_dot4c_i32_i8_e32 v66, v199, v13
	s_waitcnt lgkmcnt(2)
	v_dot4c_i32_i8_e32 v98, v194, v4
	v_dot4c_i32_i8_e32 v66, v206, v14
	;; [unrolled: 1-line block ×8, first 2 shown]
	s_waitcnt lgkmcnt(1)
	v_dot4c_i32_i8_e32 v98, v224, v0
	v_dot4c_i32_i8_e32 v66, v214, v10
	;; [unrolled: 1-line block ×6, first 2 shown]
	s_waitcnt lgkmcnt(0)
	v_cvt_f32_f16_e32 v235, v40
	v_cvt_f32_f16_sdwa v237, v40 dst_sel:DWORD dst_unused:UNUSED_PAD src0_sel:WORD_1
	v_cvt_f32_f16_sdwa v236, v228 dst_sel:DWORD dst_unused:UNUSED_PAD src0_sel:WORD_1
	v_cvt_f32_f16_e32 v231, v41
	v_cvt_f32_f16_sdwa v233, v41 dst_sel:DWORD dst_unused:UNUSED_PAD src0_sel:WORD_1
	v_mul_lo_u32 v40, v48, v254
	v_mul_lo_u32 v41, v66, v254
	v_cvt_f32_f16_e32 v234, v228
	v_cvt_f32_f16_sdwa v232, v229 dst_sel:DWORD dst_unused:UNUSED_PAD src0_sel:WORD_1
	v_cvt_f32_i32_e32 v41, v41
	v_cvt_f32_i32_e32 v40, v40
	v_mul_lo_u32 v48, v52, v51
	v_mul_lo_u32 v52, v98, v51
	v_cvt_f32_f16_e32 v230, v229
	v_cvt_f32_i32_e32 v229, v52
	v_cvt_f32_i32_e32 v228, v48
	v_pk_fma_f32 v[66:67], v[170:171], v[236:237], 0 op_sel_hi:[0,1,0]
	v_pk_fma_f32 v[40:41], v[40:41], v[234:235], 0 op_sel_hi:[1,1,0]
	;; [unrolled: 1-line block ×3, first 2 shown]
	v_pk_fma_f32 v[40:41], v[228:229], v[230:231], v[40:41]
	v_pk_mul_f32 v[66:67], v[66:67], v[134:135]
	v_mov_b32_e32 v48, 0
	v_pk_fma_f32 v[40:41], v[40:41], v[132:133], v[66:67] neg_lo:[0,0,1] neg_hi:[0,0,1]
	v_dot4c_i32_i8_e32 v48, v164, v4
	v_pk_add_f32 v[30:31], v[30:31], v[40:41]
	v_mov_b32_e32 v40, 0
	v_dot4c_i32_i8_e32 v40, v168, v12
	v_dot4c_i32_i8_e32 v40, v169, v13
	;; [unrolled: 1-line block ×15, first 2 shown]
	v_mul_lo_u32 v52, v58, v201
	v_mul_lo_u32 v40, v40, v201
	v_cvt_f32_i32_e32 v41, v40
	v_cvt_f32_i32_e32 v40, v52
	v_mul_lo_u32 v52, v62, v255
	v_mul_lo_u32 v48, v48, v255
	v_cvt_f32_i32_e32 v229, v48
	v_cvt_f32_i32_e32 v228, v52
	v_pk_fma_f32 v[66:67], v[160:161], v[236:237], 0 op_sel_hi:[0,1,0]
	v_pk_fma_f32 v[40:41], v[40:41], v[234:235], 0 op_sel_hi:[1,1,0]
	;; [unrolled: 1-line block ×3, first 2 shown]
	v_pk_fma_f32 v[40:41], v[228:229], v[230:231], v[40:41]
	v_pk_mul_f32 v[66:67], v[66:67], v[138:139]
	v_mov_b32_e32 v48, 0
	v_pk_fma_f32 v[40:41], v[40:41], v[136:137], v[66:67] neg_lo:[0,0,1] neg_hi:[0,0,1]
	v_dot4c_i32_i8_e32 v48, v166, v4
	v_pk_add_f32 v[28:29], v[28:29], v[40:41]
	v_mov_b32_e32 v40, 0
	v_dot4c_i32_i8_e32 v40, v172, v12
	v_dot4c_i32_i8_e32 v40, v173, v13
	;; [unrolled: 1-line block ×15, first 2 shown]
	v_mul_lo_u32 v52, v82, v253
	v_mul_lo_u32 v40, v40, v253
	v_cvt_f32_i32_e32 v41, v40
	v_cvt_f32_i32_e32 v40, v52
	v_mul_lo_u32 v52, v86, v49
	v_mul_lo_u32 v48, v48, v49
	v_cvt_f32_i32_e32 v229, v48
	v_cvt_f32_i32_e32 v228, v52
	v_pk_fma_f32 v[66:67], v[162:163], v[236:237], 0 op_sel_hi:[0,1,0]
	v_pk_fma_f32 v[40:41], v[40:41], v[234:235], 0 op_sel_hi:[1,1,0]
	;; [unrolled: 1-line block ×3, first 2 shown]
	v_pk_fma_f32 v[40:41], v[228:229], v[230:231], v[40:41]
	v_pk_mul_f32 v[66:67], v[66:67], v[142:143]
	v_mov_b32_e32 v48, 0
	v_pk_fma_f32 v[40:41], v[40:41], v[140:141], v[66:67] neg_lo:[0,0,1] neg_hi:[0,0,1]
	v_mov_b32_e32 v52, 0
	v_pk_add_f32 v[26:27], v[26:27], v[40:41]
	v_mov_b32_e32 v40, 0
	v_dot4c_i32_i8_e32 v40, v174, v12
	v_dot4c_i32_i8_e32 v40, v175, v13
	;; [unrolled: 1-line block ×5, first 2 shown]
	v_mov_b32_e32 v8, 0
	v_dot4c_i32_i8_e32 v8, v158, v4
	v_dot4c_i32_i8_e32 v8, v159, v5
	;; [unrolled: 1-line block ×11, first 2 shown]
	v_mul_lo_u32 v0, v90, v171
	v_mul_lo_u32 v1, v40, v171
	v_cvt_f32_i32_e32 v1, v1
	v_cvt_f32_i32_e32 v0, v0
	v_mul_lo_u32 v4, v94, v163
	v_mul_lo_u32 v5, v8, v163
	v_cvt_f32_i32_e32 v5, v5
	v_cvt_f32_i32_e32 v4, v4
	v_pk_fma_f32 v[2:3], v[150:151], v[236:237], 0 op_sel_hi:[0,1,0]
	v_pk_fma_f32 v[0:1], v[0:1], v[234:235], 0 op_sel_hi:[1,1,0]
	;; [unrolled: 1-line block ×3, first 2 shown]
	v_pk_fma_f32 v[0:1], v[4:5], v[230:231], v[0:1]
	v_pk_mul_f32 v[2:3], v[2:3], v[146:147]
	v_mov_b32_e32 v58, 0
	v_pk_fma_f32 v[0:1], v[0:1], v[144:145], v[2:3] neg_lo:[0,0,1] neg_hi:[0,0,1]
	v_mov_b32_e32 v62, 0
	v_pk_add_f32 v[24:25], v[24:25], v[0:1]
	v_or_b32_e32 v0, s18, v113
	v_lshlrev_b32_e32 v1, 2, v0
	v_lshrrev_b32_e32 v40, 1, v0
	ds_read_b128 v[12:15], v1 offset:33280
	ds_read_b128 v[8:11], v1 offset:33296
	;; [unrolled: 1-line block ×4, first 2 shown]
	ds_read_b64 v[228:229], v40 offset:43584
	v_mov_b32_e32 v82, 0
	v_mov_b32_e32 v86, 0
	;; [unrolled: 1-line block ×4, first 2 shown]
	s_waitcnt lgkmcnt(4)
	v_dot4c_i32_i8_e32 v48, v198, v12
	s_waitcnt lgkmcnt(2)
	v_dot4c_i32_i8_e32 v52, v194, v4
	v_dot4c_i32_i8_e32 v58, v168, v12
	;; [unrolled: 1-line block ×32, first 2 shown]
	s_waitcnt lgkmcnt(1)
	v_dot4c_i32_i8_e32 v52, v224, v0
	v_dot4c_i32_i8_e32 v58, v178, v8
	;; [unrolled: 1-line block ×15, first 2 shown]
	v_or_b32_e32 v0, s18, v119
	v_dot4c_i32_i8_e32 v48, v214, v10
	v_dot4c_i32_i8_e32 v52, v226, v2
	;; [unrolled: 1-line block ×8, first 2 shown]
	v_lshlrev_b32_e32 v1, 2, v0
	v_lshrrev_b32_e32 v40, 1, v0
	v_dot4c_i32_i8_e32 v48, v215, v11
	v_dot4c_i32_i8_e32 v52, v227, v3
	;; [unrolled: 1-line block ×8, first 2 shown]
	ds_read_b128 v[12:15], v1 offset:33280
	ds_read_b128 v[8:11], v1 offset:33296
	;; [unrolled: 1-line block ×4, first 2 shown]
	ds_read_b64 v[40:41], v40 offset:43584
	v_mov_b32_e32 v66, 0
	s_waitcnt lgkmcnt(4)
	v_dot4c_i32_i8_e32 v66, v198, v12
	v_mov_b32_e32 v90, 0
	v_dot4c_i32_i8_e32 v66, v199, v13
	s_waitcnt lgkmcnt(2)
	v_dot4c_i32_i8_e32 v90, v194, v4
	v_dot4c_i32_i8_e32 v66, v206, v14
	;; [unrolled: 1-line block ×8, first 2 shown]
	s_waitcnt lgkmcnt(1)
	v_dot4c_i32_i8_e32 v90, v224, v0
	v_dot4c_i32_i8_e32 v66, v214, v10
	;; [unrolled: 1-line block ×6, first 2 shown]
	s_waitcnt lgkmcnt(0)
	v_cvt_f32_f16_e32 v211, v40
	v_cvt_f32_f16_sdwa v207, v40 dst_sel:DWORD dst_unused:UNUSED_PAD src0_sel:WORD_1
	v_cvt_f32_f16_sdwa v206, v228 dst_sel:DWORD dst_unused:UNUSED_PAD src0_sel:WORD_1
	v_cvt_f32_f16_e32 v199, v41
	v_cvt_f32_f16_sdwa v195, v41 dst_sel:DWORD dst_unused:UNUSED_PAD src0_sel:WORD_1
	v_mul_lo_u32 v40, v48, v254
	v_mul_lo_u32 v41, v66, v254
	v_cvt_f32_f16_e32 v210, v228
	v_cvt_f32_f16_sdwa v194, v229 dst_sel:DWORD dst_unused:UNUSED_PAD src0_sel:WORD_1
	v_cvt_f32_i32_e32 v41, v41
	v_cvt_f32_i32_e32 v40, v40
	v_mul_lo_u32 v48, v52, v51
	v_mul_lo_u32 v51, v90, v51
	v_cvt_f32_f16_e32 v198, v229
	v_cvt_f32_i32_e32 v215, v51
	v_cvt_f32_i32_e32 v214, v48
	v_pk_fma_f32 v[66:67], v[170:171], v[206:207], 0 op_sel_hi:[0,1,0]
	v_pk_fma_f32 v[40:41], v[40:41], v[210:211], 0 op_sel_hi:[1,1,0]
	;; [unrolled: 1-line block ×3, first 2 shown]
	v_pk_fma_f32 v[40:41], v[214:215], v[198:199], v[40:41]
	v_pk_mul_f32 v[66:67], v[66:67], v[134:135]
	v_mov_b32_e32 v48, 0
	v_pk_fma_f32 v[40:41], v[40:41], v[132:133], v[66:67] neg_lo:[0,0,1] neg_hi:[0,0,1]
	v_dot4c_i32_i8_e32 v48, v164, v4
	v_pk_add_f32 v[22:23], v[22:23], v[40:41]
	v_mov_b32_e32 v40, 0
	v_dot4c_i32_i8_e32 v40, v168, v12
	v_dot4c_i32_i8_e32 v40, v169, v13
	;; [unrolled: 1-line block ×15, first 2 shown]
	v_mul_lo_u32 v51, v58, v201
	v_mul_lo_u32 v40, v40, v201
	v_cvt_f32_i32_e32 v41, v40
	v_cvt_f32_i32_e32 v40, v51
	v_mul_lo_u32 v51, v62, v255
	v_mul_lo_u32 v48, v48, v255
	v_cvt_f32_i32_e32 v165, v48
	v_cvt_f32_i32_e32 v164, v51
	v_pk_fma_f32 v[66:67], v[160:161], v[206:207], 0 op_sel_hi:[0,1,0]
	v_pk_fma_f32 v[40:41], v[40:41], v[210:211], 0 op_sel_hi:[1,1,0]
	;; [unrolled: 1-line block ×3, first 2 shown]
	v_pk_fma_f32 v[40:41], v[164:165], v[198:199], v[40:41]
	v_pk_mul_f32 v[66:67], v[66:67], v[138:139]
	v_mov_b32_e32 v48, 0
	v_pk_fma_f32 v[40:41], v[40:41], v[136:137], v[66:67] neg_lo:[0,0,1] neg_hi:[0,0,1]
	v_dot4c_i32_i8_e32 v48, v166, v4
	v_pk_add_f32 v[20:21], v[20:21], v[40:41]
	v_mov_b32_e32 v40, 0
	v_dot4c_i32_i8_e32 v40, v172, v12
	v_dot4c_i32_i8_e32 v40, v173, v13
	;; [unrolled: 1-line block ×15, first 2 shown]
	v_mul_lo_u32 v51, v82, v253
	v_mul_lo_u32 v40, v40, v253
	v_cvt_f32_i32_e32 v41, v40
	v_cvt_f32_i32_e32 v40, v51
	v_mul_lo_u32 v51, v86, v49
	v_mul_lo_u32 v48, v48, v49
	v_cvt_f32_i32_e32 v49, v48
	v_cvt_f32_i32_e32 v48, v51
	v_pk_fma_f32 v[40:41], v[40:41], v[210:211], 0 op_sel_hi:[1,1,0]
	v_pk_fma_f32 v[66:67], v[162:163], v[206:207], 0 op_sel_hi:[0,1,0]
	s_mov_b32 s19, 8
	v_pk_fma_f32 v[40:41], v[48:49], v[198:199], v[40:41]
	v_pk_fma_f32 v[48:49], v[200:201], v[194:195], v[66:67] op_sel_hi:[0,1,1]
	v_pk_mul_f32 v[48:49], v[48:49], v[142:143]
	s_and_b64 vcc, exec, s[4:5]
	v_pk_fma_f32 v[40:41], v[40:41], v[140:141], v[48:49] neg_lo:[0,0,1] neg_hi:[0,0,1]
	v_mov_b32_e32 v49, 0
	v_dot4c_i32_i8_e32 v49, v174, v12
	v_dot4c_i32_i8_e32 v49, v175, v13
	;; [unrolled: 1-line block ×5, first 2 shown]
	v_mov_b32_e32 v8, 0
	v_dot4c_i32_i8_e32 v8, v158, v4
	v_dot4c_i32_i8_e32 v8, v159, v5
	;; [unrolled: 1-line block ×11, first 2 shown]
	v_mul_lo_u32 v0, v231, v171
	v_mul_lo_u32 v1, v49, v171
	v_cvt_f32_i32_e32 v1, v1
	v_cvt_f32_i32_e32 v0, v0
	v_mul_lo_u32 v4, v230, v163
	v_mul_lo_u32 v5, v8, v163
	v_cvt_f32_i32_e32 v5, v5
	v_cvt_f32_i32_e32 v4, v4
	v_pk_fma_f32 v[2:3], v[150:151], v[206:207], 0 op_sel_hi:[0,1,0]
	v_pk_fma_f32 v[0:1], v[0:1], v[210:211], 0 op_sel_hi:[1,1,0]
	;; [unrolled: 1-line block ×3, first 2 shown]
	v_pk_fma_f32 v[0:1], v[4:5], v[198:199], v[0:1]
	v_pk_mul_f32 v[2:3], v[2:3], v[146:147]
	v_pk_add_f32 v[18:19], v[18:19], v[40:41]
	v_pk_fma_f32 v[0:1], v[0:1], v[144:145], v[2:3] neg_lo:[0,0,1] neg_hi:[0,0,1]
	s_mov_b64 s[4:5], 0
	v_pk_add_f32 v[16:17], v[16:17], v[0:1]
	s_cbranch_vccnz .LBB134_6
; %bb.7:                                ;   in Loop: Header=BB134_5 Depth=1
	v_add_u32_e32 v14, s17, v127
	v_add_u32_e32 v0, v14, v75
	v_add_u32_e32 v2, v14, v81
	v_add_u32_e32 v4, v14, v87
	v_add_u32_e32 v6, v14, v93
	v_add_u32_e32 v8, v14, v99
	v_mad_i64_i32 v[0:1], s[4:5], v0, 36, v[124:125]
	v_mad_i64_i32 v[2:3], s[4:5], v2, 36, v[124:125]
	;; [unrolled: 1-line block ×5, first 2 shown]
	v_add_u32_e32 v10, v14, v105
	v_add_u32_e32 v12, v14, v111
	v_add_u32_e32 v14, v14, v117
	s_barrier
	v_mad_i64_i32 v[10:11], s[4:5], v10, 36, v[124:125]
	v_mad_i64_i32 v[12:13], s[4:5], v12, 36, v[124:125]
	;; [unrolled: 1-line block ×3, first 2 shown]
	global_load_dword v40, v[0:1], off offset:4
	s_nop 0
	global_load_dword v2, v[2:3], off offset:4
	s_nop 0
	;; [unrolled: 2-line block ×3, first 2 shown]
	global_load_dword v4, v[6:7], off offset:4
	global_load_dword v5, v[8:9], off offset:4
	s_nop 0
	global_load_dword v6, v[10:11], off offset:4
	global_load_dword v7, v[12:13], off offset:4
	;; [unrolled: 1-line block ×3, first 2 shown]
	v_add_u32_e32 v0, 4, v161
	v_mad_u64_u32 v[0:1], s[4:5], v0, 36, s[2:3]
	global_load_dword v0, v[0:1], off
	s_mov_b32 s4, 16
	s_waitcnt vmcnt(8)
	ds_write_b32 v102, v40
	s_waitcnt vmcnt(7)
	ds_write_b32 v85, v2
	;; [unrolled: 2-line block ×9, first 2 shown]
	s_waitcnt lgkmcnt(0)
	s_barrier
	ds_read_b32 v0, v123
	ds_read_b32 v1, v149 offset:128
	ds_read_b32 v2, v197 offset:256
	;; [unrolled: 1-line block ×3, first 2 shown]
	s_waitcnt lgkmcnt(2)
	v_cvt_f32_f16_e32 v136, v1
	v_cvt_f32_f16_e32 v132, v0
	v_cvt_f32_f16_sdwa v134, v0 dst_sel:DWORD dst_unused:UNUSED_PAD src0_sel:WORD_1
	v_cvt_f32_f16_sdwa v138, v1 dst_sel:DWORD dst_unused:UNUSED_PAD src0_sel:WORD_1
	s_waitcnt lgkmcnt(1)
	v_cvt_f32_f16_e32 v140, v2
	v_cvt_f32_f16_sdwa v142, v2 dst_sel:DWORD dst_unused:UNUSED_PAD src0_sel:WORD_1
	s_waitcnt lgkmcnt(0)
	v_cvt_f32_f16_e32 v144, v3
	v_cvt_f32_f16_sdwa v146, v3 dst_sel:DWORD dst_unused:UNUSED_PAD src0_sel:WORD_1
	v_mov_b32_e32 v133, v132
	v_mov_b32_e32 v135, v134
	;; [unrolled: 1-line block ×8, first 2 shown]
.LBB134_8:                              ;   Parent Loop BB134_5 Depth=1
                                        ; =>  This Inner Loop Header: Depth=2
	s_lshr_b32 s5, s4, 2
	s_and_b32 s17, s5, 0x3ffffffe
	s_lshl_b32 s5, s4, 1
	s_and_b32 s5, s5, 16
	v_or_b32_e32 v0, s5, v57
	v_lshlrev_b32_e32 v1, 2, v0
	v_lshrrev_b32_e32 v40, 1, v0
	s_add_i32 s17, s17, 0xa200
	s_lshl_b32 s18, s4, 3
	ds_read_b128 v[12:15], v1 offset:33280
	ds_read_b128 v[8:11], v1 offset:33296
	;; [unrolled: 1-line block ×4, first 2 shown]
	ds_read_b64 v[228:229], v40 offset:43584
	v_add3_u32 v40, s17, v248, v249
	v_add_u32_e32 v41, s18, v239
	ds_read2_b32 v[212:213], v41 offset1:1
	ds_read2_b32 v[214:215], v41 offset0:2 offset1:3
	ds_read2_b32 v[216:217], v41 offset0:4 offset1:5
	ds_read2_b32 v[218:219], v41 offset0:6 offset1:7
	ds_read_u16 v48, v40
	ds_read_u16 v40, v40 offset:8
	ds_read2_b32 v[194:195], v41 offset0:8 offset1:9
	ds_read2_b32 v[222:223], v41 offset0:10 offset1:11
	;; [unrolled: 1-line block ×4, first 2 shown]
	s_waitcnt lgkmcnt(4)
	v_cvt_f32_ubyte0_e32 v174, v40
	v_cvt_f32_ubyte1_e32 v220, v40
	v_add3_u32 v40, s17, v250, v245
	v_add_u32_e32 v41, s18, v240
	v_and_b32_e32 v253, 0xff, v48
	v_lshrrev_b16_e32 v51, 8, v48
	ds_read2_b32 v[164:165], v41 offset1:1
	ds_read2_b32 v[182:183], v41 offset0:2 offset1:3
	ds_read2_b32 v[188:189], v41 offset0:4 offset1:5
	;; [unrolled: 1-line block ×3, first 2 shown]
	ds_read_u16 v48, v40
	ds_read_u16 v40, v40 offset:8
	ds_read2_b32 v[172:173], v41 offset0:8 offset1:9
	ds_read2_b32 v[202:203], v41 offset0:10 offset1:11
	;; [unrolled: 1-line block ×4, first 2 shown]
	s_waitcnt lgkmcnt(4)
	v_cvt_f32_ubyte0_e32 v168, v40
	v_cvt_f32_ubyte1_e32 v198, v40
	v_add3_u32 v40, s17, v251, v246
	v_add_u32_e32 v41, s18, v241
	v_and_b32_e32 v199, 0xff, v48
	v_lshrrev_b16_e32 v254, 8, v48
	ds_read2_b32 v[162:163], v41 offset1:1
	ds_read2_b32 v[178:179], v41 offset0:2 offset1:3
	ds_read2_b32 v[184:185], v41 offset0:4 offset1:5
	;; [unrolled: 1-line block ×3, first 2 shown]
	ds_read_u16 v48, v40
	ds_read_u16 v40, v40 offset:8
	ds_read2_b32 v[170:171], v41 offset0:8 offset1:9
	ds_read2_b32 v[200:201], v41 offset0:10 offset1:11
	;; [unrolled: 1-line block ×4, first 2 shown]
	v_add_u32_e32 v41, s18, v242
	ds_read2_b32 v[160:161], v41 offset1:1
	ds_read2_b32 v[176:177], v41 offset0:2 offset1:3
	ds_read2_b32 v[180:181], v41 offset0:4 offset1:5
	;; [unrolled: 1-line block ×3, first 2 shown]
	v_mov_b32_e32 v62, 0
	v_mov_b32_e32 v58, 0
	v_mov_b32_e32 v52, 0
	s_waitcnt lgkmcnt(9)
	v_and_b32_e32 v175, 0xff, v48
	v_lshrrev_b16_e32 v49, 8, v48
	v_mov_b32_e32 v48, 0
	v_dot4c_i32_i8_e32 v62, v212, v12
	v_dot4c_i32_i8_e32 v58, v164, v12
	v_dot4c_i32_i8_e32 v52, v162, v12
	s_waitcnt lgkmcnt(3)
	v_dot4c_i32_i8_e32 v48, v160, v12
	v_dot4c_i32_i8_e32 v62, v213, v13
	;; [unrolled: 1-line block ×8, first 2 shown]
	s_waitcnt lgkmcnt(2)
	v_dot4c_i32_i8_e32 v48, v176, v14
	v_dot4c_i32_i8_e32 v62, v215, v15
	;; [unrolled: 1-line block ×8, first 2 shown]
	v_cvt_f32_ubyte0_e32 v166, v40
	v_cvt_f32_ubyte1_e32 v196, v40
	v_add3_u32 v40, s17, v252, v247
	s_waitcnt lgkmcnt(1)
	v_dot4c_i32_i8_e32 v48, v180, v8
	v_dot4c_i32_i8_e32 v62, v217, v9
	;; [unrolled: 1-line block ×5, first 2 shown]
	ds_read_u16 v8, v40
	ds_read_u16 v9, v40 offset:8
	ds_read2_b32 v[158:159], v41 offset0:8 offset1:9
	ds_read2_b32 v[152:153], v41 offset0:10 offset1:11
	;; [unrolled: 1-line block ×4, first 2 shown]
	v_mov_b32_e32 v82, 0
	v_mov_b32_e32 v86, 0
	;; [unrolled: 1-line block ×4, first 2 shown]
	v_dot4c_i32_i8_e32 v82, v194, v4
	v_dot4c_i32_i8_e32 v86, v172, v4
	v_dot4c_i32_i8_e32 v90, v170, v4
	s_waitcnt lgkmcnt(3)
	v_dot4c_i32_i8_e32 v94, v158, v4
	v_dot4c_i32_i8_e32 v82, v195, v5
	v_dot4c_i32_i8_e32 v86, v173, v5
	v_dot4c_i32_i8_e32 v90, v171, v5
	v_dot4c_i32_i8_e32 v94, v159, v5
	v_dot4c_i32_i8_e32 v82, v222, v6
	v_dot4c_i32_i8_e32 v86, v202, v6
	v_dot4c_i32_i8_e32 v90, v200, v6
	s_waitcnt lgkmcnt(2)
	v_dot4c_i32_i8_e32 v94, v152, v6
	v_dot4c_i32_i8_e32 v82, v223, v7
	v_dot4c_i32_i8_e32 v86, v203, v7
	v_dot4c_i32_i8_e32 v90, v201, v7
	v_dot4c_i32_i8_e32 v94, v153, v7
	;; [unrolled: 9-line block ×3, first 2 shown]
	v_or_b32_e32 v0, s5, v83
	v_dot4c_i32_i8_e32 v62, v218, v10
	v_dot4c_i32_i8_e32 v82, v226, v2
	;; [unrolled: 1-line block ×7, first 2 shown]
	s_waitcnt lgkmcnt(0)
	v_dot4c_i32_i8_e32 v94, v156, v2
	v_lshlrev_b32_e32 v1, 2, v0
	v_lshrrev_b32_e32 v40, 1, v0
	v_dot4c_i32_i8_e32 v62, v219, v11
	v_dot4c_i32_i8_e32 v82, v227, v3
	;; [unrolled: 1-line block ×7, first 2 shown]
	v_and_b32_e32 v169, 0xff, v8
	v_cvt_f32_ubyte0_e32 v150, v9
	v_dot4c_i32_i8_e32 v94, v157, v3
	v_lshrrev_b16_e32 v167, 8, v8
	v_cvt_f32_ubyte1_e32 v148, v9
	ds_read_b128 v[12:15], v1 offset:33280
	ds_read_b128 v[8:11], v1 offset:33296
	;; [unrolled: 1-line block ×4, first 2 shown]
	ds_read_b64 v[40:41], v40 offset:43584
	v_mov_b32_e32 v66, 0
	s_waitcnt lgkmcnt(4)
	v_dot4c_i32_i8_e32 v66, v212, v12
	v_mov_b32_e32 v98, 0
	v_dot4c_i32_i8_e32 v66, v213, v13
	s_waitcnt lgkmcnt(2)
	v_dot4c_i32_i8_e32 v98, v194, v4
	v_dot4c_i32_i8_e32 v66, v214, v14
	;; [unrolled: 1-line block ×8, first 2 shown]
	s_waitcnt lgkmcnt(1)
	v_dot4c_i32_i8_e32 v98, v224, v0
	v_dot4c_i32_i8_e32 v66, v218, v10
	;; [unrolled: 1-line block ×6, first 2 shown]
	s_waitcnt lgkmcnt(0)
	v_cvt_f32_f16_e32 v235, v40
	v_cvt_f32_f16_sdwa v237, v40 dst_sel:DWORD dst_unused:UNUSED_PAD src0_sel:WORD_1
	v_cvt_f32_f16_sdwa v236, v228 dst_sel:DWORD dst_unused:UNUSED_PAD src0_sel:WORD_1
	v_cvt_f32_f16_e32 v231, v41
	v_cvt_f32_f16_sdwa v233, v41 dst_sel:DWORD dst_unused:UNUSED_PAD src0_sel:WORD_1
	v_mul_lo_u32 v40, v62, v253
	v_mul_lo_u32 v41, v66, v253
	v_cvt_f32_f16_e32 v234, v228
	v_cvt_f32_f16_sdwa v232, v229 dst_sel:DWORD dst_unused:UNUSED_PAD src0_sel:WORD_1
	v_cvt_f32_i32_e32 v41, v41
	v_cvt_f32_i32_e32 v40, v40
	v_mul_lo_u32 v62, v82, v51
	v_mul_lo_u32 v82, v98, v51
	v_cvt_f32_f16_e32 v230, v229
	v_cvt_f32_i32_e32 v229, v82
	v_cvt_f32_i32_e32 v228, v62
	v_pk_fma_f32 v[66:67], v[174:175], v[236:237], 0 op_sel_hi:[0,1,0]
	v_pk_fma_f32 v[40:41], v[234:235], v[40:41], 0 op_sel_hi:[1,1,0]
	;; [unrolled: 1-line block ×3, first 2 shown]
	v_pk_fma_f32 v[40:41], v[230:231], v[228:229], v[40:41]
	v_pk_mul_f32 v[66:67], v[66:67], v[134:135]
	v_mov_b32_e32 v62, 0
	v_pk_fma_f32 v[40:41], v[40:41], v[132:133], v[66:67] neg_lo:[0,0,1] neg_hi:[0,0,1]
	v_dot4c_i32_i8_e32 v62, v172, v4
	v_pk_add_f32 v[76:77], v[76:77], v[40:41]
	v_mov_b32_e32 v40, 0
	v_dot4c_i32_i8_e32 v40, v164, v12
	v_dot4c_i32_i8_e32 v40, v165, v13
	v_dot4c_i32_i8_e32 v40, v182, v14
	v_dot4c_i32_i8_e32 v62, v173, v5
	v_dot4c_i32_i8_e32 v40, v183, v15
	v_dot4c_i32_i8_e32 v62, v202, v6
	v_dot4c_i32_i8_e32 v40, v188, v8
	v_dot4c_i32_i8_e32 v62, v203, v7
	v_dot4c_i32_i8_e32 v40, v189, v9
	v_dot4c_i32_i8_e32 v62, v206, v0
	v_dot4c_i32_i8_e32 v40, v192, v10
	v_dot4c_i32_i8_e32 v62, v207, v1
	v_dot4c_i32_i8_e32 v40, v193, v11
	v_dot4c_i32_i8_e32 v62, v210, v2
	v_dot4c_i32_i8_e32 v62, v211, v3
	v_mul_lo_u32 v58, v58, v199
	v_mul_lo_u32 v40, v40, v199
	v_cvt_f32_i32_e32 v41, v40
	v_cvt_f32_i32_e32 v40, v58
	v_mul_lo_u32 v58, v86, v254
	v_mul_lo_u32 v62, v62, v254
	v_cvt_f32_i32_e32 v229, v62
	v_cvt_f32_i32_e32 v228, v58
	v_pk_fma_f32 v[66:67], v[168:169], v[236:237], 0 op_sel_hi:[0,1,0]
	v_pk_fma_f32 v[40:41], v[234:235], v[40:41], 0 op_sel_hi:[1,1,0]
	;; [unrolled: 1-line block ×3, first 2 shown]
	v_pk_fma_f32 v[40:41], v[230:231], v[228:229], v[40:41]
	v_pk_mul_f32 v[66:67], v[66:67], v[138:139]
	v_mov_b32_e32 v58, 0
	v_pk_fma_f32 v[40:41], v[40:41], v[136:137], v[66:67] neg_lo:[0,0,1] neg_hi:[0,0,1]
	v_dot4c_i32_i8_e32 v58, v170, v4
	v_pk_add_f32 v[70:71], v[70:71], v[40:41]
	v_mov_b32_e32 v40, 0
	v_dot4c_i32_i8_e32 v40, v162, v12
	v_dot4c_i32_i8_e32 v40, v163, v13
	;; [unrolled: 1-line block ×15, first 2 shown]
	v_mul_lo_u32 v52, v52, v175
	v_mul_lo_u32 v40, v40, v175
	v_cvt_f32_i32_e32 v41, v40
	v_cvt_f32_i32_e32 v40, v52
	v_mul_lo_u32 v52, v90, v49
	v_mul_lo_u32 v58, v58, v49
	v_cvt_f32_i32_e32 v229, v58
	v_cvt_f32_i32_e32 v228, v52
	v_pk_fma_f32 v[66:67], v[166:167], v[236:237], 0 op_sel_hi:[0,1,0]
	v_pk_fma_f32 v[40:41], v[234:235], v[40:41], 0 op_sel_hi:[1,1,0]
	;; [unrolled: 1-line block ×3, first 2 shown]
	v_pk_fma_f32 v[40:41], v[230:231], v[228:229], v[40:41]
	v_pk_mul_f32 v[66:67], v[66:67], v[142:143]
	v_mov_b32_e32 v52, 0
	v_pk_fma_f32 v[40:41], v[40:41], v[140:141], v[66:67] neg_lo:[0,0,1] neg_hi:[0,0,1]
	v_mov_b32_e32 v58, 0
	v_pk_add_f32 v[54:55], v[54:55], v[40:41]
	v_mov_b32_e32 v40, 0
	v_dot4c_i32_i8_e32 v40, v160, v12
	v_dot4c_i32_i8_e32 v40, v161, v13
	;; [unrolled: 1-line block ×5, first 2 shown]
	v_mov_b32_e32 v8, 0
	v_dot4c_i32_i8_e32 v8, v158, v4
	v_dot4c_i32_i8_e32 v8, v159, v5
	;; [unrolled: 1-line block ×11, first 2 shown]
	v_mul_lo_u32 v0, v48, v169
	v_mul_lo_u32 v1, v40, v169
	v_cvt_f32_i32_e32 v1, v1
	v_cvt_f32_i32_e32 v0, v0
	v_mul_lo_u32 v4, v94, v167
	v_mul_lo_u32 v5, v8, v167
	v_cvt_f32_i32_e32 v5, v5
	v_cvt_f32_i32_e32 v4, v4
	v_pk_fma_f32 v[2:3], v[150:151], v[236:237], 0 op_sel_hi:[0,1,0]
	v_pk_fma_f32 v[0:1], v[234:235], v[0:1], 0 op_sel_hi:[1,1,0]
	;; [unrolled: 1-line block ×3, first 2 shown]
	v_pk_fma_f32 v[0:1], v[230:231], v[4:5], v[0:1]
	v_pk_mul_f32 v[2:3], v[2:3], v[146:147]
	v_mov_b32_e32 v48, 0
	v_pk_fma_f32 v[0:1], v[0:1], v[144:145], v[2:3] neg_lo:[0,0,1] neg_hi:[0,0,1]
	v_mov_b32_e32 v62, 0
	v_pk_add_f32 v[46:47], v[46:47], v[0:1]
	v_or_b32_e32 v0, s5, v89
	v_lshlrev_b32_e32 v1, 2, v0
	v_lshrrev_b32_e32 v40, 1, v0
	ds_read_b128 v[12:15], v1 offset:33280
	ds_read_b128 v[8:11], v1 offset:33296
	;; [unrolled: 1-line block ×4, first 2 shown]
	ds_read_b64 v[228:229], v40 offset:43584
	v_mov_b32_e32 v82, 0
	v_mov_b32_e32 v86, 0
	;; [unrolled: 1-line block ×4, first 2 shown]
	s_waitcnt lgkmcnt(4)
	v_dot4c_i32_i8_e32 v48, v212, v12
	s_waitcnt lgkmcnt(2)
	v_dot4c_i32_i8_e32 v52, v194, v4
	v_dot4c_i32_i8_e32 v58, v164, v12
	;; [unrolled: 1-line block ×32, first 2 shown]
	s_waitcnt lgkmcnt(1)
	v_dot4c_i32_i8_e32 v52, v224, v0
	v_dot4c_i32_i8_e32 v58, v188, v8
	;; [unrolled: 1-line block ×15, first 2 shown]
	v_or_b32_e32 v0, s5, v95
	v_dot4c_i32_i8_e32 v48, v218, v10
	v_dot4c_i32_i8_e32 v52, v226, v2
	;; [unrolled: 1-line block ×8, first 2 shown]
	v_lshlrev_b32_e32 v1, 2, v0
	v_lshrrev_b32_e32 v40, 1, v0
	v_dot4c_i32_i8_e32 v48, v219, v11
	v_dot4c_i32_i8_e32 v52, v227, v3
	;; [unrolled: 1-line block ×8, first 2 shown]
	ds_read_b128 v[12:15], v1 offset:33280
	ds_read_b128 v[8:11], v1 offset:33296
	;; [unrolled: 1-line block ×4, first 2 shown]
	ds_read_b64 v[40:41], v40 offset:43584
	v_mov_b32_e32 v66, 0
	s_waitcnt lgkmcnt(4)
	v_dot4c_i32_i8_e32 v66, v212, v12
	v_mov_b32_e32 v98, 0
	v_dot4c_i32_i8_e32 v66, v213, v13
	s_waitcnt lgkmcnt(2)
	v_dot4c_i32_i8_e32 v98, v194, v4
	v_dot4c_i32_i8_e32 v66, v214, v14
	;; [unrolled: 1-line block ×8, first 2 shown]
	s_waitcnt lgkmcnt(1)
	v_dot4c_i32_i8_e32 v98, v224, v0
	v_dot4c_i32_i8_e32 v66, v218, v10
	;; [unrolled: 1-line block ×6, first 2 shown]
	s_waitcnt lgkmcnt(0)
	v_cvt_f32_f16_e32 v235, v40
	v_cvt_f32_f16_sdwa v237, v40 dst_sel:DWORD dst_unused:UNUSED_PAD src0_sel:WORD_1
	v_cvt_f32_f16_sdwa v236, v228 dst_sel:DWORD dst_unused:UNUSED_PAD src0_sel:WORD_1
	v_cvt_f32_f16_e32 v231, v41
	v_cvt_f32_f16_sdwa v233, v41 dst_sel:DWORD dst_unused:UNUSED_PAD src0_sel:WORD_1
	v_mul_lo_u32 v40, v48, v253
	v_mul_lo_u32 v41, v66, v253
	v_cvt_f32_f16_e32 v234, v228
	v_cvt_f32_f16_sdwa v232, v229 dst_sel:DWORD dst_unused:UNUSED_PAD src0_sel:WORD_1
	v_cvt_f32_i32_e32 v41, v41
	v_cvt_f32_i32_e32 v40, v40
	v_mul_lo_u32 v48, v52, v51
	v_mul_lo_u32 v52, v98, v51
	v_cvt_f32_f16_e32 v230, v229
	v_cvt_f32_i32_e32 v229, v52
	v_cvt_f32_i32_e32 v228, v48
	v_pk_fma_f32 v[66:67], v[174:175], v[236:237], 0 op_sel_hi:[0,1,0]
	v_pk_fma_f32 v[40:41], v[40:41], v[234:235], 0 op_sel_hi:[1,1,0]
	;; [unrolled: 1-line block ×3, first 2 shown]
	v_pk_fma_f32 v[40:41], v[228:229], v[230:231], v[40:41]
	v_pk_mul_f32 v[66:67], v[66:67], v[134:135]
	v_mov_b32_e32 v48, 0
	v_pk_fma_f32 v[40:41], v[40:41], v[132:133], v[66:67] neg_lo:[0,0,1] neg_hi:[0,0,1]
	v_dot4c_i32_i8_e32 v48, v172, v4
	v_pk_add_f32 v[38:39], v[38:39], v[40:41]
	v_mov_b32_e32 v40, 0
	v_dot4c_i32_i8_e32 v40, v164, v12
	v_dot4c_i32_i8_e32 v40, v165, v13
	;; [unrolled: 1-line block ×15, first 2 shown]
	v_mul_lo_u32 v52, v58, v199
	v_mul_lo_u32 v40, v40, v199
	v_cvt_f32_i32_e32 v41, v40
	v_cvt_f32_i32_e32 v40, v52
	v_mul_lo_u32 v52, v62, v254
	v_mul_lo_u32 v48, v48, v254
	v_cvt_f32_i32_e32 v229, v48
	v_cvt_f32_i32_e32 v228, v52
	v_pk_fma_f32 v[66:67], v[168:169], v[236:237], 0 op_sel_hi:[0,1,0]
	v_pk_fma_f32 v[40:41], v[40:41], v[234:235], 0 op_sel_hi:[1,1,0]
	;; [unrolled: 1-line block ×3, first 2 shown]
	v_pk_fma_f32 v[40:41], v[228:229], v[230:231], v[40:41]
	v_pk_mul_f32 v[66:67], v[66:67], v[138:139]
	v_mov_b32_e32 v48, 0
	v_pk_fma_f32 v[40:41], v[40:41], v[136:137], v[66:67] neg_lo:[0,0,1] neg_hi:[0,0,1]
	v_dot4c_i32_i8_e32 v48, v170, v4
	v_pk_add_f32 v[36:37], v[36:37], v[40:41]
	v_mov_b32_e32 v40, 0
	v_dot4c_i32_i8_e32 v40, v162, v12
	v_dot4c_i32_i8_e32 v40, v163, v13
	;; [unrolled: 1-line block ×15, first 2 shown]
	v_mul_lo_u32 v52, v82, v175
	v_mul_lo_u32 v40, v40, v175
	v_cvt_f32_i32_e32 v41, v40
	v_cvt_f32_i32_e32 v40, v52
	v_mul_lo_u32 v52, v86, v49
	v_mul_lo_u32 v48, v48, v49
	v_cvt_f32_i32_e32 v229, v48
	v_cvt_f32_i32_e32 v228, v52
	v_pk_fma_f32 v[66:67], v[166:167], v[236:237], 0 op_sel_hi:[0,1,0]
	v_pk_fma_f32 v[40:41], v[40:41], v[234:235], 0 op_sel_hi:[1,1,0]
	;; [unrolled: 1-line block ×3, first 2 shown]
	v_pk_fma_f32 v[40:41], v[228:229], v[230:231], v[40:41]
	v_pk_mul_f32 v[66:67], v[66:67], v[142:143]
	v_mov_b32_e32 v48, 0
	v_pk_fma_f32 v[40:41], v[40:41], v[140:141], v[66:67] neg_lo:[0,0,1] neg_hi:[0,0,1]
	v_mov_b32_e32 v52, 0
	v_pk_add_f32 v[34:35], v[34:35], v[40:41]
	v_mov_b32_e32 v40, 0
	v_dot4c_i32_i8_e32 v40, v160, v12
	v_dot4c_i32_i8_e32 v40, v161, v13
	;; [unrolled: 1-line block ×5, first 2 shown]
	v_mov_b32_e32 v8, 0
	v_dot4c_i32_i8_e32 v8, v158, v4
	v_dot4c_i32_i8_e32 v8, v159, v5
	;; [unrolled: 1-line block ×11, first 2 shown]
	v_mul_lo_u32 v0, v90, v169
	v_mul_lo_u32 v1, v40, v169
	v_cvt_f32_i32_e32 v1, v1
	v_cvt_f32_i32_e32 v0, v0
	v_mul_lo_u32 v4, v94, v167
	v_mul_lo_u32 v5, v8, v167
	v_cvt_f32_i32_e32 v5, v5
	v_cvt_f32_i32_e32 v4, v4
	v_pk_fma_f32 v[2:3], v[150:151], v[236:237], 0 op_sel_hi:[0,1,0]
	v_pk_fma_f32 v[0:1], v[0:1], v[234:235], 0 op_sel_hi:[1,1,0]
	v_pk_fma_f32 v[2:3], v[148:149], v[232:233], v[2:3] op_sel_hi:[0,1,1]
	v_pk_fma_f32 v[0:1], v[4:5], v[230:231], v[0:1]
	v_pk_mul_f32 v[2:3], v[2:3], v[146:147]
	v_mov_b32_e32 v58, 0
	v_pk_fma_f32 v[0:1], v[0:1], v[144:145], v[2:3] neg_lo:[0,0,1] neg_hi:[0,0,1]
	v_mov_b32_e32 v62, 0
	v_pk_add_f32 v[32:33], v[32:33], v[0:1]
	v_or_b32_e32 v0, s5, v101
	v_lshlrev_b32_e32 v1, 2, v0
	v_lshrrev_b32_e32 v40, 1, v0
	ds_read_b128 v[12:15], v1 offset:33280
	ds_read_b128 v[8:11], v1 offset:33296
	;; [unrolled: 1-line block ×4, first 2 shown]
	ds_read_b64 v[228:229], v40 offset:43584
	v_mov_b32_e32 v82, 0
	v_mov_b32_e32 v86, 0
	v_mov_b32_e32 v90, 0
	v_mov_b32_e32 v94, 0
	s_waitcnt lgkmcnt(4)
	v_dot4c_i32_i8_e32 v48, v212, v12
	s_waitcnt lgkmcnt(2)
	v_dot4c_i32_i8_e32 v52, v194, v4
	v_dot4c_i32_i8_e32 v58, v164, v12
	;; [unrolled: 1-line block ×32, first 2 shown]
	s_waitcnt lgkmcnt(1)
	v_dot4c_i32_i8_e32 v52, v224, v0
	v_dot4c_i32_i8_e32 v58, v188, v8
	;; [unrolled: 1-line block ×15, first 2 shown]
	v_or_b32_e32 v0, s5, v107
	v_dot4c_i32_i8_e32 v48, v218, v10
	v_dot4c_i32_i8_e32 v52, v226, v2
	;; [unrolled: 1-line block ×8, first 2 shown]
	v_lshlrev_b32_e32 v1, 2, v0
	v_lshrrev_b32_e32 v40, 1, v0
	v_dot4c_i32_i8_e32 v48, v219, v11
	v_dot4c_i32_i8_e32 v52, v227, v3
	;; [unrolled: 1-line block ×8, first 2 shown]
	ds_read_b128 v[12:15], v1 offset:33280
	ds_read_b128 v[8:11], v1 offset:33296
	;; [unrolled: 1-line block ×4, first 2 shown]
	ds_read_b64 v[40:41], v40 offset:43584
	v_mov_b32_e32 v66, 0
	s_waitcnt lgkmcnt(4)
	v_dot4c_i32_i8_e32 v66, v212, v12
	v_mov_b32_e32 v98, 0
	v_dot4c_i32_i8_e32 v66, v213, v13
	s_waitcnt lgkmcnt(2)
	v_dot4c_i32_i8_e32 v98, v194, v4
	v_dot4c_i32_i8_e32 v66, v214, v14
	;; [unrolled: 1-line block ×8, first 2 shown]
	s_waitcnt lgkmcnt(1)
	v_dot4c_i32_i8_e32 v98, v224, v0
	v_dot4c_i32_i8_e32 v66, v218, v10
	;; [unrolled: 1-line block ×6, first 2 shown]
	s_waitcnt lgkmcnt(0)
	v_cvt_f32_f16_e32 v235, v40
	v_cvt_f32_f16_sdwa v237, v40 dst_sel:DWORD dst_unused:UNUSED_PAD src0_sel:WORD_1
	v_cvt_f32_f16_sdwa v236, v228 dst_sel:DWORD dst_unused:UNUSED_PAD src0_sel:WORD_1
	v_cvt_f32_f16_e32 v231, v41
	v_cvt_f32_f16_sdwa v233, v41 dst_sel:DWORD dst_unused:UNUSED_PAD src0_sel:WORD_1
	v_mul_lo_u32 v40, v48, v253
	v_mul_lo_u32 v41, v66, v253
	v_cvt_f32_f16_e32 v234, v228
	v_cvt_f32_f16_sdwa v232, v229 dst_sel:DWORD dst_unused:UNUSED_PAD src0_sel:WORD_1
	v_cvt_f32_i32_e32 v41, v41
	v_cvt_f32_i32_e32 v40, v40
	v_mul_lo_u32 v48, v52, v51
	v_mul_lo_u32 v52, v98, v51
	v_cvt_f32_f16_e32 v230, v229
	v_cvt_f32_i32_e32 v229, v52
	v_cvt_f32_i32_e32 v228, v48
	v_pk_fma_f32 v[66:67], v[174:175], v[236:237], 0 op_sel_hi:[0,1,0]
	v_pk_fma_f32 v[40:41], v[40:41], v[234:235], 0 op_sel_hi:[1,1,0]
	;; [unrolled: 1-line block ×3, first 2 shown]
	v_pk_fma_f32 v[40:41], v[228:229], v[230:231], v[40:41]
	v_pk_mul_f32 v[66:67], v[66:67], v[134:135]
	v_mov_b32_e32 v48, 0
	v_pk_fma_f32 v[40:41], v[40:41], v[132:133], v[66:67] neg_lo:[0,0,1] neg_hi:[0,0,1]
	v_dot4c_i32_i8_e32 v48, v172, v4
	v_pk_add_f32 v[30:31], v[30:31], v[40:41]
	v_mov_b32_e32 v40, 0
	v_dot4c_i32_i8_e32 v40, v164, v12
	v_dot4c_i32_i8_e32 v40, v165, v13
	;; [unrolled: 1-line block ×15, first 2 shown]
	v_mul_lo_u32 v52, v58, v199
	v_mul_lo_u32 v40, v40, v199
	v_cvt_f32_i32_e32 v41, v40
	v_cvt_f32_i32_e32 v40, v52
	v_mul_lo_u32 v52, v62, v254
	v_mul_lo_u32 v48, v48, v254
	v_cvt_f32_i32_e32 v229, v48
	v_cvt_f32_i32_e32 v228, v52
	v_pk_fma_f32 v[66:67], v[168:169], v[236:237], 0 op_sel_hi:[0,1,0]
	v_pk_fma_f32 v[40:41], v[40:41], v[234:235], 0 op_sel_hi:[1,1,0]
	;; [unrolled: 1-line block ×3, first 2 shown]
	v_pk_fma_f32 v[40:41], v[228:229], v[230:231], v[40:41]
	v_pk_mul_f32 v[66:67], v[66:67], v[138:139]
	v_mov_b32_e32 v48, 0
	v_pk_fma_f32 v[40:41], v[40:41], v[136:137], v[66:67] neg_lo:[0,0,1] neg_hi:[0,0,1]
	v_dot4c_i32_i8_e32 v48, v170, v4
	v_pk_add_f32 v[28:29], v[28:29], v[40:41]
	v_mov_b32_e32 v40, 0
	v_dot4c_i32_i8_e32 v40, v162, v12
	v_dot4c_i32_i8_e32 v40, v163, v13
	;; [unrolled: 1-line block ×15, first 2 shown]
	v_mul_lo_u32 v52, v82, v175
	v_mul_lo_u32 v40, v40, v175
	v_cvt_f32_i32_e32 v41, v40
	v_cvt_f32_i32_e32 v40, v52
	v_mul_lo_u32 v52, v86, v49
	v_mul_lo_u32 v48, v48, v49
	v_cvt_f32_i32_e32 v229, v48
	v_cvt_f32_i32_e32 v228, v52
	v_pk_fma_f32 v[66:67], v[166:167], v[236:237], 0 op_sel_hi:[0,1,0]
	v_pk_fma_f32 v[40:41], v[40:41], v[234:235], 0 op_sel_hi:[1,1,0]
	;; [unrolled: 1-line block ×3, first 2 shown]
	v_pk_fma_f32 v[40:41], v[228:229], v[230:231], v[40:41]
	v_pk_mul_f32 v[66:67], v[66:67], v[142:143]
	v_mov_b32_e32 v48, 0
	v_pk_fma_f32 v[40:41], v[40:41], v[140:141], v[66:67] neg_lo:[0,0,1] neg_hi:[0,0,1]
	v_mov_b32_e32 v52, 0
	v_pk_add_f32 v[26:27], v[26:27], v[40:41]
	v_mov_b32_e32 v40, 0
	v_dot4c_i32_i8_e32 v40, v160, v12
	v_dot4c_i32_i8_e32 v40, v161, v13
	;; [unrolled: 1-line block ×5, first 2 shown]
	v_mov_b32_e32 v8, 0
	v_dot4c_i32_i8_e32 v8, v158, v4
	v_dot4c_i32_i8_e32 v8, v159, v5
	;; [unrolled: 1-line block ×11, first 2 shown]
	v_mul_lo_u32 v0, v90, v169
	v_mul_lo_u32 v1, v40, v169
	v_cvt_f32_i32_e32 v1, v1
	v_cvt_f32_i32_e32 v0, v0
	v_mul_lo_u32 v4, v94, v167
	v_mul_lo_u32 v5, v8, v167
	v_cvt_f32_i32_e32 v5, v5
	v_cvt_f32_i32_e32 v4, v4
	v_pk_fma_f32 v[2:3], v[150:151], v[236:237], 0 op_sel_hi:[0,1,0]
	v_pk_fma_f32 v[0:1], v[0:1], v[234:235], 0 op_sel_hi:[1,1,0]
	;; [unrolled: 1-line block ×3, first 2 shown]
	v_pk_fma_f32 v[0:1], v[4:5], v[230:231], v[0:1]
	v_pk_mul_f32 v[2:3], v[2:3], v[146:147]
	v_mov_b32_e32 v58, 0
	v_pk_fma_f32 v[0:1], v[0:1], v[144:145], v[2:3] neg_lo:[0,0,1] neg_hi:[0,0,1]
	v_mov_b32_e32 v62, 0
	v_pk_add_f32 v[24:25], v[24:25], v[0:1]
	v_or_b32_e32 v0, s5, v113
	v_lshlrev_b32_e32 v1, 2, v0
	v_lshrrev_b32_e32 v40, 1, v0
	ds_read_b128 v[12:15], v1 offset:33280
	ds_read_b128 v[8:11], v1 offset:33296
	;; [unrolled: 1-line block ×4, first 2 shown]
	ds_read_b64 v[228:229], v40 offset:43584
	v_mov_b32_e32 v82, 0
	v_mov_b32_e32 v86, 0
	;; [unrolled: 1-line block ×4, first 2 shown]
	s_waitcnt lgkmcnt(4)
	v_dot4c_i32_i8_e32 v48, v212, v12
	s_waitcnt lgkmcnt(2)
	v_dot4c_i32_i8_e32 v52, v194, v4
	v_dot4c_i32_i8_e32 v58, v164, v12
	;; [unrolled: 1-line block ×32, first 2 shown]
	s_waitcnt lgkmcnt(1)
	v_dot4c_i32_i8_e32 v52, v224, v0
	v_dot4c_i32_i8_e32 v58, v188, v8
	;; [unrolled: 1-line block ×15, first 2 shown]
	v_or_b32_e32 v0, s5, v119
	v_dot4c_i32_i8_e32 v48, v218, v10
	v_dot4c_i32_i8_e32 v52, v226, v2
	;; [unrolled: 1-line block ×8, first 2 shown]
	v_lshlrev_b32_e32 v1, 2, v0
	v_lshrrev_b32_e32 v40, 1, v0
	v_dot4c_i32_i8_e32 v48, v219, v11
	v_dot4c_i32_i8_e32 v52, v227, v3
	;; [unrolled: 1-line block ×8, first 2 shown]
	ds_read_b128 v[12:15], v1 offset:33280
	ds_read_b128 v[8:11], v1 offset:33296
	;; [unrolled: 1-line block ×4, first 2 shown]
	ds_read_b64 v[40:41], v40 offset:43584
	v_mov_b32_e32 v66, 0
	s_waitcnt lgkmcnt(4)
	v_dot4c_i32_i8_e32 v66, v212, v12
	v_mov_b32_e32 v90, 0
	v_dot4c_i32_i8_e32 v66, v213, v13
	s_waitcnt lgkmcnt(2)
	v_dot4c_i32_i8_e32 v90, v194, v4
	v_dot4c_i32_i8_e32 v66, v214, v14
	;; [unrolled: 1-line block ×8, first 2 shown]
	s_waitcnt lgkmcnt(1)
	v_dot4c_i32_i8_e32 v90, v224, v0
	v_dot4c_i32_i8_e32 v66, v218, v10
	;; [unrolled: 1-line block ×6, first 2 shown]
	s_waitcnt lgkmcnt(0)
	v_cvt_f32_f16_e32 v217, v40
	v_cvt_f32_f16_sdwa v215, v40 dst_sel:DWORD dst_unused:UNUSED_PAD src0_sel:WORD_1
	v_cvt_f32_f16_sdwa v214, v228 dst_sel:DWORD dst_unused:UNUSED_PAD src0_sel:WORD_1
	v_cvt_f32_f16_e32 v213, v41
	v_cvt_f32_f16_sdwa v195, v41 dst_sel:DWORD dst_unused:UNUSED_PAD src0_sel:WORD_1
	v_mul_lo_u32 v40, v48, v253
	v_mul_lo_u32 v41, v66, v253
	v_cvt_f32_f16_e32 v216, v228
	v_cvt_f32_f16_sdwa v194, v229 dst_sel:DWORD dst_unused:UNUSED_PAD src0_sel:WORD_1
	v_cvt_f32_i32_e32 v41, v41
	v_cvt_f32_i32_e32 v40, v40
	v_mul_lo_u32 v48, v52, v51
	v_mul_lo_u32 v51, v90, v51
	v_cvt_f32_f16_e32 v212, v229
	v_cvt_f32_i32_e32 v219, v51
	v_cvt_f32_i32_e32 v218, v48
	v_pk_fma_f32 v[66:67], v[174:175], v[214:215], 0 op_sel_hi:[0,1,0]
	v_pk_fma_f32 v[40:41], v[40:41], v[216:217], 0 op_sel_hi:[1,1,0]
	;; [unrolled: 1-line block ×3, first 2 shown]
	v_pk_fma_f32 v[40:41], v[218:219], v[212:213], v[40:41]
	v_pk_mul_f32 v[66:67], v[66:67], v[134:135]
	v_mov_b32_e32 v48, 0
	v_pk_fma_f32 v[40:41], v[40:41], v[132:133], v[66:67] neg_lo:[0,0,1] neg_hi:[0,0,1]
	v_dot4c_i32_i8_e32 v48, v172, v4
	v_pk_add_f32 v[22:23], v[22:23], v[40:41]
	v_mov_b32_e32 v40, 0
	v_dot4c_i32_i8_e32 v40, v164, v12
	v_dot4c_i32_i8_e32 v40, v165, v13
	;; [unrolled: 1-line block ×15, first 2 shown]
	v_mul_lo_u32 v51, v58, v199
	v_mul_lo_u32 v40, v40, v199
	v_cvt_f32_i32_e32 v41, v40
	v_cvt_f32_i32_e32 v40, v51
	v_mul_lo_u32 v51, v62, v254
	v_mul_lo_u32 v48, v48, v254
	v_cvt_f32_i32_e32 v165, v48
	v_cvt_f32_i32_e32 v164, v51
	v_pk_fma_f32 v[66:67], v[168:169], v[214:215], 0 op_sel_hi:[0,1,0]
	v_pk_fma_f32 v[40:41], v[40:41], v[216:217], 0 op_sel_hi:[1,1,0]
	;; [unrolled: 1-line block ×3, first 2 shown]
	v_pk_fma_f32 v[40:41], v[164:165], v[212:213], v[40:41]
	v_pk_mul_f32 v[66:67], v[66:67], v[138:139]
	v_mov_b32_e32 v48, 0
	v_pk_fma_f32 v[40:41], v[40:41], v[136:137], v[66:67] neg_lo:[0,0,1] neg_hi:[0,0,1]
	v_dot4c_i32_i8_e32 v48, v170, v4
	v_pk_add_f32 v[20:21], v[20:21], v[40:41]
	v_mov_b32_e32 v40, 0
	v_dot4c_i32_i8_e32 v40, v162, v12
	v_dot4c_i32_i8_e32 v40, v163, v13
	;; [unrolled: 1-line block ×15, first 2 shown]
	v_mul_lo_u32 v51, v82, v175
	v_mul_lo_u32 v40, v40, v175
	v_cvt_f32_i32_e32 v41, v40
	v_cvt_f32_i32_e32 v40, v51
	v_mul_lo_u32 v51, v86, v49
	v_mul_lo_u32 v48, v48, v49
	v_cvt_f32_i32_e32 v49, v48
	v_cvt_f32_i32_e32 v48, v51
	v_pk_fma_f32 v[40:41], v[40:41], v[216:217], 0 op_sel_hi:[1,1,0]
	v_pk_fma_f32 v[66:67], v[166:167], v[214:215], 0 op_sel_hi:[0,1,0]
	s_add_i32 s5, s4, 8
	v_pk_fma_f32 v[40:41], v[48:49], v[212:213], v[40:41]
	v_pk_fma_f32 v[48:49], v[196:197], v[194:195], v[66:67] op_sel_hi:[0,1,1]
	v_pk_mul_f32 v[48:49], v[48:49], v[142:143]
	s_cmp_lt_u32 s4, 24
	v_pk_fma_f32 v[40:41], v[40:41], v[140:141], v[48:49] neg_lo:[0,0,1] neg_hi:[0,0,1]
	v_mov_b32_e32 v49, 0
	v_dot4c_i32_i8_e32 v49, v160, v12
	v_dot4c_i32_i8_e32 v49, v161, v13
	v_dot4c_i32_i8_e32 v49, v176, v14
	v_dot4c_i32_i8_e32 v49, v177, v15
	v_dot4c_i32_i8_e32 v49, v180, v8
	v_mov_b32_e32 v8, 0
	v_dot4c_i32_i8_e32 v8, v158, v4
	v_dot4c_i32_i8_e32 v8, v159, v5
	;; [unrolled: 1-line block ×11, first 2 shown]
	v_mul_lo_u32 v0, v231, v169
	v_mul_lo_u32 v1, v49, v169
	v_cvt_f32_i32_e32 v1, v1
	v_cvt_f32_i32_e32 v0, v0
	v_mul_lo_u32 v4, v230, v167
	v_mul_lo_u32 v5, v8, v167
	v_cvt_f32_i32_e32 v5, v5
	v_cvt_f32_i32_e32 v4, v4
	v_pk_fma_f32 v[2:3], v[150:151], v[214:215], 0 op_sel_hi:[0,1,0]
	v_pk_fma_f32 v[0:1], v[0:1], v[216:217], 0 op_sel_hi:[1,1,0]
	;; [unrolled: 1-line block ×3, first 2 shown]
	v_pk_fma_f32 v[0:1], v[4:5], v[212:213], v[0:1]
	v_pk_mul_f32 v[2:3], v[2:3], v[146:147]
	v_pk_add_f32 v[18:19], v[18:19], v[40:41]
	v_pk_fma_f32 v[0:1], v[0:1], v[144:145], v[2:3] neg_lo:[0,0,1] neg_hi:[0,0,1]
	s_mov_b32 s4, s5
	v_pk_add_f32 v[16:17], v[16:17], v[0:1]
	s_cbranch_scc1 .LBB134_8
; %bb.9:                                ;   in Loop: Header=BB134_5 Depth=1
	s_add_i32 s0, s0, 1
	s_cmp_eq_u32 s0, s7
	s_barrier
	s_cbranch_scc0 .LBB134_5
; %bb.10:
	scratch_load_dword v1, off, off offset:104 ; 4-byte Folded Reload
	scratch_load_dword v2, off, off offset:108 ; 4-byte Folded Reload
.LBB134_11:
	s_waitcnt vmcnt(0)
	v_cmp_gt_u32_e32 vcc, s10, v2
	s_and_saveexec_b64 s[0:1], vcc
	s_cbranch_execz .LBB134_62
; %bb.12:
	v_add_u32_e32 v0, s6, v72
	v_mul_lo_u32 v5, v2, s14
	v_cmp_gt_u32_e32 vcc, s14, v0
	s_and_saveexec_b64 s[0:1], vcc
	s_cbranch_execz .LBB134_14
; %bb.13:
	v_add_u32_e32 v2, v0, v5
	v_mov_b32_e32 v3, 0
	s_waitcnt lgkmcnt(0)
	v_lshl_add_u64 v[2:3], v[2:3], 2, s[12:13]
	global_store_dword v[2:3], v76, off
.LBB134_14:
	s_or_b64 exec, exec, s[0:1]
	v_add_u32_e32 v2, 32, v0
	v_cmp_gt_u32_e64 s[0:1], s14, v2
	s_and_saveexec_b64 s[2:3], s[0:1]
	s_cbranch_execz .LBB134_16
; %bb.15:
	v_add_u32_e32 v6, v2, v5
	v_mov_b32_e32 v7, 0
	s_waitcnt lgkmcnt(0)
	v_lshl_add_u64 v[6:7], v[6:7], 2, s[12:13]
	global_store_dword v[6:7], v70, off
.LBB134_16:
	s_or_b64 exec, exec, s[2:3]
	v_add_u32_e32 v3, 64, v0
	v_cmp_gt_u32_e64 s[2:3], s14, v3
	s_and_saveexec_b64 s[4:5], s[2:3]
	;; [unrolled: 12-line block ×3, first 2 shown]
	s_cbranch_execz .LBB134_20
; %bb.19:
	v_add_u32_e32 v6, v4, v5
	v_mov_b32_e32 v7, 0
	s_waitcnt lgkmcnt(0)
	v_lshl_add_u64 v[6:7], v[6:7], 2, s[12:13]
	global_store_dword v[6:7], v46, off
.LBB134_20:
	s_or_b64 exec, exec, s[6:7]
	v_add3_u32 v5, v1, s15, 8
	v_cmp_gt_u32_e64 s[6:7], s10, v5
	s_and_b64 exec, exec, s[6:7]
	s_cbranch_execz .LBB134_62
; %bb.21:
	v_mul_lo_u32 v5, v5, s14
	s_and_saveexec_b64 s[6:7], vcc
	s_cbranch_execnz .LBB134_63
; %bb.22:
	s_or_b64 exec, exec, s[6:7]
	s_and_saveexec_b64 s[6:7], s[0:1]
	s_cbranch_execnz .LBB134_64
.LBB134_23:
	s_or_b64 exec, exec, s[6:7]
	s_and_saveexec_b64 s[6:7], s[2:3]
	s_cbranch_execnz .LBB134_65
.LBB134_24:
	s_or_b64 exec, exec, s[6:7]
	s_and_saveexec_b64 s[6:7], s[4:5]
	s_cbranch_execz .LBB134_26
.LBB134_25:
	v_add_u32_e32 v6, v5, v4
	v_mov_b32_e32 v7, 0
	s_waitcnt lgkmcnt(0)
	v_lshl_add_u64 v[6:7], v[6:7], 2, s[12:13]
	global_store_dword v[6:7], v47, off
.LBB134_26:
	s_or_b64 exec, exec, s[6:7]
	v_add3_u32 v5, v1, s15, 16
	v_cmp_gt_u32_e64 s[6:7], s10, v5
	s_and_b64 exec, exec, s[6:7]
	s_cbranch_execz .LBB134_62
; %bb.27:
	v_mul_lo_u32 v5, v5, s14
	s_and_saveexec_b64 s[6:7], vcc
	s_cbranch_execnz .LBB134_66
; %bb.28:
	s_or_b64 exec, exec, s[6:7]
	s_and_saveexec_b64 s[6:7], s[0:1]
	s_cbranch_execnz .LBB134_67
.LBB134_29:
	s_or_b64 exec, exec, s[6:7]
	s_and_saveexec_b64 s[6:7], s[2:3]
	s_cbranch_execnz .LBB134_68
.LBB134_30:
	s_or_b64 exec, exec, s[6:7]
	s_and_saveexec_b64 s[6:7], s[4:5]
	s_cbranch_execz .LBB134_32
.LBB134_31:
	v_add_u32_e32 v6, v5, v4
	v_mov_b32_e32 v7, 0
	s_waitcnt lgkmcnt(0)
	v_lshl_add_u64 v[6:7], v[6:7], 2, s[12:13]
	global_store_dword v[6:7], v32, off
.LBB134_32:
	s_or_b64 exec, exec, s[6:7]
	v_add3_u32 v5, v1, s15, 24
	v_cmp_gt_u32_e64 s[6:7], s10, v5
	s_and_b64 exec, exec, s[6:7]
	s_cbranch_execz .LBB134_62
; %bb.33:
	v_mul_lo_u32 v5, v5, s14
	s_and_saveexec_b64 s[6:7], vcc
	s_cbranch_execnz .LBB134_69
; %bb.34:
	s_or_b64 exec, exec, s[6:7]
	s_and_saveexec_b64 s[6:7], s[0:1]
	s_cbranch_execnz .LBB134_70
.LBB134_35:
	s_or_b64 exec, exec, s[6:7]
	s_and_saveexec_b64 s[6:7], s[2:3]
	s_cbranch_execnz .LBB134_71
.LBB134_36:
	s_or_b64 exec, exec, s[6:7]
	s_and_saveexec_b64 s[6:7], s[4:5]
	s_cbranch_execz .LBB134_38
.LBB134_37:
	v_add_u32_e32 v6, v5, v4
	v_mov_b32_e32 v7, 0
	s_waitcnt lgkmcnt(0)
	v_lshl_add_u64 v[6:7], v[6:7], 2, s[12:13]
	global_store_dword v[6:7], v33, off
.LBB134_38:
	s_or_b64 exec, exec, s[6:7]
	v_add3_u32 v5, v1, s15, 32
	v_cmp_gt_u32_e64 s[6:7], s10, v5
	s_and_b64 exec, exec, s[6:7]
	s_cbranch_execz .LBB134_62
; %bb.39:
	v_mul_lo_u32 v5, v5, s14
	s_and_saveexec_b64 s[6:7], vcc
	s_cbranch_execnz .LBB134_72
; %bb.40:
	s_or_b64 exec, exec, s[6:7]
	s_and_saveexec_b64 s[6:7], s[0:1]
	s_cbranch_execnz .LBB134_73
.LBB134_41:
	s_or_b64 exec, exec, s[6:7]
	s_and_saveexec_b64 s[6:7], s[2:3]
	s_cbranch_execnz .LBB134_74
.LBB134_42:
	s_or_b64 exec, exec, s[6:7]
	s_and_saveexec_b64 s[6:7], s[4:5]
	s_cbranch_execz .LBB134_44
.LBB134_43:
	v_add_u32_e32 v6, v5, v4
	v_mov_b32_e32 v7, 0
	s_waitcnt lgkmcnt(0)
	v_lshl_add_u64 v[6:7], v[6:7], 2, s[12:13]
	global_store_dword v[6:7], v24, off
.LBB134_44:
	s_or_b64 exec, exec, s[6:7]
	v_add3_u32 v5, v1, s15, 40
	v_cmp_gt_u32_e64 s[6:7], s10, v5
	s_and_b64 exec, exec, s[6:7]
	s_cbranch_execz .LBB134_62
; %bb.45:
	v_mul_lo_u32 v5, v5, s14
	s_and_saveexec_b64 s[6:7], vcc
	s_cbranch_execnz .LBB134_75
; %bb.46:
	s_or_b64 exec, exec, s[6:7]
	s_and_saveexec_b64 s[6:7], s[0:1]
	s_cbranch_execnz .LBB134_76
.LBB134_47:
	s_or_b64 exec, exec, s[6:7]
	s_and_saveexec_b64 s[6:7], s[2:3]
	s_cbranch_execnz .LBB134_77
.LBB134_48:
	s_or_b64 exec, exec, s[6:7]
	s_and_saveexec_b64 s[6:7], s[4:5]
	s_cbranch_execz .LBB134_50
.LBB134_49:
	v_add_u32_e32 v6, v5, v4
	v_mov_b32_e32 v7, 0
	s_waitcnt lgkmcnt(0)
	v_lshl_add_u64 v[6:7], v[6:7], 2, s[12:13]
	global_store_dword v[6:7], v25, off
.LBB134_50:
	s_or_b64 exec, exec, s[6:7]
	v_add3_u32 v5, v1, s15, 48
	v_cmp_gt_u32_e64 s[6:7], s10, v5
	s_and_b64 exec, exec, s[6:7]
	s_cbranch_execz .LBB134_62
; %bb.51:
	v_mul_lo_u32 v5, v5, s14
	s_and_saveexec_b64 s[6:7], vcc
	s_cbranch_execnz .LBB134_78
; %bb.52:
	s_or_b64 exec, exec, s[6:7]
	s_and_saveexec_b64 s[6:7], s[0:1]
	s_cbranch_execnz .LBB134_79
.LBB134_53:
	s_or_b64 exec, exec, s[6:7]
	s_and_saveexec_b64 s[6:7], s[2:3]
	s_cbranch_execnz .LBB134_80
.LBB134_54:
	s_or_b64 exec, exec, s[6:7]
	s_and_saveexec_b64 s[6:7], s[4:5]
	s_cbranch_execz .LBB134_56
.LBB134_55:
	v_add_u32_e32 v6, v5, v4
	v_mov_b32_e32 v7, 0
	s_waitcnt lgkmcnt(0)
	v_lshl_add_u64 v[6:7], v[6:7], 2, s[12:13]
	global_store_dword v[6:7], v16, off
.LBB134_56:
	s_or_b64 exec, exec, s[6:7]
	v_add3_u32 v1, v1, s15, 56
	v_cmp_gt_u32_e64 s[6:7], s10, v1
	s_and_b64 exec, exec, s[6:7]
	s_cbranch_execz .LBB134_62
; %bb.57:
	v_mul_lo_u32 v1, v1, s14
	s_and_saveexec_b64 s[6:7], vcc
	s_cbranch_execnz .LBB134_81
; %bb.58:
	s_or_b64 exec, exec, s[6:7]
	s_and_saveexec_b64 s[6:7], s[0:1]
	s_cbranch_execnz .LBB134_82
.LBB134_59:
	s_or_b64 exec, exec, s[6:7]
	s_and_saveexec_b64 s[0:1], s[2:3]
	s_cbranch_execnz .LBB134_83
.LBB134_60:
	s_or_b64 exec, exec, s[0:1]
	s_and_b64 exec, exec, s[4:5]
	s_cbranch_execz .LBB134_62
.LBB134_61:
	v_add_u32_e32 v0, v1, v4
	v_mov_b32_e32 v1, 0
	s_waitcnt lgkmcnt(0)
	v_lshl_add_u64 v[0:1], v[0:1], 2, s[12:13]
	global_store_dword v[0:1], v17, off
.LBB134_62:
	s_endpgm
.LBB134_63:
	v_add_u32_e32 v6, v5, v0
	v_mov_b32_e32 v7, 0
	s_waitcnt lgkmcnt(0)
	v_lshl_add_u64 v[6:7], v[6:7], 2, s[12:13]
	global_store_dword v[6:7], v77, off
	s_or_b64 exec, exec, s[6:7]
	s_and_saveexec_b64 s[6:7], s[0:1]
	s_cbranch_execz .LBB134_23
.LBB134_64:
	v_add_u32_e32 v6, v5, v2
	v_mov_b32_e32 v7, 0
	s_waitcnt lgkmcnt(0)
	v_lshl_add_u64 v[6:7], v[6:7], 2, s[12:13]
	global_store_dword v[6:7], v71, off
	s_or_b64 exec, exec, s[6:7]
	s_and_saveexec_b64 s[6:7], s[2:3]
	s_cbranch_execz .LBB134_24
.LBB134_65:
	v_add_u32_e32 v6, v5, v3
	v_mov_b32_e32 v7, 0
	s_waitcnt lgkmcnt(0)
	v_lshl_add_u64 v[6:7], v[6:7], 2, s[12:13]
	global_store_dword v[6:7], v55, off
	s_or_b64 exec, exec, s[6:7]
	s_and_saveexec_b64 s[6:7], s[4:5]
	s_cbranch_execnz .LBB134_25
	s_branch .LBB134_26
.LBB134_66:
	v_add_u32_e32 v6, v5, v0
	v_mov_b32_e32 v7, 0
	s_waitcnt lgkmcnt(0)
	v_lshl_add_u64 v[6:7], v[6:7], 2, s[12:13]
	global_store_dword v[6:7], v38, off
	s_or_b64 exec, exec, s[6:7]
	s_and_saveexec_b64 s[6:7], s[0:1]
	s_cbranch_execz .LBB134_29
.LBB134_67:
	v_add_u32_e32 v6, v5, v2
	v_mov_b32_e32 v7, 0
	s_waitcnt lgkmcnt(0)
	v_lshl_add_u64 v[6:7], v[6:7], 2, s[12:13]
	global_store_dword v[6:7], v36, off
	s_or_b64 exec, exec, s[6:7]
	s_and_saveexec_b64 s[6:7], s[2:3]
	s_cbranch_execz .LBB134_30
.LBB134_68:
	v_add_u32_e32 v6, v5, v3
	v_mov_b32_e32 v7, 0
	s_waitcnt lgkmcnt(0)
	v_lshl_add_u64 v[6:7], v[6:7], 2, s[12:13]
	global_store_dword v[6:7], v34, off
	s_or_b64 exec, exec, s[6:7]
	s_and_saveexec_b64 s[6:7], s[4:5]
	s_cbranch_execnz .LBB134_31
	s_branch .LBB134_32
.LBB134_69:
	v_add_u32_e32 v6, v5, v0
	v_mov_b32_e32 v7, 0
	s_waitcnt lgkmcnt(0)
	v_lshl_add_u64 v[6:7], v[6:7], 2, s[12:13]
	global_store_dword v[6:7], v39, off
	s_or_b64 exec, exec, s[6:7]
	s_and_saveexec_b64 s[6:7], s[0:1]
	s_cbranch_execz .LBB134_35
.LBB134_70:
	v_add_u32_e32 v6, v5, v2
	v_mov_b32_e32 v7, 0
	s_waitcnt lgkmcnt(0)
	v_lshl_add_u64 v[6:7], v[6:7], 2, s[12:13]
	global_store_dword v[6:7], v37, off
	s_or_b64 exec, exec, s[6:7]
	s_and_saveexec_b64 s[6:7], s[2:3]
	s_cbranch_execz .LBB134_36
.LBB134_71:
	v_add_u32_e32 v6, v5, v3
	v_mov_b32_e32 v7, 0
	s_waitcnt lgkmcnt(0)
	v_lshl_add_u64 v[6:7], v[6:7], 2, s[12:13]
	global_store_dword v[6:7], v35, off
	s_or_b64 exec, exec, s[6:7]
	s_and_saveexec_b64 s[6:7], s[4:5]
	s_cbranch_execnz .LBB134_37
	s_branch .LBB134_38
.LBB134_72:
	v_add_u32_e32 v6, v5, v0
	v_mov_b32_e32 v7, 0
	s_waitcnt lgkmcnt(0)
	v_lshl_add_u64 v[6:7], v[6:7], 2, s[12:13]
	global_store_dword v[6:7], v30, off
	s_or_b64 exec, exec, s[6:7]
	s_and_saveexec_b64 s[6:7], s[0:1]
	s_cbranch_execz .LBB134_41
.LBB134_73:
	v_add_u32_e32 v6, v5, v2
	v_mov_b32_e32 v7, 0
	s_waitcnt lgkmcnt(0)
	v_lshl_add_u64 v[6:7], v[6:7], 2, s[12:13]
	global_store_dword v[6:7], v28, off
	s_or_b64 exec, exec, s[6:7]
	s_and_saveexec_b64 s[6:7], s[2:3]
	s_cbranch_execz .LBB134_42
.LBB134_74:
	v_add_u32_e32 v6, v5, v3
	v_mov_b32_e32 v7, 0
	s_waitcnt lgkmcnt(0)
	v_lshl_add_u64 v[6:7], v[6:7], 2, s[12:13]
	global_store_dword v[6:7], v26, off
	s_or_b64 exec, exec, s[6:7]
	s_and_saveexec_b64 s[6:7], s[4:5]
	s_cbranch_execnz .LBB134_43
	s_branch .LBB134_44
.LBB134_75:
	v_add_u32_e32 v6, v5, v0
	v_mov_b32_e32 v7, 0
	s_waitcnt lgkmcnt(0)
	v_lshl_add_u64 v[6:7], v[6:7], 2, s[12:13]
	global_store_dword v[6:7], v31, off
	s_or_b64 exec, exec, s[6:7]
	s_and_saveexec_b64 s[6:7], s[0:1]
	s_cbranch_execz .LBB134_47
.LBB134_76:
	v_add_u32_e32 v6, v5, v2
	v_mov_b32_e32 v7, 0
	s_waitcnt lgkmcnt(0)
	v_lshl_add_u64 v[6:7], v[6:7], 2, s[12:13]
	global_store_dword v[6:7], v29, off
	s_or_b64 exec, exec, s[6:7]
	s_and_saveexec_b64 s[6:7], s[2:3]
	s_cbranch_execz .LBB134_48
.LBB134_77:
	v_add_u32_e32 v6, v5, v3
	v_mov_b32_e32 v7, 0
	s_waitcnt lgkmcnt(0)
	v_lshl_add_u64 v[6:7], v[6:7], 2, s[12:13]
	global_store_dword v[6:7], v27, off
	s_or_b64 exec, exec, s[6:7]
	s_and_saveexec_b64 s[6:7], s[4:5]
	s_cbranch_execnz .LBB134_49
	s_branch .LBB134_50
.LBB134_78:
	v_add_u32_e32 v6, v5, v0
	v_mov_b32_e32 v7, 0
	s_waitcnt lgkmcnt(0)
	v_lshl_add_u64 v[6:7], v[6:7], 2, s[12:13]
	global_store_dword v[6:7], v22, off
	s_or_b64 exec, exec, s[6:7]
	s_and_saveexec_b64 s[6:7], s[0:1]
	s_cbranch_execz .LBB134_53
.LBB134_79:
	v_add_u32_e32 v6, v5, v2
	v_mov_b32_e32 v7, 0
	s_waitcnt lgkmcnt(0)
	v_lshl_add_u64 v[6:7], v[6:7], 2, s[12:13]
	global_store_dword v[6:7], v20, off
	s_or_b64 exec, exec, s[6:7]
	s_and_saveexec_b64 s[6:7], s[2:3]
	s_cbranch_execz .LBB134_54
.LBB134_80:
	v_add_u32_e32 v6, v5, v3
	v_mov_b32_e32 v7, 0
	s_waitcnt lgkmcnt(0)
	v_lshl_add_u64 v[6:7], v[6:7], 2, s[12:13]
	global_store_dword v[6:7], v18, off
	s_or_b64 exec, exec, s[6:7]
	s_and_saveexec_b64 s[6:7], s[4:5]
	s_cbranch_execnz .LBB134_55
	s_branch .LBB134_56
.LBB134_81:
	v_add_u32_e32 v6, v1, v0
	v_mov_b32_e32 v7, 0
	s_waitcnt lgkmcnt(0)
	v_lshl_add_u64 v[6:7], v[6:7], 2, s[12:13]
	global_store_dword v[6:7], v23, off
	s_or_b64 exec, exec, s[6:7]
	s_and_saveexec_b64 s[6:7], s[0:1]
	s_cbranch_execz .LBB134_59
.LBB134_82:
	v_add_u32_e32 v6, v1, v2
	v_mov_b32_e32 v7, 0
	s_waitcnt lgkmcnt(0)
	v_lshl_add_u64 v[6:7], v[6:7], 2, s[12:13]
	global_store_dword v[6:7], v21, off
	s_or_b64 exec, exec, s[6:7]
	s_and_saveexec_b64 s[0:1], s[2:3]
	s_cbranch_execz .LBB134_60
.LBB134_83:
	v_add_u32_e32 v2, v1, v3
	v_mov_b32_e32 v3, 0
	s_waitcnt lgkmcnt(0)
	v_lshl_add_u64 v[2:3], v[2:3], 2, s[12:13]
	global_store_dword v[2:3], v19, off
	s_or_b64 exec, exec, s[0:1]
	s_and_b64 exec, exec, s[4:5]
	s_cbranch_execnz .LBB134_61
	s_branch .LBB134_62
	.section	.rodata,"a",@progbits
	.p2align	6, 0x0
	.amdhsa_kernel _ZL12mul_mat_q5_KIfLb1EEvPKvS1_PT_iiiii
		.amdhsa_group_segment_fixed_size 45136
		.amdhsa_private_segment_fixed_size 116
		.amdhsa_kernarg_size 44
		.amdhsa_user_sgpr_count 2
		.amdhsa_user_sgpr_dispatch_ptr 0
		.amdhsa_user_sgpr_queue_ptr 0
		.amdhsa_user_sgpr_kernarg_segment_ptr 1
		.amdhsa_user_sgpr_dispatch_id 0
		.amdhsa_user_sgpr_kernarg_preload_length 0
		.amdhsa_user_sgpr_kernarg_preload_offset 0
		.amdhsa_user_sgpr_private_segment_size 0
		.amdhsa_uses_dynamic_stack 0
		.amdhsa_enable_private_segment 1
		.amdhsa_system_sgpr_workgroup_id_x 1
		.amdhsa_system_sgpr_workgroup_id_y 1
		.amdhsa_system_sgpr_workgroup_id_z 0
		.amdhsa_system_sgpr_workgroup_info 0
		.amdhsa_system_vgpr_workitem_id 1
		.amdhsa_next_free_vgpr 256
		.amdhsa_next_free_sgpr 21
		.amdhsa_accum_offset 256
		.amdhsa_reserve_vcc 1
		.amdhsa_float_round_mode_32 0
		.amdhsa_float_round_mode_16_64 0
		.amdhsa_float_denorm_mode_32 3
		.amdhsa_float_denorm_mode_16_64 3
		.amdhsa_dx10_clamp 1
		.amdhsa_ieee_mode 1
		.amdhsa_fp16_overflow 0
		.amdhsa_tg_split 0
		.amdhsa_exception_fp_ieee_invalid_op 0
		.amdhsa_exception_fp_denorm_src 0
		.amdhsa_exception_fp_ieee_div_zero 0
		.amdhsa_exception_fp_ieee_overflow 0
		.amdhsa_exception_fp_ieee_underflow 0
		.amdhsa_exception_fp_ieee_inexact 0
		.amdhsa_exception_int_div_zero 0
	.end_amdhsa_kernel
	.section	.text._ZL12mul_mat_q5_KIfLb1EEvPKvS1_PT_iiiii,"axG",@progbits,_ZL12mul_mat_q5_KIfLb1EEvPKvS1_PT_iiiii,comdat
.Lfunc_end134:
	.size	_ZL12mul_mat_q5_KIfLb1EEvPKvS1_PT_iiiii, .Lfunc_end134-_ZL12mul_mat_q5_KIfLb1EEvPKvS1_PT_iiiii
                                        ; -- End function
	.section	.AMDGPU.csdata,"",@progbits
; Kernel info:
; codeLenInByte = 17184
; NumSgprs: 27
; NumVgprs: 256
; NumAgprs: 0
; TotalNumVgprs: 256
; ScratchSize: 116
; MemoryBound: 0
; FloatMode: 240
; IeeeMode: 1
; LDSByteSize: 45136 bytes/workgroup (compile time only)
; SGPRBlocks: 3
; VGPRBlocks: 31
; NumSGPRsForWavesPerEU: 27
; NumVGPRsForWavesPerEU: 256
; AccumOffset: 256
; Occupancy: 1
; WaveLimiterHint : 0
; COMPUTE_PGM_RSRC2:SCRATCH_EN: 1
; COMPUTE_PGM_RSRC2:USER_SGPR: 2
; COMPUTE_PGM_RSRC2:TRAP_HANDLER: 0
; COMPUTE_PGM_RSRC2:TGID_X_EN: 1
; COMPUTE_PGM_RSRC2:TGID_Y_EN: 1
; COMPUTE_PGM_RSRC2:TGID_Z_EN: 0
; COMPUTE_PGM_RSRC2:TIDIG_COMP_CNT: 1
; COMPUTE_PGM_RSRC3_GFX90A:ACCUM_OFFSET: 63
; COMPUTE_PGM_RSRC3_GFX90A:TG_SPLIT: 0
	.section	.text._ZL12mul_mat_q6_KIfLb0EEvPKvS1_PT_iiiii,"axG",@progbits,_ZL12mul_mat_q6_KIfLb0EEvPKvS1_PT_iiiii,comdat
	.globl	_ZL12mul_mat_q6_KIfLb0EEvPKvS1_PT_iiiii ; -- Begin function _ZL12mul_mat_q6_KIfLb0EEvPKvS1_PT_iiiii
	.p2align	8
	.type	_ZL12mul_mat_q6_KIfLb0EEvPKvS1_PT_iiiii,@function
_ZL12mul_mat_q6_KIfLb0EEvPKvS1_PT_iiiii: ; @_ZL12mul_mat_q6_KIfLb0EEvPKvS1_PT_iiiii
; %bb.0:
	s_load_dword s7, s[0:1], 0x18
	s_load_dwordx4 s[8:11], s[0:1], 0x20
	s_waitcnt lgkmcnt(0)
	s_lshl_b32 s11, s3, 6
	v_bfe_u32 v55, v0, 10, 10
	s_cmpk_gt_i32 s7, 0xff
	s_cbranch_scc1 .LBB135_2
; %bb.1:
	v_bfe_u32 v1, v0, 10, 10
	v_and_b32_e32 v51, 0x3ff, v0
	v_add_u32_e32 v135, s11, v1
	s_mov_b64 s[4:5], 0
	s_mov_b32 s3, 0
	s_branch .LBB135_3
.LBB135_2:
	s_mov_b64 s[4:5], -1
                                        ; implicit-def: $sgpr3
                                        ; implicit-def: $vgpr1
                                        ; implicit-def: $vgpr51
                                        ; implicit-def: $vgpr135
.LBB135_3:
	s_load_dwordx2 s[12:13], s[0:1], 0x10
	s_lshl_b32 s6, s2, 7
	s_andn2_b64 vcc, exec, s[4:5]
	v_mov_b32_e32 v17, s3
	v_mov_b32_e32 v29, s3
	;; [unrolled: 1-line block ×32, first 2 shown]
	s_cbranch_vccnz .LBB135_11
; %bb.4:
	v_and_b32_e32 v51, 0x3ff, v0
	v_and_b32_e32 v6, 31, v51
	s_ashr_i32 s4, s7, 31
	v_cmp_lt_u32_e32 vcc, 15, v6
	s_load_dwordx4 s[0:3], s[0:1], 0x0
	s_lshr_b32 s4, s4, 24
	v_cndmask_b32_e64 v1, 0, 1, vcc
	s_add_i32 s7, s7, s4
	s_ashr_i32 s5, s9, 31
	v_and_b32_e32 v0, 7, v51
	v_lshlrev_b32_e32 v1, 5, v1
	s_ashr_i32 s4, s7, 8
	s_lshr_b32 s5, s5, 27
	v_lshl_or_b32 v20, v0, 2, v1
	v_add_u16_e32 v0, -16, v6
	v_cmp_gt_u32_e32 vcc, 16, v6
	s_add_i32 s5, s9, s5
	s_mul_i32 s7, s4, s6
	v_cndmask_b32_e32 v0, v0, v6, vcc
	s_ashr_i32 s15, s5, 5
	s_mul_hi_i32 s9, s7, 0xd2
	s_mulk_i32 s7, 0xd2
	v_cmp_lt_u16_e32 vcc, 7, v0
	s_waitcnt lgkmcnt(0)
	s_add_u32 s7, s0, s7
	s_addc_u32 s9, s1, s9
	v_cndmask_b32_e64 v0, 0, 1, vcc
	v_lshlrev_b32_e32 v139, 1, v0
	v_and_or_b32 v0, v51, 15, v1
	v_mul_u32_u24_e32 v1, 0x41, v55
	s_lshl_b32 s0, s4, 3
	v_add_lshl_u32 v141, v0, v1, 2
	v_mov_b32_e32 v0, s0
	v_mad_i32_i24 v24, s4, v55, v0
	v_add_u32_e32 v26, s0, v24
	v_add_u32_e32 v28, s0, v26
	v_lshlrev_b32_e32 v159, 5, v55
	v_add_u32_e32 v30, s0, v28
	v_add_u32_e32 v0, v159, v51
	;; [unrolled: 1-line block ×3, first 2 shown]
	v_and_b32_e32 v1, 0x7f, v0
	v_lshrrev_b32_e32 v0, 3, v0
	v_add_u32_e32 v34, s0, v32
	v_mul_i32_i24_e32 v54, s4, v1
	v_and_b32_e32 v0, 12, v0
	v_lshlrev_b32_e32 v1, 2, v1
	s_mov_b32 s16, 0xae40
	v_add_u32_e32 v36, s0, v34
	v_add3_u32 v161, v1, v0, s16
	v_lshlrev_b32_e32 v1, 3, v55
	v_lshrrev_b32_e32 v2, 2, v51
	v_add_u32_e32 v38, s0, v36
	v_add_u32_e32 v7, v2, v1
	v_and_b32_e32 v0, 3, v51
	v_add_u16_e32 v1, v2, v1
	v_add_u32_e32 v40, s0, v38
	v_lshlrev_b32_e32 v56, 2, v0
	v_and_b32_e32 v3, 0x7f, v7
	v_lshrrev_b16_e32 v1, 1, v1
	v_add_u32_e32 v42, s0, v40
	v_lshl_or_b32 v4, v3, 4, v56
	v_and_b32_e32 v1, 60, v1
	s_mov_b32 s17, 0xa200
	v_add_u32_e32 v44, s0, v42
	v_add3_u32 v163, v4, v1, s17
	v_xor_b32_e32 v1, 64, v3
	v_add_u32_e32 v46, s0, v44
	v_mul_i32_i24_e32 v60, s4, v1
	v_lshl_or_b32 v2, v1, 4, v56
	v_lshrrev_b32_e32 v1, 1, v1
	v_mov_b32_e32 v19, 0
	v_add_u32_e32 v48, s0, v46
	v_and_b32_e32 v1, 60, v1
	v_lshlrev_b32_e32 v8, 2, v51
	v_add_u32_e32 v50, s0, v48
	v_add3_u32 v164, v2, v1, s17
	v_and_b32_e32 v4, 28, v8
	v_mov_b32_e32 v5, v19
	v_and_b32_e32 v1, 63, v7
	v_add_u32_e32 v52, s0, v50
	s_add_i32 s0, s8, -1
	v_lshl_add_u64 v[62:63], s[2:3], 0, v[4:5]
	v_or_b32_e32 v4, s11, v1
	v_min_i32_e32 v4, s0, v4
	v_mul_i32_i24_e32 v58, s4, v3
	v_add_u32_e32 v135, s11, v55
	v_cvt_f64_i32_e32 v[2:3], s0
	v_mad_u64_u32 v[64:65], s[0:1], v4, s15, v[0:1]
	v_lshl_or_b32 v0, v1, 4, v56
	v_add_u32_e32 v166, 0xaa40, v0
	v_cvt_f64_u32_e32 v[0:1], v135
	v_min_f64 v[0:1], v[0:1], v[2:3]
	v_cvt_i32_f64_e32 v0, v[0:1]
	v_mul_lo_u32 v168, s15, v0
	v_or_b32_e32 v0, v159, v6
	v_mov_b32_e32 v4, 0x8200
	v_lshl_add_u32 v170, v0, 2, v4
	v_add_u32_e32 v0, 8, v135
	v_cvt_f64_u32_e32 v[0:1], v0
	v_min_f64 v[0:1], v[0:1], v[2:3]
	v_cvt_i32_f64_e32 v0, v[0:1]
	v_add_u32_e32 v172, 0x100, v159
	v_mul_lo_u32 v171, s15, v0
	v_or_b32_e32 v0, v172, v6
	v_lshl_add_u32 v173, v0, 2, v4
	v_add_u32_e32 v0, 16, v135
	v_cvt_f64_u32_e32 v[0:1], v0
	v_min_f64 v[0:1], v[0:1], v[2:3]
	v_cvt_i32_f64_e32 v0, v[0:1]
	v_add_u32_e32 v175, 0x200, v159
	v_mul_lo_u32 v174, s15, v0
	v_or_b32_e32 v0, v175, v6
	;; [unrolled: 8-line block ×6, first 2 shown]
	v_lshl_add_u32 v188, v0, 2, v4
	v_add_u32_e32 v0, 56, v135
	v_cvt_f64_u32_e32 v[0:1], v0
	v_min_f64 v[0:1], v[0:1], v[2:3]
	v_cvt_i32_f64_e32 v0, v[0:1]
	v_add_u32_e32 v190, 0x700, v159
	v_lshrrev_b32_e32 v16, 5, v51
	v_mul_lo_u32 v189, s15, v0
	v_or_b32_e32 v0, v190, v6
	v_lshl_add_u32 v191, v0, 2, v4
	v_lshlrev_b32_e32 v0, 2, v16
	v_add3_u32 v192, v0, v8, s16
	v_add_u32_e32 v0, 32, v51
	v_lshrrev_b32_e32 v193, 3, v0
	v_and_b32_e32 v1, 60, v193
	v_add3_u32 v194, v8, v1, s16
	v_add_u32_e32 v1, 64, v51
	v_lshrrev_b32_e32 v2, 3, v1
	v_and_b32_e32 v2, 60, v2
	v_add3_u32 v195, v8, v2, s16
	v_add_u32_e32 v2, 0x60, v51
	v_lshrrev_b32_e32 v3, 3, v2
	v_lshrrev_b32_e32 v167, 3, v51
	v_and_b32_e32 v3, 60, v3
	v_add3_u32 v196, v8, v3, s16
	v_lshlrev_b32_e32 v3, 2, v167
	v_lshlrev_b32_e32 v4, 4, v51
	v_add3_u32 v197, v4, v3, s17
	v_lshlrev_b32_e32 v3, 2, v193
	v_lshlrev_b32_e32 v0, 4, v0
	s_movk_i32 s0, 0x104
	v_add3_u32 v199, v3, v0, s17
	v_mov_b32_e32 v0, 0x2080
	v_mad_u32_u24 v200, v51, s0, v0
	v_lshrrev_b32_e32 v0, 1, v1
	v_and_b32_e32 v0, 0xfc, v0
	v_lshlrev_b32_e32 v1, 4, v1
	v_add3_u32 v201, v1, v0, s17
	v_mov_b32_e32 v0, 0x4100
	v_mad_u32_u24 v202, v51, s0, v0
	v_lshrrev_b32_e32 v0, 1, v2
	v_and_b32_e32 v0, 0xfc, v0
	v_lshlrev_b32_e32 v1, 4, v2
	v_add3_u32 v203, v1, v0, s17
	v_mov_b32_e32 v0, 0x6180
	s_movk_i32 s5, 0xd2
	s_mov_b32 s14, 0
	v_lshlrev_b32_e32 v18, 2, v6
	v_mov_b32_e32 v21, v19
	v_mul_i32_i24_e32 v22, s4, v55
	v_add_u32_e32 v142, 0x820, v141
	v_add_u32_e32 v143, 0x1040, v141
	;; [unrolled: 1-line block ×15, first 2 shown]
	v_mov_b32_e32 v57, v19
	v_mul_u32_u24_e32 v198, 0x104, v51
	v_mad_u32_u24 v204, v51, s0, v0
	s_mov_b32 s15, 0xf0f0f0f
	s_mov_b32 s16, 0x30303030
	s_movk_i32 s17, 0x3f00
	s_movk_i32 s18, 0xe000
	v_mov_b32_e32 v205, 8
	v_mov_b32_e32 v169, v19
	;; [unrolled: 1-line block ×33, first 2 shown]
.LBB135_5:                              ; =>This Loop Header: Depth=1
                                        ;     Child Loop BB135_6 Depth 2
                                        ;     Child Loop BB135_8 Depth 2
	s_mul_i32 s0, s14, 0xd2
	s_mul_hi_u32 s1, s14, 0xd2
	s_add_u32 s0, s7, s0
	s_addc_u32 s1, s9, s1
	v_mov_b64_e32 v[0:1], s[0:1]
	v_mad_u64_u32 v[2:3], s[20:21], v16, s5, v[0:1]
	v_mad_u64_u32 v[4:5], s[20:21], v22, s5, v[2:3]
	v_lshl_add_u64 v[6:7], v[4:5], 0, v[18:19]
	v_lshl_add_u64 v[4:5], v[4:5], 0, v[20:21]
	v_mad_u64_u32 v[8:9], s[20:21], v24, s5, v[2:3]
	global_load_dword v12, v[6:7], off
	v_lshl_add_u64 v[10:11], v[8:9], 0, v[18:19]
	v_lshl_add_u64 v[8:9], v[8:9], 0, v[20:21]
	v_mad_u64_u32 v[6:7], s[20:21], v26, s5, v[2:3]
	global_load_dword v13, v[4:5], off offset:128
	global_load_dword v14, v[10:11], off
	v_lshl_add_u64 v[4:5], v[6:7], 0, v[18:19]
	global_load_dword v15, v[8:9], off offset:128
	global_load_dword v66, v[4:5], off
	v_lshl_add_u64 v[4:5], v[6:7], 0, v[20:21]
	global_load_dword v67, v[4:5], off offset:128
	v_mad_u64_u32 v[4:5], s[20:21], v28, s5, v[2:3]
	v_lshl_add_u64 v[8:9], v[4:5], 0, v[18:19]
	v_lshl_add_u64 v[4:5], v[4:5], 0, v[20:21]
	global_load_dword v8, v[8:9], off
	s_nop 0
	global_load_dword v9, v[4:5], off offset:128
	v_mad_u64_u32 v[6:7], s[20:21], v30, s5, v[2:3]
	v_lshl_add_u64 v[10:11], v[6:7], 0, v[18:19]
	s_lshl_b32 s19, s14, 3
	v_mad_u64_u32 v[0:1], s[20:21], v54, s5, v[0:1]
	v_add_u32_e32 v206, s19, v64
	s_waitcnt vmcnt(7)
	v_and_b32_e32 v4, 0xf0f0f0f, v12
	v_lshrrev_b32_e32 v5, 4, v12
	s_waitcnt vmcnt(6)
	v_ashrrev_i32_e32 v12, v139, v13
	v_lshlrev_b32_e32 v69, 4, v12
	s_waitcnt vmcnt(4)
	v_ashrrev_i32_e32 v15, v139, v15
	v_and_b32_e32 v12, 0x30303030, v12
	v_and_b32_e32 v13, 0xf0f0f0f, v14
	v_lshrrev_b32_e32 v14, 4, v14
	v_lshlrev_b32_e32 v70, 4, v15
	v_and_b32_e32 v15, 0x30303030, v15
	v_and_or_b32 v4, v69, s16, v4
	v_and_or_b32 v5, v5, s15, v12
	;; [unrolled: 1-line block ×4, first 2 shown]
	v_and_b32_e32 v14, 0x3f00, v4
	v_lshlrev_b16_e32 v15, 8, v4
	v_and_b32_sdwa v69, v4, s17 dst_sel:DWORD dst_unused:UNUSED_PAD src0_sel:WORD_1 src1_sel:DWORD
	v_lshlrev_b16_sdwa v4, v205, v4 dst_sel:DWORD dst_unused:UNUSED_PAD src0_sel:DWORD src1_sel:WORD_1
	v_and_b32_e32 v70, 0x3f00, v5
	v_lshlrev_b16_e32 v71, 8, v5
	v_and_b32_sdwa v72, v5, s17 dst_sel:DWORD dst_unused:UNUSED_PAD src0_sel:WORD_1 src1_sel:DWORD
	v_lshlrev_b16_sdwa v5, v205, v5 dst_sel:DWORD dst_unused:UNUSED_PAD src0_sel:DWORD src1_sel:WORD_1
	;; [unrolled: 4-line block ×4, first 2 shown]
	v_add_u16_e32 v15, 0xe000, v15
	v_add_u16_e32 v4, 0xe000, v4
	;; [unrolled: 1-line block ×8, first 2 shown]
	v_or_b32_sdwa v14, v14, v15 dst_sel:DWORD dst_unused:UNUSED_PAD src0_sel:DWORD src1_sel:BYTE_1
	v_or_b32_sdwa v4, v69, v4 dst_sel:DWORD dst_unused:UNUSED_PAD src0_sel:DWORD src1_sel:BYTE_1
	;; [unrolled: 1-line block ×8, first 2 shown]
	v_add_u16_e32 v14, 0xe000, v14
	v_add_u16_sdwa v4, v4, s18 dst_sel:WORD_1 dst_unused:UNUSED_PAD src0_sel:DWORD src1_sel:DWORD
	v_add_u16_e32 v15, 0xe000, v15
	v_add_u16_sdwa v5, v5, s18 dst_sel:WORD_1 dst_unused:UNUSED_PAD src0_sel:DWORD src1_sel:DWORD
	;; [unrolled: 2-line block ×4, first 2 shown]
	v_or_b32_e32 v4, v14, v4
	v_or_b32_e32 v5, v15, v5
	;; [unrolled: 1-line block ×4, first 2 shown]
	ds_write2_b32 v141, v4, v5 offset1:16
	ds_write2_b32 v142, v12, v13 offset1:16
	v_lshl_add_u64 v[4:5], v[6:7], 0, v[20:21]
	global_load_dword v10, v[10:11], off
	s_waitcnt vmcnt(4)
	v_and_b32_e32 v68, 0xf0f0f0f, v66
	global_load_dword v11, v[4:5], off offset:128
	s_waitcnt vmcnt(4)
	v_ashrrev_i32_e32 v5, v139, v67
	v_lshlrev_b32_e32 v6, 4, v5
	v_and_or_b32 v6, v6, s16, v68
	v_lshlrev_b16_e32 v12, 8, v6
	v_and_b32_e32 v7, 0x3f00, v6
	v_add_u16_e32 v12, 0xe000, v12
	v_or_b32_sdwa v7, v7, v12 dst_sel:DWORD dst_unused:UNUSED_PAD src0_sel:DWORD src1_sel:BYTE_1
	v_and_b32_sdwa v12, v6, s17 dst_sel:DWORD dst_unused:UNUSED_PAD src0_sel:WORD_1 src1_sel:DWORD
	v_lshlrev_b16_sdwa v6, v205, v6 dst_sel:DWORD dst_unused:UNUSED_PAD src0_sel:DWORD src1_sel:WORD_1
	v_add_u16_e32 v6, 0xe000, v6
	v_lshrrev_b32_e32 v4, 4, v66
	v_and_b32_e32 v5, 0x30303030, v5
	v_or_b32_sdwa v6, v12, v6 dst_sel:DWORD dst_unused:UNUSED_PAD src0_sel:DWORD src1_sel:BYTE_1
	v_add_u16_e32 v7, 0xe000, v7
	v_add_u16_sdwa v6, v6, s18 dst_sel:WORD_1 dst_unused:UNUSED_PAD src0_sel:DWORD src1_sel:DWORD
	v_and_or_b32 v4, v4, s15, v5
	v_or_b32_e32 v12, v7, v6
	v_lshlrev_b16_e32 v6, 8, v4
	v_and_b32_e32 v5, 0x3f00, v4
	v_add_u16_e32 v6, 0xe000, v6
	v_or_b32_sdwa v5, v5, v6 dst_sel:DWORD dst_unused:UNUSED_PAD src0_sel:DWORD src1_sel:BYTE_1
	v_add_u16_e32 v13, 0xe000, v5
	v_and_b32_sdwa v14, v4, s17 dst_sel:DWORD dst_unused:UNUSED_PAD src0_sel:WORD_1 src1_sel:DWORD
	v_lshlrev_b16_sdwa v15, v205, v4 dst_sel:DWORD dst_unused:UNUSED_PAD src0_sel:DWORD src1_sel:WORD_1
	v_mad_u64_u32 v[4:5], s[20:21], v32, s5, v[2:3]
	v_lshl_add_u64 v[6:7], v[4:5], 0, v[18:19]
	v_lshl_add_u64 v[4:5], v[4:5], 0, v[20:21]
	global_load_dword v66, v[6:7], off
	global_load_dword v67, v[4:5], off offset:128
	v_add_u16_e32 v4, 0xe000, v15
	v_or_b32_sdwa v4, v14, v4 dst_sel:DWORD dst_unused:UNUSED_PAD src0_sel:DWORD src1_sel:BYTE_1
	v_add_u16_sdwa v4, v4, s18 dst_sel:WORD_1 dst_unused:UNUSED_PAD src0_sel:DWORD src1_sel:DWORD
	s_waitcnt vmcnt(4)
	v_ashrrev_i32_e32 v6, v139, v9
	v_or_b32_e32 v4, v13, v4
	ds_write2_b32 v143, v12, v4 offset1:16
	v_and_b32_e32 v4, 0xf0f0f0f, v8
	v_lshlrev_b32_e32 v7, 4, v6
	v_and_or_b32 v4, v7, s16, v4
	v_lshrrev_b32_e32 v5, 4, v8
	v_lshlrev_b16_e32 v8, 8, v4
	v_and_b32_e32 v7, 0x3f00, v4
	v_add_u16_e32 v8, 0xe000, v8
	v_or_b32_sdwa v7, v7, v8 dst_sel:DWORD dst_unused:UNUSED_PAD src0_sel:DWORD src1_sel:BYTE_1
	v_and_b32_sdwa v8, v4, s17 dst_sel:DWORD dst_unused:UNUSED_PAD src0_sel:WORD_1 src1_sel:DWORD
	v_lshlrev_b16_sdwa v4, v205, v4 dst_sel:DWORD dst_unused:UNUSED_PAD src0_sel:DWORD src1_sel:WORD_1
	v_add_u16_e32 v4, 0xe000, v4
	v_or_b32_sdwa v4, v8, v4 dst_sel:DWORD dst_unused:UNUSED_PAD src0_sel:DWORD src1_sel:BYTE_1
	v_and_b32_e32 v6, 0x30303030, v6
	v_add_u16_e32 v7, 0xe000, v7
	v_add_u16_sdwa v4, v4, s18 dst_sel:WORD_1 dst_unused:UNUSED_PAD src0_sel:DWORD src1_sel:DWORD
	v_and_or_b32 v9, v5, s15, v6
	v_or_b32_e32 v8, v7, v4
	v_mad_u64_u32 v[4:5], s[20:21], v34, s5, v[2:3]
	v_lshl_add_u64 v[6:7], v[4:5], 0, v[18:19]
	global_load_dword v13, v[6:7], off
	v_lshlrev_b16_e32 v6, 8, v9
	v_and_b32_e32 v12, 0x3f00, v9
	v_add_u16_e32 v6, 0xe000, v6
	v_lshl_add_u64 v[4:5], v[4:5], 0, v[20:21]
	v_or_b32_sdwa v6, v12, v6 dst_sel:DWORD dst_unused:UNUSED_PAD src0_sel:DWORD src1_sel:BYTE_1
	global_load_dword v12, v[4:5], off offset:128
	v_and_b32_sdwa v7, v9, s17 dst_sel:DWORD dst_unused:UNUSED_PAD src0_sel:WORD_1 src1_sel:DWORD
	v_lshlrev_b16_sdwa v9, v205, v9 dst_sel:DWORD dst_unused:UNUSED_PAD src0_sel:DWORD src1_sel:WORD_1
	v_add_u16_e32 v4, 0xe000, v9
	v_or_b32_sdwa v4, v7, v4 dst_sel:DWORD dst_unused:UNUSED_PAD src0_sel:DWORD src1_sel:BYTE_1
	v_add_u16_e32 v6, 0xe000, v6
	v_add_u16_sdwa v4, v4, s18 dst_sel:WORD_1 dst_unused:UNUSED_PAD src0_sel:DWORD src1_sel:DWORD
	s_nop 0
	v_or_b32_e32 v4, v6, v4
	ds_write2_b32 v144, v8, v4 offset1:16
	v_mad_u64_u32 v[4:5], s[20:21], v36, s5, v[2:3]
	v_lshl_add_u64 v[6:7], v[4:5], 0, v[18:19]
	v_lshl_add_u64 v[4:5], v[4:5], 0, v[20:21]
	global_load_dword v8, v[6:7], off
	global_load_dword v9, v[4:5], off offset:128
	s_waitcnt vmcnt(7)
	v_and_b32_e32 v4, 0xf0f0f0f, v10
	v_lshrrev_b32_e32 v5, 4, v10
	s_waitcnt vmcnt(6)
	v_ashrrev_i32_e32 v6, v139, v11
	v_lshlrev_b32_e32 v7, 4, v6
	v_and_or_b32 v4, v7, s16, v4
	v_lshlrev_b16_e32 v10, 8, v4
	v_and_b32_e32 v7, 0x3f00, v4
	v_add_u16_e32 v10, 0xe000, v10
	v_or_b32_sdwa v7, v7, v10 dst_sel:DWORD dst_unused:UNUSED_PAD src0_sel:DWORD src1_sel:BYTE_1
	v_and_b32_sdwa v10, v4, s17 dst_sel:DWORD dst_unused:UNUSED_PAD src0_sel:WORD_1 src1_sel:DWORD
	v_lshlrev_b16_sdwa v4, v205, v4 dst_sel:DWORD dst_unused:UNUSED_PAD src0_sel:DWORD src1_sel:WORD_1
	v_add_u16_e32 v4, 0xe000, v4
	v_and_b32_e32 v6, 0x30303030, v6
	v_or_b32_sdwa v4, v10, v4 dst_sel:DWORD dst_unused:UNUSED_PAD src0_sel:DWORD src1_sel:BYTE_1
	v_add_u16_e32 v7, 0xe000, v7
	v_add_u16_sdwa v4, v4, s18 dst_sel:WORD_1 dst_unused:UNUSED_PAD src0_sel:DWORD src1_sel:DWORD
	v_and_or_b32 v5, v5, s15, v6
	v_or_b32_e32 v4, v7, v4
	v_lshlrev_b16_e32 v7, 8, v5
	v_and_b32_e32 v6, 0x3f00, v5
	v_add_u16_e32 v7, 0xe000, v7
	v_or_b32_sdwa v6, v6, v7 dst_sel:DWORD dst_unused:UNUSED_PAD src0_sel:DWORD src1_sel:BYTE_1
	v_and_b32_sdwa v7, v5, s17 dst_sel:DWORD dst_unused:UNUSED_PAD src0_sel:WORD_1 src1_sel:DWORD
	v_lshlrev_b16_sdwa v5, v205, v5 dst_sel:DWORD dst_unused:UNUSED_PAD src0_sel:DWORD src1_sel:WORD_1
	v_add_u16_e32 v5, 0xe000, v5
	v_or_b32_sdwa v5, v7, v5 dst_sel:DWORD dst_unused:UNUSED_PAD src0_sel:DWORD src1_sel:BYTE_1
	v_add_u16_e32 v6, 0xe000, v6
	v_add_u16_sdwa v5, v5, s18 dst_sel:WORD_1 dst_unused:UNUSED_PAD src0_sel:DWORD src1_sel:DWORD
	s_nop 0
	v_or_b32_e32 v5, v6, v5
	ds_write2_b32 v146, v4, v5 offset1:16
	s_waitcnt vmcnt(5)
	v_and_b32_e32 v4, 0xf0f0f0f, v66
	s_waitcnt vmcnt(4)
	v_ashrrev_i32_e32 v6, v139, v67
	v_lshlrev_b32_e32 v7, 4, v6
	v_and_or_b32 v4, v7, s16, v4
	v_lshlrev_b16_e32 v10, 8, v4
	v_and_b32_e32 v7, 0x3f00, v4
	v_add_u16_e32 v10, 0xe000, v10
	v_or_b32_sdwa v7, v7, v10 dst_sel:DWORD dst_unused:UNUSED_PAD src0_sel:DWORD src1_sel:BYTE_1
	v_and_b32_sdwa v10, v4, s17 dst_sel:DWORD dst_unused:UNUSED_PAD src0_sel:WORD_1 src1_sel:DWORD
	v_lshlrev_b16_sdwa v4, v205, v4 dst_sel:DWORD dst_unused:UNUSED_PAD src0_sel:DWORD src1_sel:WORD_1
	v_add_u16_e32 v4, 0xe000, v4
	v_lshrrev_b32_e32 v5, 4, v66
	v_and_b32_e32 v6, 0x30303030, v6
	v_or_b32_sdwa v4, v10, v4 dst_sel:DWORD dst_unused:UNUSED_PAD src0_sel:DWORD src1_sel:BYTE_1
	v_add_u16_e32 v7, 0xe000, v7
	v_add_u16_sdwa v4, v4, s18 dst_sel:WORD_1 dst_unused:UNUSED_PAD src0_sel:DWORD src1_sel:DWORD
	v_and_or_b32 v5, v5, s15, v6
	v_or_b32_e32 v4, v7, v4
	v_lshlrev_b16_e32 v7, 8, v5
	v_and_b32_e32 v6, 0x3f00, v5
	v_add_u16_e32 v7, 0xe000, v7
	v_or_b32_sdwa v6, v6, v7 dst_sel:DWORD dst_unused:UNUSED_PAD src0_sel:DWORD src1_sel:BYTE_1
	v_and_b32_sdwa v7, v5, s17 dst_sel:DWORD dst_unused:UNUSED_PAD src0_sel:WORD_1 src1_sel:DWORD
	v_lshlrev_b16_sdwa v5, v205, v5 dst_sel:DWORD dst_unused:UNUSED_PAD src0_sel:DWORD src1_sel:WORD_1
	v_add_u16_e32 v5, 0xe000, v5
	v_or_b32_sdwa v5, v7, v5 dst_sel:DWORD dst_unused:UNUSED_PAD src0_sel:DWORD src1_sel:BYTE_1
	v_add_u16_e32 v6, 0xe000, v6
	v_add_u16_sdwa v5, v5, s18 dst_sel:WORD_1 dst_unused:UNUSED_PAD src0_sel:DWORD src1_sel:DWORD
	s_waitcnt vmcnt(3)
	v_and_b32_e32 v10, 0xf0f0f0f, v13
	v_or_b32_e32 v5, v6, v5
	ds_write2_b32 v147, v4, v5 offset1:16
	v_mad_u64_u32 v[4:5], s[20:21], v38, s5, v[2:3]
	v_lshl_add_u64 v[6:7], v[4:5], 0, v[18:19]
	v_lshl_add_u64 v[4:5], v[4:5], 0, v[20:21]
	global_load_dword v11, v[6:7], off
	global_load_dword v14, v[4:5], off offset:128
	s_waitcnt vmcnt(4)
	v_ashrrev_i32_e32 v5, v139, v12
	v_lshlrev_b32_e32 v6, 4, v5
	v_and_or_b32 v6, v6, s16, v10
	v_lshlrev_b16_e32 v10, 8, v6
	v_and_b32_e32 v7, 0x3f00, v6
	v_add_u16_e32 v10, 0xe000, v10
	v_or_b32_sdwa v7, v7, v10 dst_sel:DWORD dst_unused:UNUSED_PAD src0_sel:DWORD src1_sel:BYTE_1
	v_and_b32_sdwa v10, v6, s17 dst_sel:DWORD dst_unused:UNUSED_PAD src0_sel:WORD_1 src1_sel:DWORD
	v_lshlrev_b16_sdwa v6, v205, v6 dst_sel:DWORD dst_unused:UNUSED_PAD src0_sel:DWORD src1_sel:WORD_1
	v_add_u16_e32 v6, 0xe000, v6
	v_lshrrev_b32_e32 v4, 4, v13
	v_and_b32_e32 v5, 0x30303030, v5
	v_or_b32_sdwa v6, v10, v6 dst_sel:DWORD dst_unused:UNUSED_PAD src0_sel:DWORD src1_sel:BYTE_1
	v_add_u16_e32 v7, 0xe000, v7
	v_add_u16_sdwa v6, v6, s18 dst_sel:WORD_1 dst_unused:UNUSED_PAD src0_sel:DWORD src1_sel:DWORD
	v_and_or_b32 v4, v4, s15, v5
	v_or_b32_e32 v10, v7, v6
	v_lshlrev_b16_e32 v6, 8, v4
	v_and_b32_e32 v5, 0x3f00, v4
	v_add_u16_e32 v6, 0xe000, v6
	v_or_b32_sdwa v5, v5, v6 dst_sel:DWORD dst_unused:UNUSED_PAD src0_sel:DWORD src1_sel:BYTE_1
	v_add_u16_e32 v12, 0xe000, v5
	v_and_b32_sdwa v13, v4, s17 dst_sel:DWORD dst_unused:UNUSED_PAD src0_sel:WORD_1 src1_sel:DWORD
	v_lshlrev_b16_sdwa v15, v205, v4 dst_sel:DWORD dst_unused:UNUSED_PAD src0_sel:DWORD src1_sel:WORD_1
	v_mad_u64_u32 v[4:5], s[20:21], v40, s5, v[2:3]
	v_lshl_add_u64 v[6:7], v[4:5], 0, v[18:19]
	v_lshl_add_u64 v[4:5], v[4:5], 0, v[20:21]
	global_load_dword v66, v[6:7], off
	global_load_dword v67, v[4:5], off offset:128
	v_add_u16_e32 v4, 0xe000, v15
	v_or_b32_sdwa v4, v13, v4 dst_sel:DWORD dst_unused:UNUSED_PAD src0_sel:DWORD src1_sel:BYTE_1
	v_add_u16_sdwa v4, v4, s18 dst_sel:WORD_1 dst_unused:UNUSED_PAD src0_sel:DWORD src1_sel:DWORD
	s_waitcnt vmcnt(4)
	v_ashrrev_i32_e32 v6, v139, v9
	v_or_b32_e32 v4, v12, v4
	ds_write2_b32 v148, v10, v4 offset1:16
	v_and_b32_e32 v4, 0xf0f0f0f, v8
	v_lshlrev_b32_e32 v7, 4, v6
	v_and_or_b32 v4, v7, s16, v4
	v_lshrrev_b32_e32 v5, 4, v8
	v_lshlrev_b16_e32 v8, 8, v4
	v_and_b32_e32 v7, 0x3f00, v4
	v_add_u16_e32 v8, 0xe000, v8
	v_or_b32_sdwa v7, v7, v8 dst_sel:DWORD dst_unused:UNUSED_PAD src0_sel:DWORD src1_sel:BYTE_1
	v_and_b32_sdwa v8, v4, s17 dst_sel:DWORD dst_unused:UNUSED_PAD src0_sel:WORD_1 src1_sel:DWORD
	v_lshlrev_b16_sdwa v4, v205, v4 dst_sel:DWORD dst_unused:UNUSED_PAD src0_sel:DWORD src1_sel:WORD_1
	v_add_u16_e32 v4, 0xe000, v4
	v_or_b32_sdwa v4, v8, v4 dst_sel:DWORD dst_unused:UNUSED_PAD src0_sel:DWORD src1_sel:BYTE_1
	v_and_b32_e32 v6, 0x30303030, v6
	v_add_u16_e32 v7, 0xe000, v7
	v_add_u16_sdwa v4, v4, s18 dst_sel:WORD_1 dst_unused:UNUSED_PAD src0_sel:DWORD src1_sel:DWORD
	v_and_or_b32 v9, v5, s15, v6
	v_or_b32_e32 v8, v7, v4
	v_mad_u64_u32 v[4:5], s[20:21], v42, s5, v[2:3]
	v_lshl_add_u64 v[6:7], v[4:5], 0, v[18:19]
	global_load_dword v12, v[6:7], off
	v_lshlrev_b16_e32 v6, 8, v9
	v_and_b32_e32 v10, 0x3f00, v9
	v_add_u16_e32 v6, 0xe000, v6
	v_lshl_add_u64 v[4:5], v[4:5], 0, v[20:21]
	v_or_b32_sdwa v6, v10, v6 dst_sel:DWORD dst_unused:UNUSED_PAD src0_sel:DWORD src1_sel:BYTE_1
	global_load_dword v10, v[4:5], off offset:128
	v_and_b32_sdwa v7, v9, s17 dst_sel:DWORD dst_unused:UNUSED_PAD src0_sel:WORD_1 src1_sel:DWORD
	v_lshlrev_b16_sdwa v9, v205, v9 dst_sel:DWORD dst_unused:UNUSED_PAD src0_sel:DWORD src1_sel:WORD_1
	v_add_u16_e32 v4, 0xe000, v9
	v_or_b32_sdwa v4, v7, v4 dst_sel:DWORD dst_unused:UNUSED_PAD src0_sel:DWORD src1_sel:BYTE_1
	v_add_u16_e32 v6, 0xe000, v6
	v_add_u16_sdwa v4, v4, s18 dst_sel:WORD_1 dst_unused:UNUSED_PAD src0_sel:DWORD src1_sel:DWORD
	s_nop 0
	v_or_b32_e32 v4, v6, v4
	ds_write2_b32 v149, v8, v4 offset1:16
	v_mad_u64_u32 v[4:5], s[20:21], v44, s5, v[2:3]
	v_lshl_add_u64 v[6:7], v[4:5], 0, v[18:19]
	v_lshl_add_u64 v[4:5], v[4:5], 0, v[20:21]
	global_load_dword v8, v[6:7], off
	global_load_dword v9, v[4:5], off offset:128
	s_waitcnt vmcnt(7)
	v_and_b32_e32 v4, 0xf0f0f0f, v11
	s_waitcnt vmcnt(6)
	v_ashrrev_i32_e32 v6, v139, v14
	v_lshlrev_b32_e32 v7, 4, v6
	v_and_or_b32 v4, v7, s16, v4
	v_lshrrev_b32_e32 v5, 4, v11
	v_lshlrev_b16_e32 v11, 8, v4
	v_and_b32_e32 v7, 0x3f00, v4
	v_add_u16_e32 v11, 0xe000, v11
	v_or_b32_sdwa v7, v7, v11 dst_sel:DWORD dst_unused:UNUSED_PAD src0_sel:DWORD src1_sel:BYTE_1
	v_and_b32_sdwa v11, v4, s17 dst_sel:DWORD dst_unused:UNUSED_PAD src0_sel:WORD_1 src1_sel:DWORD
	v_lshlrev_b16_sdwa v4, v205, v4 dst_sel:DWORD dst_unused:UNUSED_PAD src0_sel:DWORD src1_sel:WORD_1
	v_add_u16_e32 v4, 0xe000, v4
	v_and_b32_e32 v6, 0x30303030, v6
	v_or_b32_sdwa v4, v11, v4 dst_sel:DWORD dst_unused:UNUSED_PAD src0_sel:DWORD src1_sel:BYTE_1
	v_add_u16_e32 v7, 0xe000, v7
	v_add_u16_sdwa v4, v4, s18 dst_sel:WORD_1 dst_unused:UNUSED_PAD src0_sel:DWORD src1_sel:DWORD
	v_and_or_b32 v5, v5, s15, v6
	v_or_b32_e32 v4, v7, v4
	v_lshlrev_b16_e32 v7, 8, v5
	v_and_b32_e32 v6, 0x3f00, v5
	v_add_u16_e32 v7, 0xe000, v7
	v_or_b32_sdwa v6, v6, v7 dst_sel:DWORD dst_unused:UNUSED_PAD src0_sel:DWORD src1_sel:BYTE_1
	v_and_b32_sdwa v7, v5, s17 dst_sel:DWORD dst_unused:UNUSED_PAD src0_sel:WORD_1 src1_sel:DWORD
	v_lshlrev_b16_sdwa v5, v205, v5 dst_sel:DWORD dst_unused:UNUSED_PAD src0_sel:DWORD src1_sel:WORD_1
	v_add_u16_e32 v5, 0xe000, v5
	v_or_b32_sdwa v5, v7, v5 dst_sel:DWORD dst_unused:UNUSED_PAD src0_sel:DWORD src1_sel:BYTE_1
	v_add_u16_e32 v6, 0xe000, v6
	v_add_u16_sdwa v5, v5, s18 dst_sel:WORD_1 dst_unused:UNUSED_PAD src0_sel:DWORD src1_sel:DWORD
	s_nop 0
	v_or_b32_e32 v5, v6, v5
	ds_write2_b32 v150, v4, v5 offset1:16
	s_waitcnt vmcnt(4)
	v_ashrrev_i32_e32 v6, v139, v67
	v_and_b32_e32 v4, 0xf0f0f0f, v66
	v_lshlrev_b32_e32 v7, 4, v6
	v_and_or_b32 v4, v7, s16, v4
	v_lshlrev_b16_e32 v11, 8, v4
	v_and_b32_e32 v7, 0x3f00, v4
	v_add_u16_e32 v11, 0xe000, v11
	v_or_b32_sdwa v7, v7, v11 dst_sel:DWORD dst_unused:UNUSED_PAD src0_sel:DWORD src1_sel:BYTE_1
	v_and_b32_sdwa v11, v4, s17 dst_sel:DWORD dst_unused:UNUSED_PAD src0_sel:WORD_1 src1_sel:DWORD
	v_lshlrev_b16_sdwa v4, v205, v4 dst_sel:DWORD dst_unused:UNUSED_PAD src0_sel:DWORD src1_sel:WORD_1
	v_add_u16_e32 v4, 0xe000, v4
	v_lshrrev_b32_e32 v5, 4, v66
	v_and_b32_e32 v6, 0x30303030, v6
	v_or_b32_sdwa v4, v11, v4 dst_sel:DWORD dst_unused:UNUSED_PAD src0_sel:DWORD src1_sel:BYTE_1
	v_add_u16_e32 v7, 0xe000, v7
	v_add_u16_sdwa v4, v4, s18 dst_sel:WORD_1 dst_unused:UNUSED_PAD src0_sel:DWORD src1_sel:DWORD
	v_and_or_b32 v5, v5, s15, v6
	v_or_b32_e32 v4, v7, v4
	v_lshlrev_b16_e32 v7, 8, v5
	v_and_b32_e32 v6, 0x3f00, v5
	v_add_u16_e32 v7, 0xe000, v7
	v_or_b32_sdwa v6, v6, v7 dst_sel:DWORD dst_unused:UNUSED_PAD src0_sel:DWORD src1_sel:BYTE_1
	v_and_b32_sdwa v7, v5, s17 dst_sel:DWORD dst_unused:UNUSED_PAD src0_sel:WORD_1 src1_sel:DWORD
	v_lshlrev_b16_sdwa v5, v205, v5 dst_sel:DWORD dst_unused:UNUSED_PAD src0_sel:DWORD src1_sel:WORD_1
	v_add_u16_e32 v5, 0xe000, v5
	v_or_b32_sdwa v5, v7, v5 dst_sel:DWORD dst_unused:UNUSED_PAD src0_sel:DWORD src1_sel:BYTE_1
	v_add_u16_e32 v6, 0xe000, v6
	v_add_u16_sdwa v5, v5, s18 dst_sel:WORD_1 dst_unused:UNUSED_PAD src0_sel:DWORD src1_sel:DWORD
	s_waitcnt vmcnt(3)
	v_and_b32_e32 v11, 0xf0f0f0f, v12
	v_or_b32_e32 v5, v6, v5
	ds_write2_b32 v152, v4, v5 offset1:16
	v_mad_u64_u32 v[4:5], s[20:21], v46, s5, v[2:3]
	v_lshl_add_u64 v[6:7], v[4:5], 0, v[18:19]
	v_lshl_add_u64 v[4:5], v[4:5], 0, v[20:21]
	global_load_dword v13, v[6:7], off
	global_load_dword v14, v[4:5], off offset:128
	s_waitcnt vmcnt(4)
	v_ashrrev_i32_e32 v5, v139, v10
	v_lshlrev_b32_e32 v6, 4, v5
	v_and_or_b32 v6, v6, s16, v11
	v_lshlrev_b16_e32 v10, 8, v6
	v_and_b32_e32 v7, 0x3f00, v6
	v_add_u16_e32 v10, 0xe000, v10
	v_or_b32_sdwa v7, v7, v10 dst_sel:DWORD dst_unused:UNUSED_PAD src0_sel:DWORD src1_sel:BYTE_1
	v_and_b32_sdwa v10, v6, s17 dst_sel:DWORD dst_unused:UNUSED_PAD src0_sel:WORD_1 src1_sel:DWORD
	v_lshlrev_b16_sdwa v6, v205, v6 dst_sel:DWORD dst_unused:UNUSED_PAD src0_sel:DWORD src1_sel:WORD_1
	v_add_u16_e32 v6, 0xe000, v6
	v_lshrrev_b32_e32 v4, 4, v12
	v_and_b32_e32 v5, 0x30303030, v5
	v_or_b32_sdwa v6, v10, v6 dst_sel:DWORD dst_unused:UNUSED_PAD src0_sel:DWORD src1_sel:BYTE_1
	v_add_u16_e32 v7, 0xe000, v7
	v_add_u16_sdwa v6, v6, s18 dst_sel:WORD_1 dst_unused:UNUSED_PAD src0_sel:DWORD src1_sel:DWORD
	v_and_or_b32 v4, v4, s15, v5
	v_or_b32_e32 v10, v7, v6
	v_lshlrev_b16_e32 v6, 8, v4
	v_and_b32_e32 v5, 0x3f00, v4
	v_add_u16_e32 v6, 0xe000, v6
	v_or_b32_sdwa v5, v5, v6 dst_sel:DWORD dst_unused:UNUSED_PAD src0_sel:DWORD src1_sel:BYTE_1
	v_add_u16_e32 v11, 0xe000, v5
	v_and_b32_sdwa v12, v4, s17 dst_sel:DWORD dst_unused:UNUSED_PAD src0_sel:WORD_1 src1_sel:DWORD
	v_lshlrev_b16_sdwa v15, v205, v4 dst_sel:DWORD dst_unused:UNUSED_PAD src0_sel:DWORD src1_sel:WORD_1
	v_mad_u64_u32 v[4:5], s[20:21], v48, s5, v[2:3]
	v_lshl_add_u64 v[6:7], v[4:5], 0, v[18:19]
	v_lshl_add_u64 v[4:5], v[4:5], 0, v[20:21]
	global_load_dword v66, v[6:7], off
	global_load_dword v67, v[4:5], off offset:128
	v_add_u16_e32 v4, 0xe000, v15
	v_or_b32_sdwa v4, v12, v4 dst_sel:DWORD dst_unused:UNUSED_PAD src0_sel:DWORD src1_sel:BYTE_1
	v_add_u16_sdwa v4, v4, s18 dst_sel:WORD_1 dst_unused:UNUSED_PAD src0_sel:DWORD src1_sel:DWORD
	s_waitcnt vmcnt(4)
	v_ashrrev_i32_e32 v6, v139, v9
	v_or_b32_e32 v4, v11, v4
	ds_write2_b32 v153, v10, v4 offset1:16
	v_and_b32_e32 v4, 0xf0f0f0f, v8
	v_lshlrev_b32_e32 v7, 4, v6
	v_and_or_b32 v4, v7, s16, v4
	v_lshrrev_b32_e32 v5, 4, v8
	v_lshlrev_b16_e32 v8, 8, v4
	v_and_b32_e32 v7, 0x3f00, v4
	v_add_u16_e32 v8, 0xe000, v8
	v_or_b32_sdwa v7, v7, v8 dst_sel:DWORD dst_unused:UNUSED_PAD src0_sel:DWORD src1_sel:BYTE_1
	v_and_b32_sdwa v8, v4, s17 dst_sel:DWORD dst_unused:UNUSED_PAD src0_sel:WORD_1 src1_sel:DWORD
	v_lshlrev_b16_sdwa v4, v205, v4 dst_sel:DWORD dst_unused:UNUSED_PAD src0_sel:DWORD src1_sel:WORD_1
	v_add_u16_e32 v4, 0xe000, v4
	v_and_b32_e32 v6, 0x30303030, v6
	v_or_b32_sdwa v4, v8, v4 dst_sel:DWORD dst_unused:UNUSED_PAD src0_sel:DWORD src1_sel:BYTE_1
	v_add_u16_e32 v7, 0xe000, v7
	v_add_u16_sdwa v4, v4, s18 dst_sel:WORD_1 dst_unused:UNUSED_PAD src0_sel:DWORD src1_sel:DWORD
	v_and_or_b32 v5, v5, s15, v6
	v_or_b32_e32 v4, v7, v4
	v_lshlrev_b16_e32 v7, 8, v5
	v_and_b32_e32 v6, 0x3f00, v5
	v_add_u16_e32 v7, 0xe000, v7
	v_or_b32_sdwa v6, v6, v7 dst_sel:DWORD dst_unused:UNUSED_PAD src0_sel:DWORD src1_sel:BYTE_1
	v_and_b32_sdwa v7, v5, s17 dst_sel:DWORD dst_unused:UNUSED_PAD src0_sel:WORD_1 src1_sel:DWORD
	v_lshlrev_b16_sdwa v5, v205, v5 dst_sel:DWORD dst_unused:UNUSED_PAD src0_sel:DWORD src1_sel:WORD_1
	v_add_u16_e32 v5, 0xe000, v5
	v_or_b32_sdwa v5, v7, v5 dst_sel:DWORD dst_unused:UNUSED_PAD src0_sel:DWORD src1_sel:BYTE_1
	v_add_u16_e32 v6, 0xe000, v6
	v_add_u16_sdwa v5, v5, s18 dst_sel:WORD_1 dst_unused:UNUSED_PAD src0_sel:DWORD src1_sel:DWORD
	s_nop 0
	v_or_b32_e32 v5, v6, v5
	ds_write2_b32 v154, v4, v5 offset1:16
	v_mad_u64_u32 v[4:5], s[20:21], v50, s5, v[2:3]
	v_lshl_add_u64 v[6:7], v[4:5], 0, v[18:19]
	v_lshl_add_u64 v[4:5], v[4:5], 0, v[20:21]
	v_mad_u64_u32 v[2:3], s[20:21], v52, s5, v[2:3]
	v_lshl_add_u64 v[8:9], v[2:3], 0, v[18:19]
	v_lshl_add_u64 v[2:3], v[2:3], 0, v[20:21]
	global_load_dword v68, v[6:7], off
	global_load_dword v69, v[4:5], off offset:128
	global_load_dword v70, v[8:9], off
	global_load_dword v71, v[2:3], off offset:128
	s_mov_b32 s21, 0
	s_waitcnt vmcnt(7)
	v_and_b32_e32 v2, 0xf0f0f0f, v13
	s_waitcnt vmcnt(6)
	v_ashrrev_i32_e32 v4, v139, v14
	v_lshlrev_b32_e32 v5, 4, v4
	v_and_or_b32 v2, v5, s16, v2
	v_lshlrev_b16_e32 v6, 8, v2
	v_and_b32_e32 v5, 0x3f00, v2
	v_add_u16_e32 v6, 0xe000, v6
	v_or_b32_sdwa v5, v5, v6 dst_sel:DWORD dst_unused:UNUSED_PAD src0_sel:DWORD src1_sel:BYTE_1
	v_and_b32_sdwa v6, v2, s17 dst_sel:DWORD dst_unused:UNUSED_PAD src0_sel:WORD_1 src1_sel:DWORD
	v_lshlrev_b16_sdwa v2, v205, v2 dst_sel:DWORD dst_unused:UNUSED_PAD src0_sel:DWORD src1_sel:WORD_1
	v_add_u16_e32 v2, 0xe000, v2
	v_lshrrev_b32_e32 v3, 4, v13
	v_and_b32_e32 v4, 0x30303030, v4
	v_or_b32_sdwa v2, v6, v2 dst_sel:DWORD dst_unused:UNUSED_PAD src0_sel:DWORD src1_sel:BYTE_1
	v_add_u16_e32 v5, 0xe000, v5
	v_add_u16_sdwa v2, v2, s18 dst_sel:WORD_1 dst_unused:UNUSED_PAD src0_sel:DWORD src1_sel:DWORD
	v_and_or_b32 v3, v3, s15, v4
	v_or_b32_e32 v2, v5, v2
	v_lshlrev_b16_e32 v5, 8, v3
	v_and_b32_e32 v4, 0x3f00, v3
	v_add_u16_e32 v5, 0xe000, v5
	v_or_b32_sdwa v4, v4, v5 dst_sel:DWORD dst_unused:UNUSED_PAD src0_sel:DWORD src1_sel:BYTE_1
	v_and_b32_sdwa v5, v3, s17 dst_sel:DWORD dst_unused:UNUSED_PAD src0_sel:WORD_1 src1_sel:DWORD
	v_lshlrev_b16_sdwa v3, v205, v3 dst_sel:DWORD dst_unused:UNUSED_PAD src0_sel:DWORD src1_sel:WORD_1
	v_add_u16_e32 v3, 0xe000, v3
	v_or_b32_sdwa v3, v5, v3 dst_sel:DWORD dst_unused:UNUSED_PAD src0_sel:DWORD src1_sel:BYTE_1
	v_add_u16_e32 v4, 0xe000, v4
	v_add_u16_sdwa v3, v3, s18 dst_sel:WORD_1 dst_unused:UNUSED_PAD src0_sel:DWORD src1_sel:DWORD
	v_add_u32_e32 v14, s19, v167
	v_or_b32_e32 v3, v4, v3
	ds_write2_b32 v155, v2, v3 offset1:16
	s_waitcnt vmcnt(4)
	v_ashrrev_i32_e32 v4, v139, v67
	v_and_b32_e32 v2, 0xf0f0f0f, v66
	v_lshlrev_b32_e32 v5, 4, v4
	v_and_or_b32 v2, v5, s16, v2
	v_lshlrev_b16_e32 v6, 8, v2
	v_and_b32_e32 v5, 0x3f00, v2
	v_add_u16_e32 v6, 0xe000, v6
	v_or_b32_sdwa v5, v5, v6 dst_sel:DWORD dst_unused:UNUSED_PAD src0_sel:DWORD src1_sel:BYTE_1
	v_and_b32_sdwa v6, v2, s17 dst_sel:DWORD dst_unused:UNUSED_PAD src0_sel:WORD_1 src1_sel:DWORD
	v_lshlrev_b16_sdwa v2, v205, v2 dst_sel:DWORD dst_unused:UNUSED_PAD src0_sel:DWORD src1_sel:WORD_1
	v_lshrrev_b32_e32 v3, 4, v66
	v_and_b32_e32 v4, 0x30303030, v4
	v_add_u16_e32 v2, 0xe000, v2
	v_or_b32_sdwa v2, v6, v2 dst_sel:DWORD dst_unused:UNUSED_PAD src0_sel:DWORD src1_sel:BYTE_1
	v_and_or_b32 v73, v3, s15, v4
	v_add_u16_e32 v5, 0xe000, v5
	v_add_u16_sdwa v2, v2, s18 dst_sel:WORD_1 dst_unused:UNUSED_PAD src0_sel:DWORD src1_sel:DWORD
	v_lshlrev_b16_e32 v3, 8, v73
	v_or_b32_e32 v72, v5, v2
	v_and_b32_e32 v2, 0x3f00, v73
	v_add_u16_e32 v3, 0xe000, v3
	v_or_b32_sdwa v2, v2, v3 dst_sel:DWORD dst_unused:UNUSED_PAD src0_sel:DWORD src1_sel:BYTE_1
	v_add_u16_e32 v74, 0xe000, v2
	v_lshl_add_u64 v[2:3], s[0:1], 0, v[56:57]
	v_mad_u64_u32 v[4:5], s[0:1], v58, s5, v[2:3]
	v_mad_u64_u32 v[2:3], s[0:1], v60, s5, v[2:3]
	global_load_ushort v75, v[0:1], off offset:208
	global_load_dword v76, v[4:5], off offset:192
	global_load_dword v77, v[2:3], off offset:192
	v_add_u32_e32 v0, v14, v168
	v_add_u32_e32 v2, v14, v171
	;; [unrolled: 1-line block ×5, first 2 shown]
	v_mad_i64_i32 v[0:1], s[0:1], v0, 36, v[62:63]
	v_mad_i64_i32 v[2:3], s[0:1], v2, 36, v[62:63]
	;; [unrolled: 1-line block ×5, first 2 shown]
	v_add_u32_e32 v10, v14, v183
	v_add_u32_e32 v12, v14, v186
	;; [unrolled: 1-line block ×3, first 2 shown]
	v_mad_i64_i32 v[10:11], s[0:1], v10, 36, v[62:63]
	v_mad_i64_i32 v[12:13], s[0:1], v12, 36, v[62:63]
	;; [unrolled: 1-line block ×3, first 2 shown]
	v_mad_u64_u32 v[66:67], s[0:1], v206, 36, s[2:3]
	global_load_dword v0, v[0:1], off offset:4
	s_nop 0
	global_load_dword v1, v[2:3], off offset:4
	s_nop 0
	global_load_dword v2, v[4:5], off offset:4
	global_load_dword v3, v[6:7], off offset:4
	s_nop 0
	global_load_dword v4, v[8:9], off offset:4
	global_load_dword v5, v[66:67], off
	global_load_dword v6, v[10:11], off offset:4
	global_load_dword v7, v[12:13], off offset:4
	s_nop 0
	global_load_dword v8, v[14:15], off offset:4
	v_lshlrev_b16_sdwa v10, v205, v73 dst_sel:DWORD dst_unused:UNUSED_PAD src0_sel:DWORD src1_sel:WORD_1
	v_and_b32_sdwa v9, v73, s17 dst_sel:DWORD dst_unused:UNUSED_PAD src0_sel:WORD_1 src1_sel:DWORD
	v_add_u16_e32 v10, 0xe000, v10
	v_or_b32_sdwa v9, v9, v10 dst_sel:DWORD dst_unused:UNUSED_PAD src0_sel:DWORD src1_sel:BYTE_1
	v_add_u16_sdwa v9, v9, s18 dst_sel:WORD_1 dst_unused:UNUSED_PAD src0_sel:DWORD src1_sel:DWORD
	s_waitcnt vmcnt(14)
	v_ashrrev_i32_e32 v11, v139, v69
	v_or_b32_e32 v9, v74, v9
	ds_write2_b32 v156, v72, v9 offset1:16
	v_and_b32_e32 v9, 0xf0f0f0f, v68
	v_lshlrev_b32_e32 v12, 4, v11
	v_and_or_b32 v9, v12, s16, v9
	v_lshlrev_b16_e32 v13, 8, v9
	v_and_b32_e32 v12, 0x3f00, v9
	v_add_u16_e32 v13, 0xe000, v13
	v_or_b32_sdwa v12, v12, v13 dst_sel:DWORD dst_unused:UNUSED_PAD src0_sel:DWORD src1_sel:BYTE_1
	v_and_b32_sdwa v13, v9, s17 dst_sel:DWORD dst_unused:UNUSED_PAD src0_sel:WORD_1 src1_sel:DWORD
	v_lshlrev_b16_sdwa v9, v205, v9 dst_sel:DWORD dst_unused:UNUSED_PAD src0_sel:DWORD src1_sel:WORD_1
	v_add_u16_e32 v9, 0xe000, v9
	v_lshrrev_b32_e32 v10, 4, v68
	v_and_b32_e32 v11, 0x30303030, v11
	v_or_b32_sdwa v9, v13, v9 dst_sel:DWORD dst_unused:UNUSED_PAD src0_sel:DWORD src1_sel:BYTE_1
	v_add_u16_e32 v12, 0xe000, v12
	v_add_u16_sdwa v9, v9, s18 dst_sel:WORD_1 dst_unused:UNUSED_PAD src0_sel:DWORD src1_sel:DWORD
	v_and_or_b32 v10, v10, s15, v11
	v_or_b32_e32 v9, v12, v9
	v_lshlrev_b16_e32 v12, 8, v10
	v_and_b32_e32 v11, 0x3f00, v10
	v_add_u16_e32 v12, 0xe000, v12
	v_or_b32_sdwa v11, v11, v12 dst_sel:DWORD dst_unused:UNUSED_PAD src0_sel:DWORD src1_sel:BYTE_1
	v_and_b32_sdwa v12, v10, s17 dst_sel:DWORD dst_unused:UNUSED_PAD src0_sel:WORD_1 src1_sel:DWORD
	v_lshlrev_b16_sdwa v10, v205, v10 dst_sel:DWORD dst_unused:UNUSED_PAD src0_sel:DWORD src1_sel:WORD_1
	v_add_u16_e32 v10, 0xe000, v10
	v_or_b32_sdwa v10, v12, v10 dst_sel:DWORD dst_unused:UNUSED_PAD src0_sel:DWORD src1_sel:BYTE_1
	v_add_u16_e32 v11, 0xe000, v11
	v_add_u16_sdwa v10, v10, s18 dst_sel:WORD_1 dst_unused:UNUSED_PAD src0_sel:DWORD src1_sel:DWORD
	s_mov_b64 s[0:1], -1
	v_or_b32_e32 v10, v11, v10
	s_waitcnt vmcnt(12)
	v_ashrrev_i32_e32 v11, v139, v71
	ds_write2_b32 v157, v9, v10 offset1:16
	v_and_b32_e32 v9, 0xf0f0f0f, v70
	v_lshlrev_b32_e32 v12, 4, v11
	v_and_or_b32 v9, v12, s16, v9
	v_lshlrev_b16_e32 v13, 8, v9
	v_and_b32_e32 v12, 0x3f00, v9
	v_add_u16_e32 v13, 0xe000, v13
	v_or_b32_sdwa v12, v12, v13 dst_sel:DWORD dst_unused:UNUSED_PAD src0_sel:DWORD src1_sel:BYTE_1
	v_and_b32_sdwa v13, v9, s17 dst_sel:DWORD dst_unused:UNUSED_PAD src0_sel:WORD_1 src1_sel:DWORD
	v_lshlrev_b16_sdwa v9, v205, v9 dst_sel:DWORD dst_unused:UNUSED_PAD src0_sel:DWORD src1_sel:WORD_1
	v_add_u16_e32 v9, 0xe000, v9
	v_lshrrev_b32_e32 v10, 4, v70
	v_and_b32_e32 v11, 0x30303030, v11
	v_or_b32_sdwa v9, v13, v9 dst_sel:DWORD dst_unused:UNUSED_PAD src0_sel:DWORD src1_sel:BYTE_1
	v_add_u16_e32 v12, 0xe000, v12
	v_add_u16_sdwa v9, v9, s18 dst_sel:WORD_1 dst_unused:UNUSED_PAD src0_sel:DWORD src1_sel:DWORD
	v_and_or_b32 v10, v10, s15, v11
	v_or_b32_e32 v9, v12, v9
	v_lshlrev_b16_e32 v12, 8, v10
	v_and_b32_e32 v11, 0x3f00, v10
	v_add_u16_e32 v12, 0xe000, v12
	v_or_b32_sdwa v11, v11, v12 dst_sel:DWORD dst_unused:UNUSED_PAD src0_sel:DWORD src1_sel:BYTE_1
	v_and_b32_sdwa v12, v10, s17 dst_sel:DWORD dst_unused:UNUSED_PAD src0_sel:WORD_1 src1_sel:DWORD
	v_lshlrev_b16_sdwa v10, v205, v10 dst_sel:DWORD dst_unused:UNUSED_PAD src0_sel:DWORD src1_sel:WORD_1
	v_add_u16_e32 v10, 0xe000, v10
	v_or_b32_sdwa v10, v12, v10 dst_sel:DWORD dst_unused:UNUSED_PAD src0_sel:DWORD src1_sel:BYTE_1
	s_waitcnt vmcnt(11)
	v_cvt_f32_f16_e32 v12, v75
	v_add_u16_e32 v11, 0xe000, v11
	v_add_u16_sdwa v10, v10, s18 dst_sel:WORD_1 dst_unused:UNUSED_PAD src0_sel:DWORD src1_sel:DWORD
	s_nop 0
	v_or_b32_e32 v10, v11, v10
	ds_write2_b32 v158, v9, v10 offset1:16
	ds_write_b32 v161, v12
	s_waitcnt vmcnt(10)
	ds_write_b32 v163, v76
	s_waitcnt vmcnt(9)
	;; [unrolled: 2-line block ×8, first 2 shown]
	v_cvt_f32_f16_e32 v0, v5
	s_waitcnt vmcnt(2)
	ds_write_b32 v185, v6
	s_waitcnt vmcnt(1)
	ds_write_b32 v188, v7
	;; [unrolled: 2-line block ×3, first 2 shown]
	ds_write_b32 v166, v0
	s_waitcnt lgkmcnt(0)
	s_barrier
	ds_read_b32 v207, v192
	ds_read_b32 v208, v194 offset:128
	ds_read_b32 v209, v195 offset:256
	;; [unrolled: 1-line block ×3, first 2 shown]
.LBB135_6:                              ;   Parent Loop BB135_5 Depth=1
                                        ; =>  This Inner Loop Header: Depth=2
	s_lshl_b32 s20, s21, 1
	v_or_b32_e32 v0, s20, v159
	v_lshlrev_b32_e32 v12, 2, v0
	s_lshr_b32 s22, s21, 1
	s_lshl_b32 s21, s21, 3
	v_lshrrev_b32_e32 v66, 1, v0
	ds_read_b128 v[0:3], v12 offset:33280
	ds_read_b128 v[4:7], v12 offset:33296
	;; [unrolled: 1-line block ×4, first 2 shown]
	ds_read_b64 v[130:131], v66 offset:43584
	v_add_u32_e32 v74, s22, v197
	v_add_u32_e32 v75, s21, v198
	ds_read2_b32 v[70:71], v75 offset0:6 offset1:7
	ds_read2_b32 v[72:73], v75 offset0:4 offset1:5
	;; [unrolled: 1-line block ×3, first 2 shown]
	ds_read2_b32 v[68:69], v75 offset1:1
	ds_read_b32 v76, v74
	ds_read2_b32 v[126:127], v75 offset0:14 offset1:15
	ds_read2_b32 v[128:129], v75 offset0:12 offset1:13
	v_mov_b32_e32 v74, 0
	ds_read2_b32 v[82:83], v75 offset0:10 offset1:11
	ds_read2_b32 v[84:85], v75 offset0:8 offset1:9
	s_waitcnt lgkmcnt(7)
	v_dot4c_i32_i8_e32 v74, v72, v4
	v_mov_b32_e32 v75, 0
	v_dot4c_i32_i8_e32 v74, v73, v5
	s_waitcnt lgkmcnt(5)
	v_dot4c_i32_i8_e32 v75, v68, v0
	v_dot4c_i32_i8_e32 v74, v70, v6
	;; [unrolled: 1-line block ×4, first 2 shown]
	s_waitcnt lgkmcnt(4)
	v_bfe_i32 v211, v76, 8, 8
	v_dot4c_i32_i8_e32 v75, v66, v2
	v_dot4c_i32_i8_e32 v75, v67, v3
	v_mul_lo_u32 v74, v74, v211
	v_bfe_i32 v212, v76, 0, 8
	v_mov_b32_e32 v77, 0
	v_mad_u64_u32 v[74:75], s[24:25], v75, v212, v[74:75]
	s_waitcnt lgkmcnt(2)
	v_dot4c_i32_i8_e32 v77, v128, v12
	v_mov_b32_e32 v78, 0
	v_cvt_f32_i32_e32 v74, v74
	v_dot4c_i32_i8_e32 v77, v129, v13
	s_waitcnt lgkmcnt(0)
	v_dot4c_i32_i8_e32 v78, v84, v8
	v_dot4c_i32_i8_e32 v77, v126, v14
	;; [unrolled: 1-line block ×5, first 2 shown]
	v_ashrrev_i32_e32 v214, 24, v76
	v_dot4c_i32_i8_e32 v78, v83, v11
	v_fma_f32 v79, v130, v74, 0
	v_bfe_i32 v213, v76, 16, 8
	v_mul_lo_u32 v74, v77, v214
	v_mad_u64_u32 v[74:75], s[24:25], v78, v213, v[74:75]
	v_cvt_f32_i32_e32 v74, v74
	v_add_u32_e32 v86, s22, v199
	v_add_u32_e32 v90, s21, v200
	v_mov_b32_e32 v91, 0
	v_fmac_f32_e32 v79, v131, v74
	v_fmac_f32_e32 v169, v207, v79
	ds_read2_b32 v[78:79], v90 offset0:6 offset1:7
	ds_read2_b32 v[80:81], v90 offset0:4 offset1:5
	;; [unrolled: 1-line block ×3, first 2 shown]
	ds_read2_b32 v[76:77], v90 offset1:1
	ds_read_b32 v92, v86
	ds_read2_b32 v[86:87], v90 offset0:14 offset1:15
	ds_read2_b32 v[88:89], v90 offset0:12 offset1:13
	;; [unrolled: 1-line block ×4, first 2 shown]
	v_mov_b32_e32 v90, 0
	s_waitcnt lgkmcnt(7)
	v_dot4c_i32_i8_e32 v90, v80, v4
	v_dot4c_i32_i8_e32 v90, v81, v5
	s_waitcnt lgkmcnt(5)
	v_dot4c_i32_i8_e32 v91, v76, v0
	v_dot4c_i32_i8_e32 v90, v78, v6
	;; [unrolled: 1-line block ×4, first 2 shown]
	s_waitcnt lgkmcnt(4)
	v_bfe_i32 v215, v92, 8, 8
	v_dot4c_i32_i8_e32 v91, v74, v2
	v_dot4c_i32_i8_e32 v91, v75, v3
	v_mul_lo_u32 v90, v90, v215
	v_bfe_i32 v216, v92, 0, 8
	v_mov_b32_e32 v93, 0
	v_mad_u64_u32 v[90:91], s[24:25], v91, v216, v[90:91]
	s_waitcnt lgkmcnt(2)
	v_dot4c_i32_i8_e32 v93, v88, v12
	v_mov_b32_e32 v94, 0
	v_cvt_f32_i32_e32 v90, v90
	v_dot4c_i32_i8_e32 v93, v89, v13
	s_waitcnt lgkmcnt(0)
	v_dot4c_i32_i8_e32 v94, v104, v8
	v_dot4c_i32_i8_e32 v93, v86, v14
	v_dot4c_i32_i8_e32 v94, v105, v9
	v_dot4c_i32_i8_e32 v93, v87, v15
	v_dot4c_i32_i8_e32 v94, v100, v10
	v_ashrrev_i32_e32 v218, 24, v92
	v_dot4c_i32_i8_e32 v94, v101, v11
	v_fma_f32 v95, v130, v90, 0
	v_bfe_i32 v217, v92, 16, 8
	v_mul_lo_u32 v90, v93, v218
	v_mad_u64_u32 v[90:91], s[24:25], v94, v217, v[90:91]
	v_cvt_f32_i32_e32 v90, v90
	v_add_u32_e32 v98, s22, v201
	v_add_u32_e32 v99, s21, v202
	v_mov_b32_e32 v103, 0
	v_fmac_f32_e32 v95, v131, v90
	v_fmac_f32_e32 v165, v208, v95
	ds_read2_b32 v[94:95], v99 offset0:6 offset1:7
	ds_read2_b32 v[96:97], v99 offset0:4 offset1:5
	;; [unrolled: 1-line block ×3, first 2 shown]
	ds_read2_b32 v[92:93], v99 offset1:1
	ds_read_b32 v102, v98
	ds_read2_b32 v[106:107], v99 offset0:14 offset1:15
	ds_read2_b32 v[108:109], v99 offset0:12 offset1:13
	v_mov_b32_e32 v98, 0
	ds_read2_b32 v[116:117], v99 offset0:10 offset1:11
	ds_read2_b32 v[120:121], v99 offset0:8 offset1:9
	s_waitcnt lgkmcnt(7)
	v_dot4c_i32_i8_e32 v98, v96, v4
	v_mov_b32_e32 v99, 0
	v_dot4c_i32_i8_e32 v98, v97, v5
	s_waitcnt lgkmcnt(5)
	v_dot4c_i32_i8_e32 v99, v92, v0
	v_dot4c_i32_i8_e32 v98, v94, v6
	;; [unrolled: 1-line block ×4, first 2 shown]
	s_waitcnt lgkmcnt(4)
	v_bfe_i32 v219, v102, 8, 8
	v_dot4c_i32_i8_e32 v99, v90, v2
	v_dot4c_i32_i8_e32 v99, v91, v3
	v_mul_lo_u32 v98, v98, v219
	v_bfe_i32 v220, v102, 0, 8
	s_waitcnt lgkmcnt(2)
	v_dot4c_i32_i8_e32 v103, v108, v12
	v_mad_u64_u32 v[98:99], s[24:25], v99, v220, v[98:99]
	v_mov_b32_e32 v110, 0
	v_cvt_f32_i32_e32 v98, v98
	v_dot4c_i32_i8_e32 v103, v109, v13
	s_waitcnt lgkmcnt(0)
	v_dot4c_i32_i8_e32 v110, v120, v8
	v_dot4c_i32_i8_e32 v103, v106, v14
	;; [unrolled: 1-line block ×5, first 2 shown]
	v_ashrrev_i32_e32 v222, 24, v102
	v_dot4c_i32_i8_e32 v110, v117, v11
	v_fma_f32 v111, v130, v98, 0
	v_bfe_i32 v221, v102, 16, 8
	v_mul_lo_u32 v98, v103, v222
	v_mad_u64_u32 v[98:99], s[24:25], v110, v221, v[98:99]
	v_cvt_f32_i32_e32 v98, v98
	v_add_u32_e32 v114, s22, v203
	v_add_u32_e32 v124, s21, v204
	v_mov_b32_e32 v227, 0
	v_fmac_f32_e32 v111, v131, v98
	v_fmac_f32_e32 v162, v209, v111
	ds_read2_b32 v[110:111], v124 offset0:6 offset1:7
	ds_read2_b32 v[112:113], v124 offset0:4 offset1:5
	ds_read2_b32 v[98:99], v124 offset0:2 offset1:3
	ds_read2_b32 v[102:103], v124 offset1:1
	ds_read_b32 v226, v114
	ds_read2_b32 v[114:115], v124 offset0:14 offset1:15
	ds_read2_b32 v[118:119], v124 offset0:12 offset1:13
	;; [unrolled: 1-line block ×4, first 2 shown]
	v_mov_b32_e32 v228, 0
	s_waitcnt lgkmcnt(4)
	v_bfe_i32 v223, v226, 8, 8
	v_bfe_i32 v224, v226, 0, 8
	s_waitcnt lgkmcnt(2)
	v_dot4c_i32_i8_e32 v227, v118, v12
	v_mov_b32_e32 v12, 0
	s_waitcnt lgkmcnt(0)
	v_dot4c_i32_i8_e32 v12, v124, v8
	v_mov_b32_e32 v8, 0
	v_dot4c_i32_i8_e32 v8, v112, v4
	v_dot4c_i32_i8_e32 v8, v113, v5
	v_mov_b32_e32 v5, 0
	v_dot4c_i32_i8_e32 v5, v102, v0
	v_dot4c_i32_i8_e32 v8, v110, v6
	;; [unrolled: 1-line block ×7, first 2 shown]
	v_mul_lo_u32 v4, v8, v223
	v_dot4c_i32_i8_e32 v227, v114, v14
	v_mad_u64_u32 v[0:1], s[22:23], v5, v224, v[4:5]
	v_cvt_f32_i32_e32 v0, v0
	v_dot4c_i32_i8_e32 v12, v125, v9
	v_dot4c_i32_i8_e32 v227, v115, v15
	;; [unrolled: 1-line block ×3, first 2 shown]
	v_bfe_i32 v225, v226, 16, 8
	v_ashrrev_i32_e32 v226, 24, v226
	v_dot4c_i32_i8_e32 v12, v123, v11
	v_fma_f32 v2, v130, v0, 0
	v_mul_lo_u32 v0, v227, v226
	v_mov_b32_e32 v229, 0
	v_mad_u64_u32 v[0:1], s[22:23], v12, v225, v[0:1]
	v_cvt_f32_i32_e32 v0, v0
	v_mov_b32_e32 v227, 0
	v_mov_b32_e32 v230, 0
	s_and_b64 vcc, exec, s[0:1]
	v_fmac_f32_e32 v2, v131, v0
	v_or_b32_e32 v0, s20, v172
	v_lshlrev_b32_e32 v12, 2, v0
	v_lshrrev_b32_e32 v130, 1, v0
	v_fmac_f32_e32 v160, v210, v2
	ds_read_b128 v[0:3], v12 offset:33280
	ds_read_b128 v[4:7], v12 offset:33296
	;; [unrolled: 1-line block ×4, first 2 shown]
	ds_read_b64 v[130:131], v130 offset:43584
	s_waitcnt lgkmcnt(4)
	v_dot4c_i32_i8_e32 v229, v68, v0
	s_waitcnt lgkmcnt(3)
	v_dot4c_i32_i8_e32 v228, v72, v4
	v_dot4c_i32_i8_e32 v228, v73, v5
	;; [unrolled: 1-line block ×7, first 2 shown]
	s_waitcnt lgkmcnt(1)
	v_dot4c_i32_i8_e32 v227, v128, v12
	v_mul_lo_u32 v228, v228, v211
	v_dot4c_i32_i8_e32 v227, v129, v13
	v_mad_u64_u32 v[228:229], s[22:23], v229, v212, v[228:229]
	v_cvt_f32_i32_e32 v228, v228
	v_dot4c_i32_i8_e32 v230, v84, v8
	v_dot4c_i32_i8_e32 v227, v126, v14
	v_dot4c_i32_i8_e32 v230, v85, v9
	v_dot4c_i32_i8_e32 v227, v127, v15
	v_dot4c_i32_i8_e32 v230, v82, v10
	v_dot4c_i32_i8_e32 v230, v83, v11
	s_waitcnt lgkmcnt(0)
	v_fma_f32 v231, v130, v228, 0
	v_mul_lo_u32 v228, v227, v214
	s_mov_b64 s[0:1], 0
	v_mad_u64_u32 v[228:229], s[22:23], v230, v213, v[228:229]
	v_cvt_f32_i32_e32 v227, v228
	v_mov_b32_e32 v228, 0
	v_dot4c_i32_i8_e32 v228, v80, v4
	v_mov_b32_e32 v229, 0
	v_dot4c_i32_i8_e32 v228, v81, v5
	v_dot4c_i32_i8_e32 v229, v76, v0
	v_dot4c_i32_i8_e32 v228, v78, v6
	v_dot4c_i32_i8_e32 v229, v77, v1
	v_dot4c_i32_i8_e32 v228, v79, v7
	v_dot4c_i32_i8_e32 v229, v74, v2
	v_dot4c_i32_i8_e32 v229, v75, v3
	v_fmac_f32_e32 v231, v131, v227
	v_mul_lo_u32 v228, v228, v215
	v_mov_b32_e32 v227, 0
	v_mad_u64_u32 v[228:229], s[22:23], v229, v216, v[228:229]
	v_dot4c_i32_i8_e32 v227, v88, v12
	v_mov_b32_e32 v230, 0
	v_cvt_f32_i32_e32 v228, v228
	v_dot4c_i32_i8_e32 v227, v89, v13
	v_dot4c_i32_i8_e32 v230, v104, v8
	;; [unrolled: 1-line block ×6, first 2 shown]
	v_fmac_f32_e32 v151, v207, v231
	v_dot4c_i32_i8_e32 v230, v101, v11
	v_fma_f32 v231, v130, v228, 0
	v_mul_lo_u32 v228, v227, v218
	s_nop 0
	v_mad_u64_u32 v[228:229], s[22:23], v230, v217, v[228:229]
	v_cvt_f32_i32_e32 v227, v228
	v_mov_b32_e32 v228, 0
	v_dot4c_i32_i8_e32 v228, v96, v4
	v_mov_b32_e32 v229, 0
	v_dot4c_i32_i8_e32 v228, v97, v5
	v_dot4c_i32_i8_e32 v229, v92, v0
	v_dot4c_i32_i8_e32 v228, v94, v6
	v_dot4c_i32_i8_e32 v229, v93, v1
	v_dot4c_i32_i8_e32 v228, v95, v7
	v_dot4c_i32_i8_e32 v229, v90, v2
	v_dot4c_i32_i8_e32 v229, v91, v3
	v_fmac_f32_e32 v231, v131, v227
	v_mul_lo_u32 v228, v228, v219
	v_mov_b32_e32 v227, 0
	v_mad_u64_u32 v[228:229], s[22:23], v229, v220, v[228:229]
	v_dot4c_i32_i8_e32 v227, v108, v12
	v_mov_b32_e32 v230, 0
	v_cvt_f32_i32_e32 v228, v228
	v_dot4c_i32_i8_e32 v227, v109, v13
	v_dot4c_i32_i8_e32 v230, v120, v8
	v_dot4c_i32_i8_e32 v227, v106, v14
	v_dot4c_i32_i8_e32 v230, v121, v9
	v_dot4c_i32_i8_e32 v227, v107, v15
	v_dot4c_i32_i8_e32 v230, v116, v10
	v_fmac_f32_e32 v145, v208, v231
	v_dot4c_i32_i8_e32 v230, v117, v11
	v_fma_f32 v231, v130, v228, 0
	v_mul_lo_u32 v228, v227, v222
	s_nop 0
	v_mad_u64_u32 v[228:229], s[22:23], v230, v221, v[228:229]
	v_cvt_f32_i32_e32 v227, v228
	v_mov_b32_e32 v228, 0
	v_mov_b32_e32 v229, 0
	;; [unrolled: 1-line block ×3, first 2 shown]
	v_fmac_f32_e32 v231, v131, v227
	v_mov_b32_e32 v227, 0
	v_dot4c_i32_i8_e32 v227, v118, v12
	v_mov_b32_e32 v12, 0
	v_dot4c_i32_i8_e32 v12, v124, v8
	;; [unrolled: 2-line block ×3, first 2 shown]
	v_dot4c_i32_i8_e32 v8, v113, v5
	v_mov_b32_e32 v5, 0
	v_dot4c_i32_i8_e32 v5, v102, v0
	v_dot4c_i32_i8_e32 v8, v110, v6
	;; [unrolled: 1-line block ×7, first 2 shown]
	v_mul_lo_u32 v4, v8, v223
	v_dot4c_i32_i8_e32 v227, v114, v14
	v_mad_u64_u32 v[0:1], s[22:23], v5, v224, v[4:5]
	v_cvt_f32_i32_e32 v0, v0
	v_dot4c_i32_i8_e32 v12, v125, v9
	v_dot4c_i32_i8_e32 v227, v115, v15
	;; [unrolled: 1-line block ×4, first 2 shown]
	v_fma_f32 v2, v130, v0, 0
	v_mul_lo_u32 v0, v227, v226
	v_mov_b32_e32 v227, 0
	v_mad_u64_u32 v[0:1], s[22:23], v12, v225, v[0:1]
	v_cvt_f32_i32_e32 v0, v0
	v_fmac_f32_e32 v140, v209, v231
	v_fmac_f32_e32 v2, v131, v0
	v_or_b32_e32 v0, s20, v175
	v_lshlrev_b32_e32 v12, 2, v0
	v_lshrrev_b32_e32 v130, 1, v0
	v_fmac_f32_e32 v138, v210, v2
	ds_read_b128 v[0:3], v12 offset:33280
	ds_read_b128 v[4:7], v12 offset:33296
	;; [unrolled: 1-line block ×4, first 2 shown]
	ds_read_b64 v[130:131], v130 offset:43584
	s_waitcnt lgkmcnt(4)
	v_dot4c_i32_i8_e32 v229, v68, v0
	s_waitcnt lgkmcnt(3)
	v_dot4c_i32_i8_e32 v228, v72, v4
	v_dot4c_i32_i8_e32 v228, v73, v5
	;; [unrolled: 1-line block ×7, first 2 shown]
	s_waitcnt lgkmcnt(1)
	v_dot4c_i32_i8_e32 v227, v128, v12
	v_mul_lo_u32 v228, v228, v211
	v_dot4c_i32_i8_e32 v227, v129, v13
	v_mad_u64_u32 v[228:229], s[22:23], v229, v212, v[228:229]
	v_cvt_f32_i32_e32 v228, v228
	v_dot4c_i32_i8_e32 v230, v84, v8
	v_dot4c_i32_i8_e32 v227, v126, v14
	;; [unrolled: 1-line block ×6, first 2 shown]
	s_waitcnt lgkmcnt(0)
	v_fma_f32 v231, v130, v228, 0
	v_mul_lo_u32 v228, v227, v214
	v_mad_u64_u32 v[228:229], s[22:23], v230, v213, v[228:229]
	v_cvt_f32_i32_e32 v227, v228
	v_mov_b32_e32 v228, 0
	v_dot4c_i32_i8_e32 v228, v80, v4
	v_mov_b32_e32 v229, 0
	v_dot4c_i32_i8_e32 v228, v81, v5
	v_dot4c_i32_i8_e32 v229, v76, v0
	;; [unrolled: 1-line block ×7, first 2 shown]
	v_fmac_f32_e32 v231, v131, v227
	v_mul_lo_u32 v228, v228, v215
	v_mov_b32_e32 v227, 0
	v_mad_u64_u32 v[228:229], s[22:23], v229, v216, v[228:229]
	v_dot4c_i32_i8_e32 v227, v88, v12
	v_mov_b32_e32 v230, 0
	v_cvt_f32_i32_e32 v228, v228
	v_dot4c_i32_i8_e32 v227, v89, v13
	v_dot4c_i32_i8_e32 v230, v104, v8
	v_dot4c_i32_i8_e32 v227, v86, v14
	v_dot4c_i32_i8_e32 v230, v105, v9
	v_dot4c_i32_i8_e32 v227, v87, v15
	v_dot4c_i32_i8_e32 v230, v100, v10
	v_fmac_f32_e32 v137, v207, v231
	v_dot4c_i32_i8_e32 v230, v101, v11
	v_fma_f32 v231, v130, v228, 0
	v_mul_lo_u32 v228, v227, v218
	s_nop 0
	v_mad_u64_u32 v[228:229], s[22:23], v230, v217, v[228:229]
	v_cvt_f32_i32_e32 v227, v228
	v_mov_b32_e32 v228, 0
	v_dot4c_i32_i8_e32 v228, v96, v4
	v_mov_b32_e32 v229, 0
	v_dot4c_i32_i8_e32 v228, v97, v5
	v_dot4c_i32_i8_e32 v229, v92, v0
	;; [unrolled: 1-line block ×7, first 2 shown]
	v_fmac_f32_e32 v231, v131, v227
	v_mul_lo_u32 v228, v228, v219
	v_mov_b32_e32 v227, 0
	v_mad_u64_u32 v[228:229], s[22:23], v229, v220, v[228:229]
	v_dot4c_i32_i8_e32 v227, v108, v12
	v_mov_b32_e32 v230, 0
	v_cvt_f32_i32_e32 v228, v228
	v_dot4c_i32_i8_e32 v227, v109, v13
	v_dot4c_i32_i8_e32 v230, v120, v8
	;; [unrolled: 1-line block ×6, first 2 shown]
	v_fmac_f32_e32 v136, v208, v231
	v_dot4c_i32_i8_e32 v230, v117, v11
	v_fma_f32 v231, v130, v228, 0
	v_mul_lo_u32 v228, v227, v222
	s_nop 0
	v_mad_u64_u32 v[228:229], s[22:23], v230, v221, v[228:229]
	v_cvt_f32_i32_e32 v227, v228
	v_mov_b32_e32 v228, 0
	v_mov_b32_e32 v229, 0
	;; [unrolled: 1-line block ×3, first 2 shown]
	v_fmac_f32_e32 v231, v131, v227
	v_mov_b32_e32 v227, 0
	v_dot4c_i32_i8_e32 v227, v118, v12
	v_mov_b32_e32 v12, 0
	v_dot4c_i32_i8_e32 v12, v124, v8
	;; [unrolled: 2-line block ×3, first 2 shown]
	v_dot4c_i32_i8_e32 v8, v113, v5
	v_mov_b32_e32 v5, 0
	v_dot4c_i32_i8_e32 v5, v102, v0
	v_dot4c_i32_i8_e32 v8, v110, v6
	;; [unrolled: 1-line block ×7, first 2 shown]
	v_mul_lo_u32 v4, v8, v223
	v_dot4c_i32_i8_e32 v227, v114, v14
	v_mad_u64_u32 v[0:1], s[22:23], v5, v224, v[4:5]
	v_cvt_f32_i32_e32 v0, v0
	v_dot4c_i32_i8_e32 v12, v125, v9
	v_dot4c_i32_i8_e32 v227, v115, v15
	;; [unrolled: 1-line block ×4, first 2 shown]
	v_fma_f32 v2, v130, v0, 0
	v_mul_lo_u32 v0, v227, v226
	v_mov_b32_e32 v227, 0
	v_mad_u64_u32 v[0:1], s[22:23], v12, v225, v[0:1]
	v_cvt_f32_i32_e32 v0, v0
	v_fmac_f32_e32 v134, v209, v231
	v_fmac_f32_e32 v2, v131, v0
	v_or_b32_e32 v0, s20, v178
	v_lshlrev_b32_e32 v12, 2, v0
	v_lshrrev_b32_e32 v130, 1, v0
	v_fmac_f32_e32 v133, v210, v2
	ds_read_b128 v[0:3], v12 offset:33280
	ds_read_b128 v[4:7], v12 offset:33296
	;; [unrolled: 1-line block ×4, first 2 shown]
	ds_read_b64 v[130:131], v130 offset:43584
	s_waitcnt lgkmcnt(4)
	v_dot4c_i32_i8_e32 v229, v68, v0
	s_waitcnt lgkmcnt(3)
	v_dot4c_i32_i8_e32 v228, v72, v4
	v_dot4c_i32_i8_e32 v228, v73, v5
	;; [unrolled: 1-line block ×7, first 2 shown]
	s_waitcnt lgkmcnt(1)
	v_dot4c_i32_i8_e32 v227, v128, v12
	v_mul_lo_u32 v228, v228, v211
	v_dot4c_i32_i8_e32 v227, v129, v13
	v_mad_u64_u32 v[228:229], s[22:23], v229, v212, v[228:229]
	v_cvt_f32_i32_e32 v228, v228
	v_dot4c_i32_i8_e32 v230, v84, v8
	v_dot4c_i32_i8_e32 v227, v126, v14
	v_dot4c_i32_i8_e32 v230, v85, v9
	v_dot4c_i32_i8_e32 v227, v127, v15
	v_dot4c_i32_i8_e32 v230, v82, v10
	v_dot4c_i32_i8_e32 v230, v83, v11
	s_waitcnt lgkmcnt(0)
	v_fma_f32 v231, v130, v228, 0
	v_mul_lo_u32 v228, v227, v214
	v_mad_u64_u32 v[228:229], s[22:23], v230, v213, v[228:229]
	v_cvt_f32_i32_e32 v227, v228
	v_mov_b32_e32 v228, 0
	v_dot4c_i32_i8_e32 v228, v80, v4
	v_mov_b32_e32 v229, 0
	v_dot4c_i32_i8_e32 v228, v81, v5
	v_dot4c_i32_i8_e32 v229, v76, v0
	;; [unrolled: 1-line block ×7, first 2 shown]
	v_fmac_f32_e32 v231, v131, v227
	v_mul_lo_u32 v228, v228, v215
	v_mov_b32_e32 v227, 0
	v_mad_u64_u32 v[228:229], s[22:23], v229, v216, v[228:229]
	v_dot4c_i32_i8_e32 v227, v88, v12
	v_mov_b32_e32 v230, 0
	v_cvt_f32_i32_e32 v228, v228
	v_dot4c_i32_i8_e32 v227, v89, v13
	v_dot4c_i32_i8_e32 v230, v104, v8
	;; [unrolled: 1-line block ×6, first 2 shown]
	v_fmac_f32_e32 v132, v207, v231
	v_dot4c_i32_i8_e32 v230, v101, v11
	v_fma_f32 v231, v130, v228, 0
	v_mul_lo_u32 v228, v227, v218
	s_nop 0
	v_mad_u64_u32 v[228:229], s[22:23], v230, v217, v[228:229]
	v_cvt_f32_i32_e32 v227, v228
	v_mov_b32_e32 v228, 0
	v_dot4c_i32_i8_e32 v228, v96, v4
	v_mov_b32_e32 v229, 0
	v_dot4c_i32_i8_e32 v228, v97, v5
	v_dot4c_i32_i8_e32 v229, v92, v0
	;; [unrolled: 1-line block ×7, first 2 shown]
	v_fmac_f32_e32 v231, v131, v227
	v_mul_lo_u32 v228, v228, v219
	v_mov_b32_e32 v227, 0
	v_mad_u64_u32 v[228:229], s[22:23], v229, v220, v[228:229]
	v_dot4c_i32_i8_e32 v227, v108, v12
	v_mov_b32_e32 v230, 0
	v_cvt_f32_i32_e32 v228, v228
	v_dot4c_i32_i8_e32 v227, v109, v13
	v_dot4c_i32_i8_e32 v230, v120, v8
	;; [unrolled: 1-line block ×6, first 2 shown]
	v_fmac_f32_e32 v65, v208, v231
	v_dot4c_i32_i8_e32 v230, v117, v11
	v_fma_f32 v231, v130, v228, 0
	v_mul_lo_u32 v228, v227, v222
	s_nop 0
	v_mad_u64_u32 v[228:229], s[22:23], v230, v221, v[228:229]
	v_cvt_f32_i32_e32 v227, v228
	v_mov_b32_e32 v228, 0
	v_mov_b32_e32 v229, 0
	;; [unrolled: 1-line block ×3, first 2 shown]
	v_fmac_f32_e32 v231, v131, v227
	v_mov_b32_e32 v227, 0
	v_dot4c_i32_i8_e32 v227, v118, v12
	v_mov_b32_e32 v12, 0
	v_dot4c_i32_i8_e32 v12, v124, v8
	;; [unrolled: 2-line block ×3, first 2 shown]
	v_dot4c_i32_i8_e32 v8, v113, v5
	v_mov_b32_e32 v5, 0
	v_dot4c_i32_i8_e32 v5, v102, v0
	v_dot4c_i32_i8_e32 v8, v110, v6
	;; [unrolled: 1-line block ×7, first 2 shown]
	v_mul_lo_u32 v4, v8, v223
	v_dot4c_i32_i8_e32 v227, v114, v14
	v_mad_u64_u32 v[0:1], s[22:23], v5, v224, v[4:5]
	v_cvt_f32_i32_e32 v0, v0
	v_dot4c_i32_i8_e32 v12, v125, v9
	v_dot4c_i32_i8_e32 v227, v115, v15
	;; [unrolled: 1-line block ×4, first 2 shown]
	v_fma_f32 v2, v130, v0, 0
	v_mul_lo_u32 v0, v227, v226
	v_mov_b32_e32 v227, 0
	v_mad_u64_u32 v[0:1], s[22:23], v12, v225, v[0:1]
	v_cvt_f32_i32_e32 v0, v0
	v_fmac_f32_e32 v61, v209, v231
	v_fmac_f32_e32 v2, v131, v0
	v_or_b32_e32 v0, s20, v181
	v_lshlrev_b32_e32 v12, 2, v0
	v_lshrrev_b32_e32 v130, 1, v0
	v_fmac_f32_e32 v59, v210, v2
	ds_read_b128 v[0:3], v12 offset:33280
	ds_read_b128 v[4:7], v12 offset:33296
	;; [unrolled: 1-line block ×4, first 2 shown]
	ds_read_b64 v[130:131], v130 offset:43584
	s_waitcnt lgkmcnt(4)
	v_dot4c_i32_i8_e32 v229, v68, v0
	s_waitcnt lgkmcnt(3)
	v_dot4c_i32_i8_e32 v228, v72, v4
	v_dot4c_i32_i8_e32 v228, v73, v5
	;; [unrolled: 1-line block ×7, first 2 shown]
	s_waitcnt lgkmcnt(1)
	v_dot4c_i32_i8_e32 v227, v128, v12
	v_mul_lo_u32 v228, v228, v211
	v_dot4c_i32_i8_e32 v227, v129, v13
	v_mad_u64_u32 v[228:229], s[22:23], v229, v212, v[228:229]
	v_cvt_f32_i32_e32 v228, v228
	v_dot4c_i32_i8_e32 v230, v84, v8
	v_dot4c_i32_i8_e32 v227, v126, v14
	;; [unrolled: 1-line block ×6, first 2 shown]
	s_waitcnt lgkmcnt(0)
	v_fma_f32 v231, v130, v228, 0
	v_mul_lo_u32 v228, v227, v214
	v_mad_u64_u32 v[228:229], s[22:23], v230, v213, v[228:229]
	v_cvt_f32_i32_e32 v227, v228
	v_mov_b32_e32 v228, 0
	v_dot4c_i32_i8_e32 v228, v80, v4
	v_mov_b32_e32 v229, 0
	v_dot4c_i32_i8_e32 v228, v81, v5
	v_dot4c_i32_i8_e32 v229, v76, v0
	;; [unrolled: 1-line block ×7, first 2 shown]
	v_fmac_f32_e32 v231, v131, v227
	v_mul_lo_u32 v228, v228, v215
	v_mov_b32_e32 v227, 0
	v_mad_u64_u32 v[228:229], s[22:23], v229, v216, v[228:229]
	v_dot4c_i32_i8_e32 v227, v88, v12
	v_mov_b32_e32 v230, 0
	v_cvt_f32_i32_e32 v228, v228
	v_dot4c_i32_i8_e32 v227, v89, v13
	v_dot4c_i32_i8_e32 v230, v104, v8
	;; [unrolled: 1-line block ×6, first 2 shown]
	v_fmac_f32_e32 v53, v207, v231
	v_dot4c_i32_i8_e32 v230, v101, v11
	v_fma_f32 v231, v130, v228, 0
	v_mul_lo_u32 v228, v227, v218
	s_nop 0
	v_mad_u64_u32 v[228:229], s[22:23], v230, v217, v[228:229]
	v_cvt_f32_i32_e32 v227, v228
	v_mov_b32_e32 v228, 0
	v_dot4c_i32_i8_e32 v228, v96, v4
	v_mov_b32_e32 v229, 0
	v_dot4c_i32_i8_e32 v228, v97, v5
	v_dot4c_i32_i8_e32 v229, v92, v0
	;; [unrolled: 1-line block ×7, first 2 shown]
	v_fmac_f32_e32 v231, v131, v227
	v_mul_lo_u32 v228, v228, v219
	v_mov_b32_e32 v227, 0
	v_mad_u64_u32 v[228:229], s[22:23], v229, v220, v[228:229]
	v_dot4c_i32_i8_e32 v227, v108, v12
	v_mov_b32_e32 v230, 0
	v_cvt_f32_i32_e32 v228, v228
	v_dot4c_i32_i8_e32 v227, v109, v13
	v_dot4c_i32_i8_e32 v230, v120, v8
	;; [unrolled: 1-line block ×6, first 2 shown]
	v_fmac_f32_e32 v49, v208, v231
	v_dot4c_i32_i8_e32 v230, v117, v11
	v_fma_f32 v231, v130, v228, 0
	v_mul_lo_u32 v228, v227, v222
	s_nop 0
	v_mad_u64_u32 v[228:229], s[22:23], v230, v221, v[228:229]
	v_cvt_f32_i32_e32 v227, v228
	v_mov_b32_e32 v228, 0
	v_mov_b32_e32 v229, 0
	;; [unrolled: 1-line block ×3, first 2 shown]
	v_fmac_f32_e32 v231, v131, v227
	v_mov_b32_e32 v227, 0
	v_dot4c_i32_i8_e32 v227, v118, v12
	v_mov_b32_e32 v12, 0
	v_dot4c_i32_i8_e32 v12, v124, v8
	;; [unrolled: 2-line block ×3, first 2 shown]
	v_dot4c_i32_i8_e32 v8, v113, v5
	v_mov_b32_e32 v5, 0
	v_dot4c_i32_i8_e32 v5, v102, v0
	v_dot4c_i32_i8_e32 v8, v110, v6
	;; [unrolled: 1-line block ×7, first 2 shown]
	v_mul_lo_u32 v4, v8, v223
	v_dot4c_i32_i8_e32 v227, v114, v14
	v_mad_u64_u32 v[0:1], s[22:23], v5, v224, v[4:5]
	v_cvt_f32_i32_e32 v0, v0
	v_dot4c_i32_i8_e32 v12, v125, v9
	v_dot4c_i32_i8_e32 v227, v115, v15
	;; [unrolled: 1-line block ×4, first 2 shown]
	v_fma_f32 v2, v130, v0, 0
	v_mul_lo_u32 v0, v227, v226
	v_mov_b32_e32 v227, 0
	v_mad_u64_u32 v[0:1], s[22:23], v12, v225, v[0:1]
	v_cvt_f32_i32_e32 v0, v0
	v_fmac_f32_e32 v47, v209, v231
	v_fmac_f32_e32 v2, v131, v0
	v_or_b32_e32 v0, s20, v184
	v_lshlrev_b32_e32 v12, 2, v0
	v_lshrrev_b32_e32 v130, 1, v0
	v_fmac_f32_e32 v45, v210, v2
	ds_read_b128 v[0:3], v12 offset:33280
	ds_read_b128 v[4:7], v12 offset:33296
	;; [unrolled: 1-line block ×4, first 2 shown]
	ds_read_b64 v[130:131], v130 offset:43584
	s_waitcnt lgkmcnt(4)
	v_dot4c_i32_i8_e32 v229, v68, v0
	s_waitcnt lgkmcnt(3)
	v_dot4c_i32_i8_e32 v228, v72, v4
	v_dot4c_i32_i8_e32 v228, v73, v5
	;; [unrolled: 1-line block ×7, first 2 shown]
	s_waitcnt lgkmcnt(1)
	v_dot4c_i32_i8_e32 v227, v128, v12
	v_mul_lo_u32 v228, v228, v211
	v_dot4c_i32_i8_e32 v227, v129, v13
	v_mad_u64_u32 v[228:229], s[22:23], v229, v212, v[228:229]
	v_cvt_f32_i32_e32 v228, v228
	v_dot4c_i32_i8_e32 v230, v84, v8
	v_dot4c_i32_i8_e32 v227, v126, v14
	;; [unrolled: 1-line block ×6, first 2 shown]
	s_waitcnt lgkmcnt(0)
	v_fma_f32 v231, v130, v228, 0
	v_mul_lo_u32 v228, v227, v214
	v_mad_u64_u32 v[228:229], s[22:23], v230, v213, v[228:229]
	v_cvt_f32_i32_e32 v227, v228
	v_mov_b32_e32 v228, 0
	v_dot4c_i32_i8_e32 v228, v80, v4
	v_mov_b32_e32 v229, 0
	v_dot4c_i32_i8_e32 v228, v81, v5
	v_dot4c_i32_i8_e32 v229, v76, v0
	;; [unrolled: 1-line block ×7, first 2 shown]
	v_fmac_f32_e32 v231, v131, v227
	v_mul_lo_u32 v228, v228, v215
	v_mov_b32_e32 v227, 0
	v_mad_u64_u32 v[228:229], s[22:23], v229, v216, v[228:229]
	v_dot4c_i32_i8_e32 v227, v88, v12
	v_mov_b32_e32 v230, 0
	v_cvt_f32_i32_e32 v228, v228
	v_dot4c_i32_i8_e32 v227, v89, v13
	v_dot4c_i32_i8_e32 v230, v104, v8
	v_dot4c_i32_i8_e32 v227, v86, v14
	v_dot4c_i32_i8_e32 v230, v105, v9
	v_dot4c_i32_i8_e32 v227, v87, v15
	v_dot4c_i32_i8_e32 v230, v100, v10
	v_fmac_f32_e32 v43, v207, v231
	v_dot4c_i32_i8_e32 v230, v101, v11
	v_fma_f32 v231, v130, v228, 0
	v_mul_lo_u32 v228, v227, v218
	s_nop 0
	v_mad_u64_u32 v[228:229], s[22:23], v230, v217, v[228:229]
	v_cvt_f32_i32_e32 v227, v228
	v_mov_b32_e32 v228, 0
	v_dot4c_i32_i8_e32 v228, v96, v4
	v_mov_b32_e32 v229, 0
	v_dot4c_i32_i8_e32 v228, v97, v5
	v_dot4c_i32_i8_e32 v229, v92, v0
	;; [unrolled: 1-line block ×7, first 2 shown]
	v_fmac_f32_e32 v231, v131, v227
	v_mul_lo_u32 v228, v228, v219
	v_mov_b32_e32 v227, 0
	v_mad_u64_u32 v[228:229], s[22:23], v229, v220, v[228:229]
	v_dot4c_i32_i8_e32 v227, v108, v12
	v_mov_b32_e32 v230, 0
	v_cvt_f32_i32_e32 v228, v228
	v_dot4c_i32_i8_e32 v227, v109, v13
	v_dot4c_i32_i8_e32 v230, v120, v8
	;; [unrolled: 1-line block ×6, first 2 shown]
	v_fmac_f32_e32 v41, v208, v231
	v_dot4c_i32_i8_e32 v230, v117, v11
	v_fma_f32 v231, v130, v228, 0
	v_mul_lo_u32 v228, v227, v222
	s_nop 0
	v_mad_u64_u32 v[228:229], s[22:23], v230, v221, v[228:229]
	v_cvt_f32_i32_e32 v227, v228
	v_mov_b32_e32 v228, 0
	v_mov_b32_e32 v229, 0
	;; [unrolled: 1-line block ×3, first 2 shown]
	v_fmac_f32_e32 v231, v131, v227
	v_mov_b32_e32 v227, 0
	v_dot4c_i32_i8_e32 v227, v118, v12
	v_mov_b32_e32 v12, 0
	v_dot4c_i32_i8_e32 v12, v124, v8
	;; [unrolled: 2-line block ×3, first 2 shown]
	v_dot4c_i32_i8_e32 v8, v113, v5
	v_mov_b32_e32 v5, 0
	v_dot4c_i32_i8_e32 v5, v102, v0
	v_dot4c_i32_i8_e32 v8, v110, v6
	;; [unrolled: 1-line block ×7, first 2 shown]
	v_mul_lo_u32 v4, v8, v223
	v_dot4c_i32_i8_e32 v227, v114, v14
	v_mad_u64_u32 v[0:1], s[22:23], v5, v224, v[4:5]
	v_cvt_f32_i32_e32 v0, v0
	v_dot4c_i32_i8_e32 v12, v125, v9
	v_dot4c_i32_i8_e32 v227, v115, v15
	;; [unrolled: 1-line block ×4, first 2 shown]
	v_fma_f32 v2, v130, v0, 0
	v_mul_lo_u32 v0, v227, v226
	v_mov_b32_e32 v227, 0
	v_mad_u64_u32 v[0:1], s[22:23], v12, v225, v[0:1]
	v_cvt_f32_i32_e32 v0, v0
	v_fmac_f32_e32 v39, v209, v231
	v_fmac_f32_e32 v2, v131, v0
	v_or_b32_e32 v0, s20, v187
	v_lshlrev_b32_e32 v12, 2, v0
	v_lshrrev_b32_e32 v130, 1, v0
	v_fmac_f32_e32 v37, v210, v2
	ds_read_b128 v[0:3], v12 offset:33280
	ds_read_b128 v[4:7], v12 offset:33296
	;; [unrolled: 1-line block ×4, first 2 shown]
	ds_read_b64 v[130:131], v130 offset:43584
	s_waitcnt lgkmcnt(4)
	v_dot4c_i32_i8_e32 v229, v68, v0
	s_waitcnt lgkmcnt(3)
	v_dot4c_i32_i8_e32 v228, v72, v4
	v_dot4c_i32_i8_e32 v228, v73, v5
	;; [unrolled: 1-line block ×7, first 2 shown]
	s_waitcnt lgkmcnt(1)
	v_dot4c_i32_i8_e32 v227, v128, v12
	v_mul_lo_u32 v228, v228, v211
	v_dot4c_i32_i8_e32 v227, v129, v13
	v_mad_u64_u32 v[228:229], s[22:23], v229, v212, v[228:229]
	v_cvt_f32_i32_e32 v228, v228
	v_dot4c_i32_i8_e32 v230, v84, v8
	v_dot4c_i32_i8_e32 v227, v126, v14
	;; [unrolled: 1-line block ×6, first 2 shown]
	s_waitcnt lgkmcnt(0)
	v_fma_f32 v231, v130, v228, 0
	v_mul_lo_u32 v228, v227, v214
	v_mad_u64_u32 v[228:229], s[22:23], v230, v213, v[228:229]
	v_cvt_f32_i32_e32 v227, v228
	v_mov_b32_e32 v228, 0
	v_dot4c_i32_i8_e32 v228, v80, v4
	v_mov_b32_e32 v229, 0
	v_dot4c_i32_i8_e32 v228, v81, v5
	v_dot4c_i32_i8_e32 v229, v76, v0
	;; [unrolled: 1-line block ×7, first 2 shown]
	v_fmac_f32_e32 v231, v131, v227
	v_mul_lo_u32 v228, v228, v215
	v_mov_b32_e32 v227, 0
	v_mad_u64_u32 v[228:229], s[22:23], v229, v216, v[228:229]
	v_dot4c_i32_i8_e32 v227, v88, v12
	v_mov_b32_e32 v230, 0
	v_cvt_f32_i32_e32 v228, v228
	v_dot4c_i32_i8_e32 v227, v89, v13
	v_dot4c_i32_i8_e32 v230, v104, v8
	;; [unrolled: 1-line block ×6, first 2 shown]
	v_fmac_f32_e32 v35, v207, v231
	v_dot4c_i32_i8_e32 v230, v101, v11
	v_fma_f32 v231, v130, v228, 0
	v_mul_lo_u32 v228, v227, v218
	s_nop 0
	v_mad_u64_u32 v[228:229], s[22:23], v230, v217, v[228:229]
	v_cvt_f32_i32_e32 v227, v228
	v_mov_b32_e32 v228, 0
	v_dot4c_i32_i8_e32 v228, v96, v4
	v_mov_b32_e32 v229, 0
	v_dot4c_i32_i8_e32 v228, v97, v5
	v_dot4c_i32_i8_e32 v229, v92, v0
	;; [unrolled: 1-line block ×7, first 2 shown]
	v_fmac_f32_e32 v231, v131, v227
	v_mul_lo_u32 v228, v228, v219
	v_mov_b32_e32 v227, 0
	v_mad_u64_u32 v[228:229], s[22:23], v229, v220, v[228:229]
	v_dot4c_i32_i8_e32 v227, v108, v12
	v_mov_b32_e32 v230, 0
	v_cvt_f32_i32_e32 v228, v228
	v_dot4c_i32_i8_e32 v227, v109, v13
	v_dot4c_i32_i8_e32 v230, v120, v8
	;; [unrolled: 1-line block ×6, first 2 shown]
	v_fmac_f32_e32 v33, v208, v231
	v_dot4c_i32_i8_e32 v230, v117, v11
	v_fma_f32 v231, v130, v228, 0
	v_mul_lo_u32 v228, v227, v222
	s_nop 0
	v_mad_u64_u32 v[228:229], s[22:23], v230, v221, v[228:229]
	v_cvt_f32_i32_e32 v227, v228
	v_fmac_f32_e32 v231, v131, v227
	v_mov_b32_e32 v227, 0
	v_dot4c_i32_i8_e32 v227, v118, v12
	v_mov_b32_e32 v12, 0
	v_dot4c_i32_i8_e32 v12, v124, v8
	;; [unrolled: 2-line block ×3, first 2 shown]
	v_dot4c_i32_i8_e32 v8, v113, v5
	v_mov_b32_e32 v5, 0
	v_dot4c_i32_i8_e32 v5, v102, v0
	v_dot4c_i32_i8_e32 v8, v110, v6
	;; [unrolled: 1-line block ×7, first 2 shown]
	v_mul_lo_u32 v4, v8, v223
	v_dot4c_i32_i8_e32 v227, v114, v14
	v_mad_u64_u32 v[0:1], s[22:23], v5, v224, v[4:5]
	v_cvt_f32_i32_e32 v0, v0
	v_dot4c_i32_i8_e32 v12, v125, v9
	v_dot4c_i32_i8_e32 v227, v115, v15
	;; [unrolled: 1-line block ×4, first 2 shown]
	v_fma_f32 v2, v130, v0, 0
	v_mul_lo_u32 v0, v227, v226
	v_mov_b32_e32 v227, 0
	v_mad_u64_u32 v[0:1], s[22:23], v12, v225, v[0:1]
	v_cvt_f32_i32_e32 v0, v0
	v_fmac_f32_e32 v31, v209, v231
	v_fmac_f32_e32 v2, v131, v0
	v_or_b32_e32 v0, s20, v190
	v_lshlrev_b32_e32 v12, 2, v0
	v_lshrrev_b32_e32 v130, 1, v0
	v_fmac_f32_e32 v29, v210, v2
	ds_read_b128 v[0:3], v12 offset:33280
	ds_read_b128 v[4:7], v12 offset:33296
	;; [unrolled: 1-line block ×4, first 2 shown]
	ds_read_b64 v[130:131], v130 offset:43584
	s_waitcnt lgkmcnt(1)
	v_dot4c_i32_i8_e32 v227, v128, v12
	v_dot4c_i32_i8_e32 v227, v129, v13
	;; [unrolled: 1-line block ×3, first 2 shown]
	v_mov_b32_e32 v126, 0
	v_dot4c_i32_i8_e32 v126, v84, v8
	v_dot4c_i32_i8_e32 v126, v85, v9
	;; [unrolled: 1-line block ×3, first 2 shown]
	v_mov_b32_e32 v82, 0
	v_dot4c_i32_i8_e32 v82, v72, v4
	v_dot4c_i32_i8_e32 v82, v73, v5
	;; [unrolled: 1-line block ×4, first 2 shown]
	v_mov_b32_e32 v71, 0
	v_dot4c_i32_i8_e32 v71, v68, v0
	v_dot4c_i32_i8_e32 v71, v69, v1
	;; [unrolled: 1-line block ×3, first 2 shown]
	v_mul_lo_u32 v70, v82, v211
	v_dot4c_i32_i8_e32 v71, v67, v3
	v_dot4c_i32_i8_e32 v227, v127, v15
	;; [unrolled: 1-line block ×3, first 2 shown]
	v_mov_b32_e32 v69, 0
	v_mad_u64_u32 v[66:67], s[20:21], v71, v212, v[70:71]
	v_cvt_f32_i32_e32 v66, v66
	v_dot4c_i32_i8_e32 v69, v104, v8
	v_dot4c_i32_i8_e32 v69, v105, v9
	;; [unrolled: 1-line block ×3, first 2 shown]
	s_waitcnt lgkmcnt(0)
	v_fma_f32 v68, v130, v66, 0
	v_mul_lo_u32 v66, v227, v214
	v_mad_u64_u32 v[66:67], s[20:21], v126, v213, v[66:67]
	v_cvt_f32_i32_e32 v66, v66
	v_mov_b32_e32 v67, 0
	v_dot4c_i32_i8_e32 v67, v76, v0
	v_dot4c_i32_i8_e32 v67, v77, v1
	v_fmac_f32_e32 v68, v131, v66
	v_mov_b32_e32 v66, 0
	v_dot4c_i32_i8_e32 v66, v80, v4
	v_dot4c_i32_i8_e32 v66, v81, v5
	;; [unrolled: 1-line block ×6, first 2 shown]
	v_fmac_f32_e32 v27, v207, v68
	v_mul_lo_u32 v66, v66, v215
	v_mov_b32_e32 v68, 0
	v_mad_u64_u32 v[66:67], s[20:21], v67, v216, v[66:67]
	v_dot4c_i32_i8_e32 v68, v88, v12
	v_cvt_f32_i32_e32 v66, v66
	v_dot4c_i32_i8_e32 v68, v89, v13
	v_dot4c_i32_i8_e32 v68, v86, v14
	;; [unrolled: 1-line block ×4, first 2 shown]
	v_fma_f32 v70, v130, v66, 0
	s_nop 0
	v_mul_lo_u32 v66, v68, v218
	v_mad_u64_u32 v[66:67], s[20:21], v69, v217, v[66:67]
	v_cvt_f32_i32_e32 v66, v66
	v_mov_b32_e32 v67, 0
	v_dot4c_i32_i8_e32 v67, v92, v0
	v_dot4c_i32_i8_e32 v67, v93, v1
	v_fmac_f32_e32 v70, v131, v66
	v_mov_b32_e32 v66, 0
	v_dot4c_i32_i8_e32 v66, v96, v4
	v_dot4c_i32_i8_e32 v66, v97, v5
	;; [unrolled: 1-line block ×6, first 2 shown]
	v_mov_b32_e32 v68, 0
	v_mul_lo_u32 v66, v66, v219
	v_dot4c_i32_i8_e32 v68, v108, v12
	v_mad_u64_u32 v[66:67], s[20:21], v67, v220, v[66:67]
	v_mov_b32_e32 v69, 0
	v_cvt_f32_i32_e32 v66, v66
	v_dot4c_i32_i8_e32 v68, v109, v13
	v_dot4c_i32_i8_e32 v69, v120, v8
	;; [unrolled: 1-line block ×6, first 2 shown]
	v_fmac_f32_e32 v25, v208, v70
	v_dot4c_i32_i8_e32 v69, v117, v11
	v_fma_f32 v70, v130, v66, 0
	v_mul_lo_u32 v66, v68, v222
	s_nop 0
	v_mad_u64_u32 v[66:67], s[20:21], v69, v221, v[66:67]
	v_cvt_f32_i32_e32 v66, v66
	v_fmac_f32_e32 v70, v131, v66
	v_mov_b32_e32 v66, 0
	v_dot4c_i32_i8_e32 v66, v118, v12
	v_mov_b32_e32 v12, 0
	v_dot4c_i32_i8_e32 v12, v124, v8
	;; [unrolled: 2-line block ×3, first 2 shown]
	v_dot4c_i32_i8_e32 v8, v113, v5
	v_mov_b32_e32 v5, 0
	v_dot4c_i32_i8_e32 v5, v102, v0
	v_dot4c_i32_i8_e32 v8, v110, v6
	;; [unrolled: 1-line block ×7, first 2 shown]
	v_mul_lo_u32 v4, v8, v223
	v_dot4c_i32_i8_e32 v66, v114, v14
	v_mad_u64_u32 v[0:1], s[20:21], v5, v224, v[4:5]
	v_cvt_f32_i32_e32 v0, v0
	v_dot4c_i32_i8_e32 v12, v125, v9
	v_dot4c_i32_i8_e32 v66, v115, v15
	;; [unrolled: 1-line block ×4, first 2 shown]
	v_fma_f32 v2, v130, v0, 0
	v_mul_lo_u32 v0, v66, v226
	v_fmac_f32_e32 v23, v209, v70
	v_mad_u64_u32 v[0:1], s[20:21], v12, v225, v[0:1]
	v_cvt_f32_i32_e32 v0, v0
	s_mov_b32 s21, 8
	v_fmac_f32_e32 v2, v131, v0
	v_fmac_f32_e32 v17, v210, v2
	s_cbranch_vccnz .LBB135_6
; %bb.7:                                ;   in Loop: Header=BB135_5 Depth=1
	v_add_u32_e32 v14, s19, v193
	v_add_u32_e32 v0, v14, v168
	;; [unrolled: 1-line block ×6, first 2 shown]
	v_mad_i64_i32 v[0:1], s[0:1], v0, 36, v[62:63]
	v_mad_i64_i32 v[2:3], s[0:1], v2, 36, v[62:63]
	;; [unrolled: 1-line block ×4, first 2 shown]
	v_add_u32_e32 v8, v14, v180
	v_add_u32_e32 v10, v14, v183
	;; [unrolled: 1-line block ×4, first 2 shown]
	v_mad_u64_u32 v[66:67], s[0:1], v66, 36, s[2:3]
	s_barrier
	v_mad_i64_i32 v[8:9], s[0:1], v8, 36, v[62:63]
	v_mad_i64_i32 v[10:11], s[0:1], v10, 36, v[62:63]
	;; [unrolled: 1-line block ×4, first 2 shown]
	global_load_dword v66, v[66:67], off
	s_nop 0
	global_load_dword v0, v[0:1], off offset:4
	s_nop 0
	global_load_dword v1, v[2:3], off offset:4
	s_nop 0
	global_load_dword v2, v[4:5], off offset:4
	global_load_dword v3, v[6:7], off offset:4
	s_nop 0
	global_load_dword v4, v[8:9], off offset:4
	global_load_dword v5, v[10:11], off offset:4
	;; [unrolled: 1-line block ×4, first 2 shown]
	s_mov_b32 s0, 16
	s_waitcnt vmcnt(8)
	v_cvt_f32_f16_e32 v8, v66
	s_waitcnt vmcnt(7)
	ds_write_b32 v170, v0
	s_waitcnt vmcnt(6)
	ds_write_b32 v173, v1
	s_waitcnt vmcnt(5)
	ds_write_b32 v176, v2
	s_waitcnt vmcnt(4)
	ds_write_b32 v179, v3
	s_waitcnt vmcnt(3)
	ds_write_b32 v182, v4
	s_waitcnt vmcnt(2)
	ds_write_b32 v185, v5
	s_waitcnt vmcnt(1)
	ds_write_b32 v188, v6
	s_waitcnt vmcnt(0)
	ds_write_b32 v191, v7
	ds_write_b32 v166, v8
	s_waitcnt lgkmcnt(0)
	s_barrier
	ds_read_b32 v206, v192
	ds_read_b32 v207, v194 offset:128
	ds_read_b32 v208, v195 offset:256
	;; [unrolled: 1-line block ×3, first 2 shown]
.LBB135_8:                              ;   Parent Loop BB135_5 Depth=1
                                        ; =>  This Inner Loop Header: Depth=2
	s_lshl_b32 s1, s0, 1
	s_and_b32 s1, s1, 16
	v_or_b32_e32 v0, s1, v159
	v_lshlrev_b32_e32 v12, 2, v0
	s_lshr_b32 s19, s0, 1
	s_lshl_b32 s20, s0, 3
	v_lshrrev_b32_e32 v66, 1, v0
	ds_read_b128 v[0:3], v12 offset:33280
	ds_read_b128 v[4:7], v12 offset:33296
	ds_read_b128 v[8:11], v12 offset:33312
	ds_read_b128 v[12:15], v12 offset:33328
	ds_read_b64 v[130:131], v66 offset:43584
	v_add_u32_e32 v74, s19, v197
	v_add_u32_e32 v75, s20, v198
	ds_read2_b32 v[70:71], v75 offset0:6 offset1:7
	ds_read2_b32 v[72:73], v75 offset0:4 offset1:5
	;; [unrolled: 1-line block ×3, first 2 shown]
	ds_read2_b32 v[68:69], v75 offset1:1
	ds_read_b32 v76, v74
	ds_read2_b32 v[126:127], v75 offset0:14 offset1:15
	ds_read2_b32 v[128:129], v75 offset0:12 offset1:13
	v_mov_b32_e32 v74, 0
	ds_read2_b32 v[82:83], v75 offset0:10 offset1:11
	ds_read2_b32 v[84:85], v75 offset0:8 offset1:9
	s_waitcnt lgkmcnt(7)
	v_dot4c_i32_i8_e32 v74, v72, v4
	v_mov_b32_e32 v75, 0
	v_dot4c_i32_i8_e32 v74, v73, v5
	s_waitcnt lgkmcnt(5)
	v_dot4c_i32_i8_e32 v75, v68, v0
	v_dot4c_i32_i8_e32 v74, v70, v6
	;; [unrolled: 1-line block ×4, first 2 shown]
	s_waitcnt lgkmcnt(4)
	v_bfe_i32 v210, v76, 8, 8
	v_dot4c_i32_i8_e32 v75, v66, v2
	v_dot4c_i32_i8_e32 v75, v67, v3
	v_mul_lo_u32 v74, v74, v210
	v_bfe_i32 v211, v76, 0, 8
	v_mov_b32_e32 v77, 0
	v_mad_u64_u32 v[74:75], s[22:23], v75, v211, v[74:75]
	s_waitcnt lgkmcnt(2)
	v_dot4c_i32_i8_e32 v77, v128, v12
	v_mov_b32_e32 v78, 0
	v_cvt_f32_i32_e32 v74, v74
	v_dot4c_i32_i8_e32 v77, v129, v13
	s_waitcnt lgkmcnt(0)
	v_dot4c_i32_i8_e32 v78, v84, v8
	v_dot4c_i32_i8_e32 v77, v126, v14
	;; [unrolled: 1-line block ×5, first 2 shown]
	v_ashrrev_i32_e32 v213, 24, v76
	v_dot4c_i32_i8_e32 v78, v83, v11
	v_fma_f32 v79, v130, v74, 0
	v_bfe_i32 v212, v76, 16, 8
	v_mul_lo_u32 v74, v77, v213
	v_mad_u64_u32 v[74:75], s[22:23], v78, v212, v[74:75]
	v_cvt_f32_i32_e32 v74, v74
	v_add_u32_e32 v86, s19, v199
	v_add_u32_e32 v90, s20, v200
	v_mov_b32_e32 v91, 0
	v_fmac_f32_e32 v79, v131, v74
	v_fmac_f32_e32 v169, v206, v79
	ds_read2_b32 v[78:79], v90 offset0:6 offset1:7
	ds_read2_b32 v[80:81], v90 offset0:4 offset1:5
	;; [unrolled: 1-line block ×3, first 2 shown]
	ds_read2_b32 v[76:77], v90 offset1:1
	ds_read_b32 v92, v86
	ds_read2_b32 v[86:87], v90 offset0:14 offset1:15
	ds_read2_b32 v[88:89], v90 offset0:12 offset1:13
	;; [unrolled: 1-line block ×4, first 2 shown]
	v_mov_b32_e32 v90, 0
	s_waitcnt lgkmcnt(7)
	v_dot4c_i32_i8_e32 v90, v80, v4
	v_dot4c_i32_i8_e32 v90, v81, v5
	s_waitcnt lgkmcnt(5)
	v_dot4c_i32_i8_e32 v91, v76, v0
	v_dot4c_i32_i8_e32 v90, v78, v6
	;; [unrolled: 1-line block ×4, first 2 shown]
	s_waitcnt lgkmcnt(4)
	v_bfe_i32 v214, v92, 8, 8
	v_dot4c_i32_i8_e32 v91, v74, v2
	v_dot4c_i32_i8_e32 v91, v75, v3
	v_mul_lo_u32 v90, v90, v214
	v_bfe_i32 v215, v92, 0, 8
	v_mov_b32_e32 v93, 0
	v_mad_u64_u32 v[90:91], s[22:23], v91, v215, v[90:91]
	s_waitcnt lgkmcnt(2)
	v_dot4c_i32_i8_e32 v93, v88, v12
	v_mov_b32_e32 v94, 0
	v_cvt_f32_i32_e32 v90, v90
	v_dot4c_i32_i8_e32 v93, v89, v13
	s_waitcnt lgkmcnt(0)
	v_dot4c_i32_i8_e32 v94, v104, v8
	v_dot4c_i32_i8_e32 v93, v86, v14
	;; [unrolled: 1-line block ×5, first 2 shown]
	v_ashrrev_i32_e32 v217, 24, v92
	v_dot4c_i32_i8_e32 v94, v101, v11
	v_fma_f32 v95, v130, v90, 0
	v_bfe_i32 v216, v92, 16, 8
	v_mul_lo_u32 v90, v93, v217
	v_mad_u64_u32 v[90:91], s[22:23], v94, v216, v[90:91]
	v_cvt_f32_i32_e32 v90, v90
	v_add_u32_e32 v98, s19, v201
	v_add_u32_e32 v99, s20, v202
	v_mov_b32_e32 v103, 0
	v_fmac_f32_e32 v95, v131, v90
	v_fmac_f32_e32 v165, v207, v95
	ds_read2_b32 v[94:95], v99 offset0:6 offset1:7
	ds_read2_b32 v[96:97], v99 offset0:4 offset1:5
	;; [unrolled: 1-line block ×3, first 2 shown]
	ds_read2_b32 v[92:93], v99 offset1:1
	ds_read_b32 v102, v98
	ds_read2_b32 v[106:107], v99 offset0:14 offset1:15
	ds_read2_b32 v[108:109], v99 offset0:12 offset1:13
	v_mov_b32_e32 v98, 0
	ds_read2_b32 v[116:117], v99 offset0:10 offset1:11
	ds_read2_b32 v[120:121], v99 offset0:8 offset1:9
	s_waitcnt lgkmcnt(7)
	v_dot4c_i32_i8_e32 v98, v96, v4
	v_mov_b32_e32 v99, 0
	v_dot4c_i32_i8_e32 v98, v97, v5
	s_waitcnt lgkmcnt(5)
	v_dot4c_i32_i8_e32 v99, v92, v0
	v_dot4c_i32_i8_e32 v98, v94, v6
	;; [unrolled: 1-line block ×4, first 2 shown]
	s_waitcnt lgkmcnt(4)
	v_bfe_i32 v218, v102, 8, 8
	v_dot4c_i32_i8_e32 v99, v90, v2
	v_dot4c_i32_i8_e32 v99, v91, v3
	v_mul_lo_u32 v98, v98, v218
	v_bfe_i32 v219, v102, 0, 8
	s_waitcnt lgkmcnt(2)
	v_dot4c_i32_i8_e32 v103, v108, v12
	v_mad_u64_u32 v[98:99], s[22:23], v99, v219, v[98:99]
	v_mov_b32_e32 v110, 0
	v_cvt_f32_i32_e32 v98, v98
	v_dot4c_i32_i8_e32 v103, v109, v13
	s_waitcnt lgkmcnt(0)
	v_dot4c_i32_i8_e32 v110, v120, v8
	v_dot4c_i32_i8_e32 v103, v106, v14
	;; [unrolled: 1-line block ×5, first 2 shown]
	v_ashrrev_i32_e32 v221, 24, v102
	v_dot4c_i32_i8_e32 v110, v117, v11
	v_fma_f32 v111, v130, v98, 0
	v_bfe_i32 v220, v102, 16, 8
	v_mul_lo_u32 v98, v103, v221
	v_mad_u64_u32 v[98:99], s[22:23], v110, v220, v[98:99]
	v_cvt_f32_i32_e32 v98, v98
	v_add_u32_e32 v114, s19, v203
	v_add_u32_e32 v124, s20, v204
	v_mov_b32_e32 v226, 0
	v_fmac_f32_e32 v111, v131, v98
	v_fmac_f32_e32 v162, v208, v111
	ds_read2_b32 v[110:111], v124 offset0:6 offset1:7
	ds_read2_b32 v[112:113], v124 offset0:4 offset1:5
	;; [unrolled: 1-line block ×3, first 2 shown]
	ds_read2_b32 v[102:103], v124 offset1:1
	ds_read_b32 v225, v114
	ds_read2_b32 v[114:115], v124 offset0:14 offset1:15
	ds_read2_b32 v[118:119], v124 offset0:12 offset1:13
	;; [unrolled: 1-line block ×4, first 2 shown]
	v_mov_b32_e32 v227, 0
	s_waitcnt lgkmcnt(4)
	v_bfe_i32 v222, v225, 8, 8
	v_bfe_i32 v223, v225, 0, 8
	s_waitcnt lgkmcnt(2)
	v_dot4c_i32_i8_e32 v226, v118, v12
	v_mov_b32_e32 v12, 0
	s_waitcnt lgkmcnt(0)
	v_dot4c_i32_i8_e32 v12, v124, v8
	v_mov_b32_e32 v8, 0
	v_dot4c_i32_i8_e32 v8, v112, v4
	v_dot4c_i32_i8_e32 v8, v113, v5
	v_mov_b32_e32 v5, 0
	v_dot4c_i32_i8_e32 v5, v102, v0
	v_dot4c_i32_i8_e32 v8, v110, v6
	;; [unrolled: 1-line block ×7, first 2 shown]
	v_mul_lo_u32 v4, v8, v222
	v_dot4c_i32_i8_e32 v226, v114, v14
	v_mad_u64_u32 v[0:1], s[20:21], v5, v223, v[4:5]
	v_cvt_f32_i32_e32 v0, v0
	v_dot4c_i32_i8_e32 v12, v125, v9
	v_dot4c_i32_i8_e32 v226, v115, v15
	;; [unrolled: 1-line block ×3, first 2 shown]
	v_bfe_i32 v224, v225, 16, 8
	v_ashrrev_i32_e32 v225, 24, v225
	v_dot4c_i32_i8_e32 v12, v123, v11
	v_fma_f32 v2, v130, v0, 0
	v_mul_lo_u32 v0, v226, v225
	v_mov_b32_e32 v226, 0
	v_mad_u64_u32 v[0:1], s[20:21], v12, v224, v[0:1]
	v_cvt_f32_i32_e32 v0, v0
	v_mov_b32_e32 v228, 0
	v_mov_b32_e32 v229, 0
	v_fmac_f32_e32 v2, v131, v0
	v_or_b32_e32 v0, s1, v172
	v_lshlrev_b32_e32 v12, 2, v0
	v_lshrrev_b32_e32 v130, 1, v0
	v_fmac_f32_e32 v160, v209, v2
	ds_read_b128 v[0:3], v12 offset:33280
	ds_read_b128 v[4:7], v12 offset:33296
	;; [unrolled: 1-line block ×4, first 2 shown]
	ds_read_b64 v[130:131], v130 offset:43584
	s_waitcnt lgkmcnt(4)
	v_dot4c_i32_i8_e32 v227, v68, v0
	s_waitcnt lgkmcnt(3)
	v_dot4c_i32_i8_e32 v226, v72, v4
	v_dot4c_i32_i8_e32 v226, v73, v5
	;; [unrolled: 1-line block ×7, first 2 shown]
	s_waitcnt lgkmcnt(1)
	v_dot4c_i32_i8_e32 v228, v128, v12
	v_mul_lo_u32 v226, v226, v210
	v_dot4c_i32_i8_e32 v228, v129, v13
	v_mad_u64_u32 v[226:227], s[20:21], v227, v211, v[226:227]
	v_cvt_f32_i32_e32 v226, v226
	v_dot4c_i32_i8_e32 v229, v84, v8
	v_dot4c_i32_i8_e32 v228, v126, v14
	;; [unrolled: 1-line block ×6, first 2 shown]
	s_waitcnt lgkmcnt(0)
	v_fma_f32 v230, v130, v226, 0
	v_mul_lo_u32 v226, v228, v213
	v_mov_b32_e32 v228, 0
	v_mad_u64_u32 v[226:227], s[20:21], v229, v212, v[226:227]
	v_cvt_f32_i32_e32 v226, v226
	v_mov_b32_e32 v227, 0
	v_dot4c_i32_i8_e32 v227, v76, v0
	v_dot4c_i32_i8_e32 v227, v77, v1
	v_fmac_f32_e32 v230, v131, v226
	v_mov_b32_e32 v226, 0
	v_dot4c_i32_i8_e32 v226, v80, v4
	v_dot4c_i32_i8_e32 v226, v81, v5
	;; [unrolled: 1-line block ×7, first 2 shown]
	v_mul_lo_u32 v226, v226, v214
	v_mov_b32_e32 v229, 0
	v_mad_u64_u32 v[226:227], s[20:21], v227, v215, v[226:227]
	v_cvt_f32_i32_e32 v226, v226
	v_dot4c_i32_i8_e32 v228, v89, v13
	v_dot4c_i32_i8_e32 v229, v104, v8
	;; [unrolled: 1-line block ×6, first 2 shown]
	v_fmac_f32_e32 v151, v206, v230
	v_dot4c_i32_i8_e32 v229, v101, v11
	v_fma_f32 v230, v130, v226, 0
	v_mul_lo_u32 v226, v228, v217
	v_mov_b32_e32 v228, 0
	v_mad_u64_u32 v[226:227], s[20:21], v229, v216, v[226:227]
	v_cvt_f32_i32_e32 v226, v226
	v_mov_b32_e32 v227, 0
	v_dot4c_i32_i8_e32 v227, v92, v0
	v_dot4c_i32_i8_e32 v227, v93, v1
	v_fmac_f32_e32 v230, v131, v226
	v_mov_b32_e32 v226, 0
	v_dot4c_i32_i8_e32 v226, v96, v4
	v_dot4c_i32_i8_e32 v226, v97, v5
	;; [unrolled: 1-line block ×7, first 2 shown]
	v_mul_lo_u32 v226, v226, v218
	v_mov_b32_e32 v229, 0
	v_mad_u64_u32 v[226:227], s[20:21], v227, v219, v[226:227]
	v_cvt_f32_i32_e32 v226, v226
	v_dot4c_i32_i8_e32 v228, v109, v13
	v_dot4c_i32_i8_e32 v229, v120, v8
	;; [unrolled: 1-line block ×6, first 2 shown]
	v_fmac_f32_e32 v145, v207, v230
	v_dot4c_i32_i8_e32 v229, v117, v11
	v_fma_f32 v230, v130, v226, 0
	v_mul_lo_u32 v226, v228, v221
	v_mov_b32_e32 v228, 0
	v_mad_u64_u32 v[226:227], s[20:21], v229, v220, v[226:227]
	v_cvt_f32_i32_e32 v226, v226
	v_mov_b32_e32 v227, 0
	v_mov_b32_e32 v229, 0
	v_fmac_f32_e32 v230, v131, v226
	v_mov_b32_e32 v226, 0
	v_dot4c_i32_i8_e32 v226, v118, v12
	v_mov_b32_e32 v12, 0
	v_dot4c_i32_i8_e32 v12, v124, v8
	;; [unrolled: 2-line block ×3, first 2 shown]
	v_dot4c_i32_i8_e32 v8, v113, v5
	v_mov_b32_e32 v5, 0
	v_dot4c_i32_i8_e32 v5, v102, v0
	v_dot4c_i32_i8_e32 v8, v110, v6
	v_dot4c_i32_i8_e32 v5, v103, v1
	v_dot4c_i32_i8_e32 v8, v111, v7
	v_dot4c_i32_i8_e32 v5, v98, v2
	v_dot4c_i32_i8_e32 v5, v99, v3
	v_dot4c_i32_i8_e32 v226, v119, v13
	v_mul_lo_u32 v4, v8, v222
	v_dot4c_i32_i8_e32 v226, v114, v14
	v_mad_u64_u32 v[0:1], s[20:21], v5, v223, v[4:5]
	v_cvt_f32_i32_e32 v0, v0
	v_dot4c_i32_i8_e32 v12, v125, v9
	v_dot4c_i32_i8_e32 v226, v115, v15
	;; [unrolled: 1-line block ×4, first 2 shown]
	v_fma_f32 v2, v130, v0, 0
	v_mul_lo_u32 v0, v226, v225
	v_mov_b32_e32 v226, 0
	v_mad_u64_u32 v[0:1], s[20:21], v12, v224, v[0:1]
	v_cvt_f32_i32_e32 v0, v0
	v_fmac_f32_e32 v140, v208, v230
	v_fmac_f32_e32 v2, v131, v0
	v_or_b32_e32 v0, s1, v175
	v_lshlrev_b32_e32 v12, 2, v0
	v_lshrrev_b32_e32 v130, 1, v0
	v_fmac_f32_e32 v138, v209, v2
	ds_read_b128 v[0:3], v12 offset:33280
	ds_read_b128 v[4:7], v12 offset:33296
	;; [unrolled: 1-line block ×4, first 2 shown]
	ds_read_b64 v[130:131], v130 offset:43584
	s_waitcnt lgkmcnt(4)
	v_dot4c_i32_i8_e32 v227, v68, v0
	s_waitcnt lgkmcnt(3)
	v_dot4c_i32_i8_e32 v226, v72, v4
	v_dot4c_i32_i8_e32 v226, v73, v5
	;; [unrolled: 1-line block ×7, first 2 shown]
	s_waitcnt lgkmcnt(1)
	v_dot4c_i32_i8_e32 v228, v128, v12
	v_mul_lo_u32 v226, v226, v210
	v_dot4c_i32_i8_e32 v228, v129, v13
	v_mad_u64_u32 v[226:227], s[20:21], v227, v211, v[226:227]
	v_cvt_f32_i32_e32 v226, v226
	v_dot4c_i32_i8_e32 v229, v84, v8
	v_dot4c_i32_i8_e32 v228, v126, v14
	;; [unrolled: 1-line block ×6, first 2 shown]
	s_waitcnt lgkmcnt(0)
	v_fma_f32 v230, v130, v226, 0
	v_mul_lo_u32 v226, v228, v213
	v_mov_b32_e32 v228, 0
	v_mad_u64_u32 v[226:227], s[20:21], v229, v212, v[226:227]
	v_cvt_f32_i32_e32 v226, v226
	v_mov_b32_e32 v227, 0
	v_dot4c_i32_i8_e32 v227, v76, v0
	v_dot4c_i32_i8_e32 v227, v77, v1
	v_fmac_f32_e32 v230, v131, v226
	v_mov_b32_e32 v226, 0
	v_dot4c_i32_i8_e32 v226, v80, v4
	v_dot4c_i32_i8_e32 v226, v81, v5
	;; [unrolled: 1-line block ×7, first 2 shown]
	v_mul_lo_u32 v226, v226, v214
	v_mov_b32_e32 v229, 0
	v_mad_u64_u32 v[226:227], s[20:21], v227, v215, v[226:227]
	v_cvt_f32_i32_e32 v226, v226
	v_dot4c_i32_i8_e32 v228, v89, v13
	v_dot4c_i32_i8_e32 v229, v104, v8
	;; [unrolled: 1-line block ×6, first 2 shown]
	v_fmac_f32_e32 v137, v206, v230
	v_dot4c_i32_i8_e32 v229, v101, v11
	v_fma_f32 v230, v130, v226, 0
	v_mul_lo_u32 v226, v228, v217
	v_mov_b32_e32 v228, 0
	v_mad_u64_u32 v[226:227], s[20:21], v229, v216, v[226:227]
	v_cvt_f32_i32_e32 v226, v226
	v_mov_b32_e32 v227, 0
	v_dot4c_i32_i8_e32 v227, v92, v0
	v_dot4c_i32_i8_e32 v227, v93, v1
	v_fmac_f32_e32 v230, v131, v226
	v_mov_b32_e32 v226, 0
	v_dot4c_i32_i8_e32 v226, v96, v4
	v_dot4c_i32_i8_e32 v226, v97, v5
	;; [unrolled: 1-line block ×7, first 2 shown]
	v_mul_lo_u32 v226, v226, v218
	v_mov_b32_e32 v229, 0
	v_mad_u64_u32 v[226:227], s[20:21], v227, v219, v[226:227]
	v_cvt_f32_i32_e32 v226, v226
	v_dot4c_i32_i8_e32 v228, v109, v13
	v_dot4c_i32_i8_e32 v229, v120, v8
	;; [unrolled: 1-line block ×6, first 2 shown]
	v_fmac_f32_e32 v136, v207, v230
	v_dot4c_i32_i8_e32 v229, v117, v11
	v_fma_f32 v230, v130, v226, 0
	v_mul_lo_u32 v226, v228, v221
	v_mov_b32_e32 v228, 0
	v_mad_u64_u32 v[226:227], s[20:21], v229, v220, v[226:227]
	v_cvt_f32_i32_e32 v226, v226
	v_mov_b32_e32 v227, 0
	v_mov_b32_e32 v229, 0
	v_fmac_f32_e32 v230, v131, v226
	v_mov_b32_e32 v226, 0
	v_dot4c_i32_i8_e32 v226, v118, v12
	v_mov_b32_e32 v12, 0
	v_dot4c_i32_i8_e32 v12, v124, v8
	;; [unrolled: 2-line block ×3, first 2 shown]
	v_dot4c_i32_i8_e32 v8, v113, v5
	v_mov_b32_e32 v5, 0
	v_dot4c_i32_i8_e32 v5, v102, v0
	v_dot4c_i32_i8_e32 v8, v110, v6
	;; [unrolled: 1-line block ×7, first 2 shown]
	v_mul_lo_u32 v4, v8, v222
	v_dot4c_i32_i8_e32 v226, v114, v14
	v_mad_u64_u32 v[0:1], s[20:21], v5, v223, v[4:5]
	v_cvt_f32_i32_e32 v0, v0
	v_dot4c_i32_i8_e32 v12, v125, v9
	v_dot4c_i32_i8_e32 v226, v115, v15
	;; [unrolled: 1-line block ×4, first 2 shown]
	v_fma_f32 v2, v130, v0, 0
	v_mul_lo_u32 v0, v226, v225
	v_mov_b32_e32 v226, 0
	v_mad_u64_u32 v[0:1], s[20:21], v12, v224, v[0:1]
	v_cvt_f32_i32_e32 v0, v0
	v_fmac_f32_e32 v134, v208, v230
	v_fmac_f32_e32 v2, v131, v0
	v_or_b32_e32 v0, s1, v178
	v_lshlrev_b32_e32 v12, 2, v0
	v_lshrrev_b32_e32 v130, 1, v0
	v_fmac_f32_e32 v133, v209, v2
	ds_read_b128 v[0:3], v12 offset:33280
	ds_read_b128 v[4:7], v12 offset:33296
	ds_read_b128 v[8:11], v12 offset:33312
	ds_read_b128 v[12:15], v12 offset:33328
	ds_read_b64 v[130:131], v130 offset:43584
	s_waitcnt lgkmcnt(4)
	v_dot4c_i32_i8_e32 v227, v68, v0
	s_waitcnt lgkmcnt(3)
	v_dot4c_i32_i8_e32 v226, v72, v4
	v_dot4c_i32_i8_e32 v226, v73, v5
	v_dot4c_i32_i8_e32 v226, v70, v6
	v_dot4c_i32_i8_e32 v227, v69, v1
	v_dot4c_i32_i8_e32 v226, v71, v7
	v_dot4c_i32_i8_e32 v227, v66, v2
	v_dot4c_i32_i8_e32 v227, v67, v3
	s_waitcnt lgkmcnt(1)
	v_dot4c_i32_i8_e32 v228, v128, v12
	v_mul_lo_u32 v226, v226, v210
	v_dot4c_i32_i8_e32 v228, v129, v13
	v_mad_u64_u32 v[226:227], s[20:21], v227, v211, v[226:227]
	v_cvt_f32_i32_e32 v226, v226
	v_dot4c_i32_i8_e32 v229, v84, v8
	v_dot4c_i32_i8_e32 v228, v126, v14
	;; [unrolled: 1-line block ×6, first 2 shown]
	s_waitcnt lgkmcnt(0)
	v_fma_f32 v230, v130, v226, 0
	v_mul_lo_u32 v226, v228, v213
	v_mov_b32_e32 v228, 0
	v_mad_u64_u32 v[226:227], s[20:21], v229, v212, v[226:227]
	v_cvt_f32_i32_e32 v226, v226
	v_mov_b32_e32 v227, 0
	v_dot4c_i32_i8_e32 v227, v76, v0
	v_dot4c_i32_i8_e32 v227, v77, v1
	v_fmac_f32_e32 v230, v131, v226
	v_mov_b32_e32 v226, 0
	v_dot4c_i32_i8_e32 v226, v80, v4
	v_dot4c_i32_i8_e32 v226, v81, v5
	;; [unrolled: 1-line block ×7, first 2 shown]
	v_mul_lo_u32 v226, v226, v214
	v_mov_b32_e32 v229, 0
	v_mad_u64_u32 v[226:227], s[20:21], v227, v215, v[226:227]
	v_cvt_f32_i32_e32 v226, v226
	v_dot4c_i32_i8_e32 v228, v89, v13
	v_dot4c_i32_i8_e32 v229, v104, v8
	;; [unrolled: 1-line block ×6, first 2 shown]
	v_fmac_f32_e32 v132, v206, v230
	v_dot4c_i32_i8_e32 v229, v101, v11
	v_fma_f32 v230, v130, v226, 0
	v_mul_lo_u32 v226, v228, v217
	v_mov_b32_e32 v228, 0
	v_mad_u64_u32 v[226:227], s[20:21], v229, v216, v[226:227]
	v_cvt_f32_i32_e32 v226, v226
	v_mov_b32_e32 v227, 0
	v_dot4c_i32_i8_e32 v227, v92, v0
	v_dot4c_i32_i8_e32 v227, v93, v1
	v_fmac_f32_e32 v230, v131, v226
	v_mov_b32_e32 v226, 0
	v_dot4c_i32_i8_e32 v226, v96, v4
	v_dot4c_i32_i8_e32 v226, v97, v5
	;; [unrolled: 1-line block ×7, first 2 shown]
	v_mul_lo_u32 v226, v226, v218
	v_mov_b32_e32 v229, 0
	v_mad_u64_u32 v[226:227], s[20:21], v227, v219, v[226:227]
	v_cvt_f32_i32_e32 v226, v226
	v_dot4c_i32_i8_e32 v228, v109, v13
	v_dot4c_i32_i8_e32 v229, v120, v8
	;; [unrolled: 1-line block ×6, first 2 shown]
	v_fmac_f32_e32 v65, v207, v230
	v_dot4c_i32_i8_e32 v229, v117, v11
	v_fma_f32 v230, v130, v226, 0
	v_mul_lo_u32 v226, v228, v221
	v_mov_b32_e32 v228, 0
	v_mad_u64_u32 v[226:227], s[20:21], v229, v220, v[226:227]
	v_cvt_f32_i32_e32 v226, v226
	v_mov_b32_e32 v227, 0
	v_mov_b32_e32 v229, 0
	v_fmac_f32_e32 v230, v131, v226
	v_mov_b32_e32 v226, 0
	v_dot4c_i32_i8_e32 v226, v118, v12
	v_mov_b32_e32 v12, 0
	v_dot4c_i32_i8_e32 v12, v124, v8
	;; [unrolled: 2-line block ×3, first 2 shown]
	v_dot4c_i32_i8_e32 v8, v113, v5
	v_mov_b32_e32 v5, 0
	v_dot4c_i32_i8_e32 v5, v102, v0
	v_dot4c_i32_i8_e32 v8, v110, v6
	;; [unrolled: 1-line block ×7, first 2 shown]
	v_mul_lo_u32 v4, v8, v222
	v_dot4c_i32_i8_e32 v226, v114, v14
	v_mad_u64_u32 v[0:1], s[20:21], v5, v223, v[4:5]
	v_cvt_f32_i32_e32 v0, v0
	v_dot4c_i32_i8_e32 v12, v125, v9
	v_dot4c_i32_i8_e32 v226, v115, v15
	;; [unrolled: 1-line block ×4, first 2 shown]
	v_fma_f32 v2, v130, v0, 0
	v_mul_lo_u32 v0, v226, v225
	v_mov_b32_e32 v226, 0
	v_mad_u64_u32 v[0:1], s[20:21], v12, v224, v[0:1]
	v_cvt_f32_i32_e32 v0, v0
	v_fmac_f32_e32 v61, v208, v230
	v_fmac_f32_e32 v2, v131, v0
	v_or_b32_e32 v0, s1, v181
	v_lshlrev_b32_e32 v12, 2, v0
	v_lshrrev_b32_e32 v130, 1, v0
	v_fmac_f32_e32 v59, v209, v2
	ds_read_b128 v[0:3], v12 offset:33280
	ds_read_b128 v[4:7], v12 offset:33296
	;; [unrolled: 1-line block ×4, first 2 shown]
	ds_read_b64 v[130:131], v130 offset:43584
	s_waitcnt lgkmcnt(4)
	v_dot4c_i32_i8_e32 v227, v68, v0
	s_waitcnt lgkmcnt(3)
	v_dot4c_i32_i8_e32 v226, v72, v4
	v_dot4c_i32_i8_e32 v226, v73, v5
	;; [unrolled: 1-line block ×7, first 2 shown]
	s_waitcnt lgkmcnt(1)
	v_dot4c_i32_i8_e32 v228, v128, v12
	v_mul_lo_u32 v226, v226, v210
	v_dot4c_i32_i8_e32 v228, v129, v13
	v_mad_u64_u32 v[226:227], s[20:21], v227, v211, v[226:227]
	v_cvt_f32_i32_e32 v226, v226
	v_dot4c_i32_i8_e32 v229, v84, v8
	v_dot4c_i32_i8_e32 v228, v126, v14
	;; [unrolled: 1-line block ×6, first 2 shown]
	s_waitcnt lgkmcnt(0)
	v_fma_f32 v230, v130, v226, 0
	v_mul_lo_u32 v226, v228, v213
	v_mov_b32_e32 v228, 0
	v_mad_u64_u32 v[226:227], s[20:21], v229, v212, v[226:227]
	v_cvt_f32_i32_e32 v226, v226
	v_mov_b32_e32 v227, 0
	v_dot4c_i32_i8_e32 v227, v76, v0
	v_dot4c_i32_i8_e32 v227, v77, v1
	v_fmac_f32_e32 v230, v131, v226
	v_mov_b32_e32 v226, 0
	v_dot4c_i32_i8_e32 v226, v80, v4
	v_dot4c_i32_i8_e32 v226, v81, v5
	;; [unrolled: 1-line block ×7, first 2 shown]
	v_mul_lo_u32 v226, v226, v214
	v_mov_b32_e32 v229, 0
	v_mad_u64_u32 v[226:227], s[20:21], v227, v215, v[226:227]
	v_cvt_f32_i32_e32 v226, v226
	v_dot4c_i32_i8_e32 v228, v89, v13
	v_dot4c_i32_i8_e32 v229, v104, v8
	v_dot4c_i32_i8_e32 v228, v86, v14
	v_dot4c_i32_i8_e32 v229, v105, v9
	v_dot4c_i32_i8_e32 v228, v87, v15
	v_dot4c_i32_i8_e32 v229, v100, v10
	v_fmac_f32_e32 v53, v206, v230
	v_dot4c_i32_i8_e32 v229, v101, v11
	v_fma_f32 v230, v130, v226, 0
	v_mul_lo_u32 v226, v228, v217
	v_mov_b32_e32 v228, 0
	v_mad_u64_u32 v[226:227], s[20:21], v229, v216, v[226:227]
	v_cvt_f32_i32_e32 v226, v226
	v_mov_b32_e32 v227, 0
	v_dot4c_i32_i8_e32 v227, v92, v0
	v_dot4c_i32_i8_e32 v227, v93, v1
	v_fmac_f32_e32 v230, v131, v226
	v_mov_b32_e32 v226, 0
	v_dot4c_i32_i8_e32 v226, v96, v4
	v_dot4c_i32_i8_e32 v226, v97, v5
	v_dot4c_i32_i8_e32 v226, v94, v6
	v_dot4c_i32_i8_e32 v226, v95, v7
	v_dot4c_i32_i8_e32 v227, v90, v2
	v_dot4c_i32_i8_e32 v227, v91, v3
	v_dot4c_i32_i8_e32 v228, v108, v12
	v_mul_lo_u32 v226, v226, v218
	v_mov_b32_e32 v229, 0
	v_mad_u64_u32 v[226:227], s[20:21], v227, v219, v[226:227]
	v_cvt_f32_i32_e32 v226, v226
	v_dot4c_i32_i8_e32 v228, v109, v13
	v_dot4c_i32_i8_e32 v229, v120, v8
	v_dot4c_i32_i8_e32 v228, v106, v14
	v_dot4c_i32_i8_e32 v229, v121, v9
	v_dot4c_i32_i8_e32 v228, v107, v15
	v_dot4c_i32_i8_e32 v229, v116, v10
	v_fmac_f32_e32 v49, v207, v230
	v_dot4c_i32_i8_e32 v229, v117, v11
	v_fma_f32 v230, v130, v226, 0
	v_mul_lo_u32 v226, v228, v221
	v_mov_b32_e32 v228, 0
	v_mad_u64_u32 v[226:227], s[20:21], v229, v220, v[226:227]
	v_cvt_f32_i32_e32 v226, v226
	v_mov_b32_e32 v227, 0
	v_mov_b32_e32 v229, 0
	v_fmac_f32_e32 v230, v131, v226
	v_mov_b32_e32 v226, 0
	v_dot4c_i32_i8_e32 v226, v118, v12
	v_mov_b32_e32 v12, 0
	v_dot4c_i32_i8_e32 v12, v124, v8
	;; [unrolled: 2-line block ×3, first 2 shown]
	v_dot4c_i32_i8_e32 v8, v113, v5
	v_mov_b32_e32 v5, 0
	v_dot4c_i32_i8_e32 v5, v102, v0
	v_dot4c_i32_i8_e32 v8, v110, v6
	;; [unrolled: 1-line block ×7, first 2 shown]
	v_mul_lo_u32 v4, v8, v222
	v_dot4c_i32_i8_e32 v226, v114, v14
	v_mad_u64_u32 v[0:1], s[20:21], v5, v223, v[4:5]
	v_cvt_f32_i32_e32 v0, v0
	v_dot4c_i32_i8_e32 v12, v125, v9
	v_dot4c_i32_i8_e32 v226, v115, v15
	;; [unrolled: 1-line block ×4, first 2 shown]
	v_fma_f32 v2, v130, v0, 0
	v_mul_lo_u32 v0, v226, v225
	v_mov_b32_e32 v226, 0
	v_mad_u64_u32 v[0:1], s[20:21], v12, v224, v[0:1]
	v_cvt_f32_i32_e32 v0, v0
	v_fmac_f32_e32 v47, v208, v230
	v_fmac_f32_e32 v2, v131, v0
	v_or_b32_e32 v0, s1, v184
	v_lshlrev_b32_e32 v12, 2, v0
	v_lshrrev_b32_e32 v130, 1, v0
	v_fmac_f32_e32 v45, v209, v2
	ds_read_b128 v[0:3], v12 offset:33280
	ds_read_b128 v[4:7], v12 offset:33296
	;; [unrolled: 1-line block ×4, first 2 shown]
	ds_read_b64 v[130:131], v130 offset:43584
	s_waitcnt lgkmcnt(4)
	v_dot4c_i32_i8_e32 v227, v68, v0
	s_waitcnt lgkmcnt(3)
	v_dot4c_i32_i8_e32 v226, v72, v4
	v_dot4c_i32_i8_e32 v226, v73, v5
	;; [unrolled: 1-line block ×7, first 2 shown]
	s_waitcnt lgkmcnt(1)
	v_dot4c_i32_i8_e32 v228, v128, v12
	v_mul_lo_u32 v226, v226, v210
	v_dot4c_i32_i8_e32 v228, v129, v13
	v_mad_u64_u32 v[226:227], s[20:21], v227, v211, v[226:227]
	v_cvt_f32_i32_e32 v226, v226
	v_dot4c_i32_i8_e32 v229, v84, v8
	v_dot4c_i32_i8_e32 v228, v126, v14
	;; [unrolled: 1-line block ×6, first 2 shown]
	s_waitcnt lgkmcnt(0)
	v_fma_f32 v230, v130, v226, 0
	v_mul_lo_u32 v226, v228, v213
	v_mov_b32_e32 v228, 0
	v_mad_u64_u32 v[226:227], s[20:21], v229, v212, v[226:227]
	v_cvt_f32_i32_e32 v226, v226
	v_mov_b32_e32 v227, 0
	v_dot4c_i32_i8_e32 v227, v76, v0
	v_dot4c_i32_i8_e32 v227, v77, v1
	v_fmac_f32_e32 v230, v131, v226
	v_mov_b32_e32 v226, 0
	v_dot4c_i32_i8_e32 v226, v80, v4
	v_dot4c_i32_i8_e32 v226, v81, v5
	;; [unrolled: 1-line block ×7, first 2 shown]
	v_mul_lo_u32 v226, v226, v214
	v_mov_b32_e32 v229, 0
	v_mad_u64_u32 v[226:227], s[20:21], v227, v215, v[226:227]
	v_cvt_f32_i32_e32 v226, v226
	v_dot4c_i32_i8_e32 v228, v89, v13
	v_dot4c_i32_i8_e32 v229, v104, v8
	;; [unrolled: 1-line block ×6, first 2 shown]
	v_fmac_f32_e32 v43, v206, v230
	v_dot4c_i32_i8_e32 v229, v101, v11
	v_fma_f32 v230, v130, v226, 0
	v_mul_lo_u32 v226, v228, v217
	v_mov_b32_e32 v228, 0
	v_mad_u64_u32 v[226:227], s[20:21], v229, v216, v[226:227]
	v_cvt_f32_i32_e32 v226, v226
	v_mov_b32_e32 v227, 0
	v_dot4c_i32_i8_e32 v227, v92, v0
	v_dot4c_i32_i8_e32 v227, v93, v1
	v_fmac_f32_e32 v230, v131, v226
	v_mov_b32_e32 v226, 0
	v_dot4c_i32_i8_e32 v226, v96, v4
	v_dot4c_i32_i8_e32 v226, v97, v5
	;; [unrolled: 1-line block ×7, first 2 shown]
	v_mul_lo_u32 v226, v226, v218
	v_mov_b32_e32 v229, 0
	v_mad_u64_u32 v[226:227], s[20:21], v227, v219, v[226:227]
	v_cvt_f32_i32_e32 v226, v226
	v_dot4c_i32_i8_e32 v228, v109, v13
	v_dot4c_i32_i8_e32 v229, v120, v8
	;; [unrolled: 1-line block ×6, first 2 shown]
	v_fmac_f32_e32 v41, v207, v230
	v_dot4c_i32_i8_e32 v229, v117, v11
	v_fma_f32 v230, v130, v226, 0
	v_mul_lo_u32 v226, v228, v221
	v_mov_b32_e32 v228, 0
	v_mad_u64_u32 v[226:227], s[20:21], v229, v220, v[226:227]
	v_cvt_f32_i32_e32 v226, v226
	v_mov_b32_e32 v227, 0
	v_mov_b32_e32 v229, 0
	v_fmac_f32_e32 v230, v131, v226
	v_mov_b32_e32 v226, 0
	v_dot4c_i32_i8_e32 v226, v118, v12
	v_mov_b32_e32 v12, 0
	v_dot4c_i32_i8_e32 v12, v124, v8
	;; [unrolled: 2-line block ×3, first 2 shown]
	v_dot4c_i32_i8_e32 v8, v113, v5
	v_mov_b32_e32 v5, 0
	v_dot4c_i32_i8_e32 v5, v102, v0
	v_dot4c_i32_i8_e32 v8, v110, v6
	v_dot4c_i32_i8_e32 v5, v103, v1
	v_dot4c_i32_i8_e32 v8, v111, v7
	v_dot4c_i32_i8_e32 v5, v98, v2
	v_dot4c_i32_i8_e32 v5, v99, v3
	v_dot4c_i32_i8_e32 v226, v119, v13
	v_mul_lo_u32 v4, v8, v222
	v_dot4c_i32_i8_e32 v226, v114, v14
	v_mad_u64_u32 v[0:1], s[20:21], v5, v223, v[4:5]
	v_cvt_f32_i32_e32 v0, v0
	v_dot4c_i32_i8_e32 v12, v125, v9
	v_dot4c_i32_i8_e32 v226, v115, v15
	;; [unrolled: 1-line block ×4, first 2 shown]
	v_fma_f32 v2, v130, v0, 0
	v_mul_lo_u32 v0, v226, v225
	v_mov_b32_e32 v226, 0
	v_mad_u64_u32 v[0:1], s[20:21], v12, v224, v[0:1]
	v_cvt_f32_i32_e32 v0, v0
	v_fmac_f32_e32 v39, v208, v230
	v_fmac_f32_e32 v2, v131, v0
	v_or_b32_e32 v0, s1, v187
	v_lshlrev_b32_e32 v12, 2, v0
	v_lshrrev_b32_e32 v130, 1, v0
	v_fmac_f32_e32 v37, v209, v2
	ds_read_b128 v[0:3], v12 offset:33280
	ds_read_b128 v[4:7], v12 offset:33296
	;; [unrolled: 1-line block ×4, first 2 shown]
	ds_read_b64 v[130:131], v130 offset:43584
	s_waitcnt lgkmcnt(4)
	v_dot4c_i32_i8_e32 v227, v68, v0
	s_waitcnt lgkmcnt(3)
	v_dot4c_i32_i8_e32 v226, v72, v4
	v_dot4c_i32_i8_e32 v226, v73, v5
	;; [unrolled: 1-line block ×7, first 2 shown]
	s_waitcnt lgkmcnt(1)
	v_dot4c_i32_i8_e32 v228, v128, v12
	v_mul_lo_u32 v226, v226, v210
	v_dot4c_i32_i8_e32 v228, v129, v13
	v_mad_u64_u32 v[226:227], s[20:21], v227, v211, v[226:227]
	v_cvt_f32_i32_e32 v226, v226
	v_dot4c_i32_i8_e32 v229, v84, v8
	v_dot4c_i32_i8_e32 v228, v126, v14
	;; [unrolled: 1-line block ×6, first 2 shown]
	s_waitcnt lgkmcnt(0)
	v_fma_f32 v230, v130, v226, 0
	v_mul_lo_u32 v226, v228, v213
	v_mov_b32_e32 v228, 0
	v_mad_u64_u32 v[226:227], s[20:21], v229, v212, v[226:227]
	v_cvt_f32_i32_e32 v226, v226
	v_mov_b32_e32 v227, 0
	v_dot4c_i32_i8_e32 v227, v76, v0
	v_dot4c_i32_i8_e32 v227, v77, v1
	v_fmac_f32_e32 v230, v131, v226
	v_mov_b32_e32 v226, 0
	v_dot4c_i32_i8_e32 v226, v80, v4
	v_dot4c_i32_i8_e32 v226, v81, v5
	;; [unrolled: 1-line block ×7, first 2 shown]
	v_mul_lo_u32 v226, v226, v214
	v_mov_b32_e32 v229, 0
	v_mad_u64_u32 v[226:227], s[20:21], v227, v215, v[226:227]
	v_cvt_f32_i32_e32 v226, v226
	v_dot4c_i32_i8_e32 v228, v89, v13
	v_dot4c_i32_i8_e32 v229, v104, v8
	;; [unrolled: 1-line block ×6, first 2 shown]
	v_fmac_f32_e32 v35, v206, v230
	v_dot4c_i32_i8_e32 v229, v101, v11
	v_fma_f32 v230, v130, v226, 0
	v_mul_lo_u32 v226, v228, v217
	v_mov_b32_e32 v228, 0
	v_mad_u64_u32 v[226:227], s[20:21], v229, v216, v[226:227]
	v_cvt_f32_i32_e32 v226, v226
	v_mov_b32_e32 v227, 0
	v_dot4c_i32_i8_e32 v227, v92, v0
	v_dot4c_i32_i8_e32 v227, v93, v1
	v_fmac_f32_e32 v230, v131, v226
	v_mov_b32_e32 v226, 0
	v_dot4c_i32_i8_e32 v226, v96, v4
	v_dot4c_i32_i8_e32 v226, v97, v5
	;; [unrolled: 1-line block ×7, first 2 shown]
	v_mul_lo_u32 v226, v226, v218
	v_mov_b32_e32 v229, 0
	v_mad_u64_u32 v[226:227], s[20:21], v227, v219, v[226:227]
	v_cvt_f32_i32_e32 v226, v226
	v_dot4c_i32_i8_e32 v228, v109, v13
	v_dot4c_i32_i8_e32 v229, v120, v8
	;; [unrolled: 1-line block ×6, first 2 shown]
	v_fmac_f32_e32 v33, v207, v230
	v_dot4c_i32_i8_e32 v229, v117, v11
	v_fma_f32 v230, v130, v226, 0
	v_mul_lo_u32 v226, v228, v221
	s_nop 0
	v_mad_u64_u32 v[226:227], s[20:21], v229, v220, v[226:227]
	v_cvt_f32_i32_e32 v226, v226
	v_fmac_f32_e32 v230, v131, v226
	v_mov_b32_e32 v226, 0
	v_dot4c_i32_i8_e32 v226, v118, v12
	v_mov_b32_e32 v12, 0
	v_dot4c_i32_i8_e32 v12, v124, v8
	;; [unrolled: 2-line block ×3, first 2 shown]
	v_dot4c_i32_i8_e32 v8, v113, v5
	v_mov_b32_e32 v5, 0
	v_dot4c_i32_i8_e32 v5, v102, v0
	v_dot4c_i32_i8_e32 v8, v110, v6
	;; [unrolled: 1-line block ×7, first 2 shown]
	v_mul_lo_u32 v4, v8, v222
	v_dot4c_i32_i8_e32 v226, v114, v14
	v_mad_u64_u32 v[0:1], s[20:21], v5, v223, v[4:5]
	v_cvt_f32_i32_e32 v0, v0
	v_dot4c_i32_i8_e32 v12, v125, v9
	v_dot4c_i32_i8_e32 v226, v115, v15
	;; [unrolled: 1-line block ×4, first 2 shown]
	v_fma_f32 v2, v130, v0, 0
	v_mul_lo_u32 v0, v226, v225
	v_mov_b32_e32 v226, 0
	v_mad_u64_u32 v[0:1], s[20:21], v12, v224, v[0:1]
	v_cvt_f32_i32_e32 v0, v0
	v_fmac_f32_e32 v31, v208, v230
	v_fmac_f32_e32 v2, v131, v0
	v_or_b32_e32 v0, s1, v190
	v_lshlrev_b32_e32 v12, 2, v0
	v_lshrrev_b32_e32 v130, 1, v0
	v_fmac_f32_e32 v29, v209, v2
	ds_read_b128 v[0:3], v12 offset:33280
	ds_read_b128 v[4:7], v12 offset:33296
	;; [unrolled: 1-line block ×4, first 2 shown]
	ds_read_b64 v[130:131], v130 offset:43584
	s_add_i32 s1, s0, 8
	s_cmp_lt_u32 s0, 24
	s_mov_b32 s0, s1
	s_waitcnt lgkmcnt(1)
	v_dot4c_i32_i8_e32 v226, v128, v12
	v_dot4c_i32_i8_e32 v226, v129, v13
	;; [unrolled: 1-line block ×3, first 2 shown]
	v_mov_b32_e32 v126, 0
	v_dot4c_i32_i8_e32 v126, v84, v8
	v_dot4c_i32_i8_e32 v126, v85, v9
	;; [unrolled: 1-line block ×3, first 2 shown]
	v_mov_b32_e32 v82, 0
	v_dot4c_i32_i8_e32 v82, v72, v4
	v_dot4c_i32_i8_e32 v82, v73, v5
	;; [unrolled: 1-line block ×4, first 2 shown]
	v_mov_b32_e32 v71, 0
	v_dot4c_i32_i8_e32 v71, v68, v0
	v_dot4c_i32_i8_e32 v71, v69, v1
	v_dot4c_i32_i8_e32 v71, v66, v2
	v_mul_lo_u32 v70, v82, v210
	v_dot4c_i32_i8_e32 v71, v67, v3
	v_dot4c_i32_i8_e32 v226, v127, v15
	;; [unrolled: 1-line block ×3, first 2 shown]
	v_mov_b32_e32 v69, 0
	v_mad_u64_u32 v[66:67], s[20:21], v71, v211, v[70:71]
	v_cvt_f32_i32_e32 v66, v66
	v_dot4c_i32_i8_e32 v69, v104, v8
	v_dot4c_i32_i8_e32 v69, v105, v9
	;; [unrolled: 1-line block ×3, first 2 shown]
	s_waitcnt lgkmcnt(0)
	v_fma_f32 v68, v130, v66, 0
	v_mul_lo_u32 v66, v226, v213
	v_mad_u64_u32 v[66:67], s[20:21], v126, v212, v[66:67]
	v_cvt_f32_i32_e32 v66, v66
	v_mov_b32_e32 v67, 0
	v_dot4c_i32_i8_e32 v67, v76, v0
	v_dot4c_i32_i8_e32 v67, v77, v1
	v_fmac_f32_e32 v68, v131, v66
	v_mov_b32_e32 v66, 0
	v_dot4c_i32_i8_e32 v66, v80, v4
	v_dot4c_i32_i8_e32 v66, v81, v5
	;; [unrolled: 1-line block ×6, first 2 shown]
	v_fmac_f32_e32 v27, v206, v68
	v_mul_lo_u32 v66, v66, v214
	v_mov_b32_e32 v68, 0
	v_mad_u64_u32 v[66:67], s[20:21], v67, v215, v[66:67]
	v_dot4c_i32_i8_e32 v68, v88, v12
	v_cvt_f32_i32_e32 v66, v66
	v_dot4c_i32_i8_e32 v68, v89, v13
	v_dot4c_i32_i8_e32 v68, v86, v14
	;; [unrolled: 1-line block ×4, first 2 shown]
	v_fma_f32 v70, v130, v66, 0
	s_nop 0
	v_mul_lo_u32 v66, v68, v217
	v_mad_u64_u32 v[66:67], s[20:21], v69, v216, v[66:67]
	v_cvt_f32_i32_e32 v66, v66
	v_mov_b32_e32 v67, 0
	v_dot4c_i32_i8_e32 v67, v92, v0
	v_dot4c_i32_i8_e32 v67, v93, v1
	v_fmac_f32_e32 v70, v131, v66
	v_mov_b32_e32 v66, 0
	v_dot4c_i32_i8_e32 v66, v96, v4
	v_dot4c_i32_i8_e32 v66, v97, v5
	;; [unrolled: 1-line block ×6, first 2 shown]
	v_mov_b32_e32 v68, 0
	v_mul_lo_u32 v66, v66, v218
	v_dot4c_i32_i8_e32 v68, v108, v12
	v_mad_u64_u32 v[66:67], s[20:21], v67, v219, v[66:67]
	v_mov_b32_e32 v69, 0
	v_cvt_f32_i32_e32 v66, v66
	v_dot4c_i32_i8_e32 v68, v109, v13
	v_dot4c_i32_i8_e32 v69, v120, v8
	;; [unrolled: 1-line block ×6, first 2 shown]
	v_fmac_f32_e32 v25, v207, v70
	v_dot4c_i32_i8_e32 v69, v117, v11
	v_fma_f32 v70, v130, v66, 0
	v_mul_lo_u32 v66, v68, v221
	s_nop 0
	v_mad_u64_u32 v[66:67], s[20:21], v69, v220, v[66:67]
	v_cvt_f32_i32_e32 v66, v66
	v_fmac_f32_e32 v70, v131, v66
	v_mov_b32_e32 v66, 0
	v_dot4c_i32_i8_e32 v66, v118, v12
	v_mov_b32_e32 v12, 0
	v_dot4c_i32_i8_e32 v12, v124, v8
	;; [unrolled: 2-line block ×3, first 2 shown]
	v_dot4c_i32_i8_e32 v8, v113, v5
	v_mov_b32_e32 v5, 0
	v_dot4c_i32_i8_e32 v5, v102, v0
	v_dot4c_i32_i8_e32 v8, v110, v6
	;; [unrolled: 1-line block ×7, first 2 shown]
	v_mul_lo_u32 v4, v8, v222
	v_dot4c_i32_i8_e32 v66, v114, v14
	v_mad_u64_u32 v[0:1], s[20:21], v5, v223, v[4:5]
	v_cvt_f32_i32_e32 v0, v0
	v_dot4c_i32_i8_e32 v12, v125, v9
	v_dot4c_i32_i8_e32 v66, v115, v15
	;; [unrolled: 1-line block ×4, first 2 shown]
	v_fma_f32 v2, v130, v0, 0
	v_mul_lo_u32 v0, v66, v225
	v_fmac_f32_e32 v23, v208, v70
	v_mad_u64_u32 v[0:1], s[20:21], v12, v224, v[0:1]
	v_cvt_f32_i32_e32 v0, v0
	v_fmac_f32_e32 v2, v131, v0
	v_fmac_f32_e32 v17, v209, v2
	s_cbranch_scc1 .LBB135_8
; %bb.9:                                ;   in Loop: Header=BB135_5 Depth=1
	s_add_i32 s14, s14, 1
	s_cmp_eq_u32 s14, s4
	s_barrier
	s_cbranch_scc0 .LBB135_5
; %bb.10:
	v_mov_b32_e32 v1, v55
.LBB135_11:
	v_cmp_gt_u32_e32 vcc, s8, v135
	s_and_saveexec_b64 s[0:1], vcc
	s_cbranch_execz .LBB135_62
; %bb.12:
	v_add_u32_e32 v0, s6, v51
	v_mul_lo_u32 v5, v135, s10
	v_cmp_gt_u32_e32 vcc, s10, v0
	s_and_saveexec_b64 s[0:1], vcc
	s_cbranch_execz .LBB135_14
; %bb.13:
	v_add_u32_e32 v2, v0, v5
	v_mov_b32_e32 v3, 0
	s_waitcnt lgkmcnt(0)
	v_lshl_add_u64 v[2:3], v[2:3], 2, s[12:13]
	global_store_dword v[2:3], v169, off
.LBB135_14:
	s_or_b64 exec, exec, s[0:1]
	v_add_u32_e32 v2, 32, v0
	v_cmp_gt_u32_e64 s[0:1], s10, v2
	s_and_saveexec_b64 s[2:3], s[0:1]
	s_cbranch_execz .LBB135_16
; %bb.15:
	v_add_u32_e32 v6, v2, v5
	v_mov_b32_e32 v7, 0
	s_waitcnt lgkmcnt(0)
	v_lshl_add_u64 v[6:7], v[6:7], 2, s[12:13]
	global_store_dword v[6:7], v165, off
.LBB135_16:
	s_or_b64 exec, exec, s[2:3]
	v_add_u32_e32 v3, 64, v0
	v_cmp_gt_u32_e64 s[2:3], s10, v3
	s_and_saveexec_b64 s[4:5], s[2:3]
	;; [unrolled: 12-line block ×3, first 2 shown]
	s_cbranch_execz .LBB135_20
; %bb.19:
	v_add_u32_e32 v6, v4, v5
	v_mov_b32_e32 v7, 0
	s_waitcnt lgkmcnt(0)
	v_lshl_add_u64 v[6:7], v[6:7], 2, s[12:13]
	global_store_dword v[6:7], v160, off
.LBB135_20:
	s_or_b64 exec, exec, s[6:7]
	v_add3_u32 v5, v1, s11, 8
	v_cmp_gt_u32_e64 s[6:7], s8, v5
	s_and_b64 exec, exec, s[6:7]
	s_cbranch_execz .LBB135_62
; %bb.21:
	v_mul_lo_u32 v5, v5, s10
	s_and_saveexec_b64 s[6:7], vcc
	s_cbranch_execnz .LBB135_63
; %bb.22:
	s_or_b64 exec, exec, s[6:7]
	s_and_saveexec_b64 s[6:7], s[0:1]
	s_cbranch_execnz .LBB135_64
.LBB135_23:
	s_or_b64 exec, exec, s[6:7]
	s_and_saveexec_b64 s[6:7], s[2:3]
	s_cbranch_execnz .LBB135_65
.LBB135_24:
	s_or_b64 exec, exec, s[6:7]
	s_and_saveexec_b64 s[6:7], s[4:5]
	s_cbranch_execz .LBB135_26
.LBB135_25:
	v_add_u32_e32 v6, v5, v4
	v_mov_b32_e32 v7, 0
	s_waitcnt lgkmcnt(0)
	v_lshl_add_u64 v[6:7], v[6:7], 2, s[12:13]
	global_store_dword v[6:7], v138, off
.LBB135_26:
	s_or_b64 exec, exec, s[6:7]
	v_add3_u32 v5, v1, s11, 16
	v_cmp_gt_u32_e64 s[6:7], s8, v5
	s_and_b64 exec, exec, s[6:7]
	s_cbranch_execz .LBB135_62
; %bb.27:
	v_mul_lo_u32 v5, v5, s10
	s_and_saveexec_b64 s[6:7], vcc
	s_cbranch_execnz .LBB135_66
; %bb.28:
	s_or_b64 exec, exec, s[6:7]
	s_and_saveexec_b64 s[6:7], s[0:1]
	s_cbranch_execnz .LBB135_67
.LBB135_29:
	s_or_b64 exec, exec, s[6:7]
	s_and_saveexec_b64 s[6:7], s[2:3]
	s_cbranch_execnz .LBB135_68
.LBB135_30:
	s_or_b64 exec, exec, s[6:7]
	s_and_saveexec_b64 s[6:7], s[4:5]
	s_cbranch_execz .LBB135_32
.LBB135_31:
	v_add_u32_e32 v6, v5, v4
	v_mov_b32_e32 v7, 0
	s_waitcnt lgkmcnt(0)
	v_lshl_add_u64 v[6:7], v[6:7], 2, s[12:13]
	global_store_dword v[6:7], v133, off
.LBB135_32:
	s_or_b64 exec, exec, s[6:7]
	v_add3_u32 v5, v1, s11, 24
	v_cmp_gt_u32_e64 s[6:7], s8, v5
	s_and_b64 exec, exec, s[6:7]
	s_cbranch_execz .LBB135_62
; %bb.33:
	v_mul_lo_u32 v5, v5, s10
	s_and_saveexec_b64 s[6:7], vcc
	s_cbranch_execnz .LBB135_69
; %bb.34:
	s_or_b64 exec, exec, s[6:7]
	s_and_saveexec_b64 s[6:7], s[0:1]
	s_cbranch_execnz .LBB135_70
.LBB135_35:
	s_or_b64 exec, exec, s[6:7]
	s_and_saveexec_b64 s[6:7], s[2:3]
	s_cbranch_execnz .LBB135_71
.LBB135_36:
	s_or_b64 exec, exec, s[6:7]
	s_and_saveexec_b64 s[6:7], s[4:5]
	s_cbranch_execz .LBB135_38
.LBB135_37:
	v_add_u32_e32 v6, v5, v4
	v_mov_b32_e32 v7, 0
	s_waitcnt lgkmcnt(0)
	v_lshl_add_u64 v[6:7], v[6:7], 2, s[12:13]
	global_store_dword v[6:7], v59, off
.LBB135_38:
	s_or_b64 exec, exec, s[6:7]
	v_add3_u32 v5, v1, s11, 32
	v_cmp_gt_u32_e64 s[6:7], s8, v5
	s_and_b64 exec, exec, s[6:7]
	s_cbranch_execz .LBB135_62
; %bb.39:
	v_mul_lo_u32 v5, v5, s10
	s_and_saveexec_b64 s[6:7], vcc
	s_cbranch_execnz .LBB135_72
; %bb.40:
	s_or_b64 exec, exec, s[6:7]
	s_and_saveexec_b64 s[6:7], s[0:1]
	s_cbranch_execnz .LBB135_73
.LBB135_41:
	s_or_b64 exec, exec, s[6:7]
	s_and_saveexec_b64 s[6:7], s[2:3]
	s_cbranch_execnz .LBB135_74
.LBB135_42:
	s_or_b64 exec, exec, s[6:7]
	s_and_saveexec_b64 s[6:7], s[4:5]
	s_cbranch_execz .LBB135_44
.LBB135_43:
	v_add_u32_e32 v6, v5, v4
	v_mov_b32_e32 v7, 0
	s_waitcnt lgkmcnt(0)
	v_lshl_add_u64 v[6:7], v[6:7], 2, s[12:13]
	global_store_dword v[6:7], v45, off
.LBB135_44:
	s_or_b64 exec, exec, s[6:7]
	v_add3_u32 v5, v1, s11, 40
	v_cmp_gt_u32_e64 s[6:7], s8, v5
	s_and_b64 exec, exec, s[6:7]
	s_cbranch_execz .LBB135_62
; %bb.45:
	v_mul_lo_u32 v5, v5, s10
	s_and_saveexec_b64 s[6:7], vcc
	s_cbranch_execnz .LBB135_75
; %bb.46:
	s_or_b64 exec, exec, s[6:7]
	s_and_saveexec_b64 s[6:7], s[0:1]
	s_cbranch_execnz .LBB135_76
.LBB135_47:
	s_or_b64 exec, exec, s[6:7]
	s_and_saveexec_b64 s[6:7], s[2:3]
	s_cbranch_execnz .LBB135_77
.LBB135_48:
	s_or_b64 exec, exec, s[6:7]
	s_and_saveexec_b64 s[6:7], s[4:5]
	s_cbranch_execz .LBB135_50
.LBB135_49:
	v_add_u32_e32 v6, v5, v4
	v_mov_b32_e32 v7, 0
	s_waitcnt lgkmcnt(0)
	v_lshl_add_u64 v[6:7], v[6:7], 2, s[12:13]
	global_store_dword v[6:7], v37, off
.LBB135_50:
	s_or_b64 exec, exec, s[6:7]
	v_add3_u32 v5, v1, s11, 48
	v_cmp_gt_u32_e64 s[6:7], s8, v5
	s_and_b64 exec, exec, s[6:7]
	s_cbranch_execz .LBB135_62
; %bb.51:
	v_mul_lo_u32 v5, v5, s10
	s_and_saveexec_b64 s[6:7], vcc
	s_cbranch_execnz .LBB135_78
; %bb.52:
	s_or_b64 exec, exec, s[6:7]
	s_and_saveexec_b64 s[6:7], s[0:1]
	s_cbranch_execnz .LBB135_79
.LBB135_53:
	s_or_b64 exec, exec, s[6:7]
	s_and_saveexec_b64 s[6:7], s[2:3]
	s_cbranch_execnz .LBB135_80
.LBB135_54:
	s_or_b64 exec, exec, s[6:7]
	s_and_saveexec_b64 s[6:7], s[4:5]
	s_cbranch_execz .LBB135_56
.LBB135_55:
	v_add_u32_e32 v6, v5, v4
	v_mov_b32_e32 v7, 0
	s_waitcnt lgkmcnt(0)
	v_lshl_add_u64 v[6:7], v[6:7], 2, s[12:13]
	global_store_dword v[6:7], v29, off
.LBB135_56:
	s_or_b64 exec, exec, s[6:7]
	v_add3_u32 v1, v1, s11, 56
	v_cmp_gt_u32_e64 s[6:7], s8, v1
	s_and_b64 exec, exec, s[6:7]
	s_cbranch_execz .LBB135_62
; %bb.57:
	v_mul_lo_u32 v1, v1, s10
	s_and_saveexec_b64 s[6:7], vcc
	s_cbranch_execnz .LBB135_81
; %bb.58:
	s_or_b64 exec, exec, s[6:7]
	s_and_saveexec_b64 s[6:7], s[0:1]
	s_cbranch_execnz .LBB135_82
.LBB135_59:
	s_or_b64 exec, exec, s[6:7]
	s_and_saveexec_b64 s[0:1], s[2:3]
	s_cbranch_execnz .LBB135_83
.LBB135_60:
	s_or_b64 exec, exec, s[0:1]
	s_and_b64 exec, exec, s[4:5]
	s_cbranch_execz .LBB135_62
.LBB135_61:
	v_add_u32_e32 v0, v1, v4
	v_mov_b32_e32 v1, 0
	s_waitcnt lgkmcnt(0)
	v_lshl_add_u64 v[0:1], v[0:1], 2, s[12:13]
	global_store_dword v[0:1], v17, off
.LBB135_62:
	s_endpgm
.LBB135_63:
	v_add_u32_e32 v6, v5, v0
	v_mov_b32_e32 v7, 0
	s_waitcnt lgkmcnt(0)
	v_lshl_add_u64 v[6:7], v[6:7], 2, s[12:13]
	global_store_dword v[6:7], v151, off
	s_or_b64 exec, exec, s[6:7]
	s_and_saveexec_b64 s[6:7], s[0:1]
	s_cbranch_execz .LBB135_23
.LBB135_64:
	v_add_u32_e32 v6, v5, v2
	v_mov_b32_e32 v7, 0
	s_waitcnt lgkmcnt(0)
	v_lshl_add_u64 v[6:7], v[6:7], 2, s[12:13]
	global_store_dword v[6:7], v145, off
	s_or_b64 exec, exec, s[6:7]
	s_and_saveexec_b64 s[6:7], s[2:3]
	s_cbranch_execz .LBB135_24
.LBB135_65:
	v_add_u32_e32 v6, v5, v3
	v_mov_b32_e32 v7, 0
	s_waitcnt lgkmcnt(0)
	v_lshl_add_u64 v[6:7], v[6:7], 2, s[12:13]
	global_store_dword v[6:7], v140, off
	s_or_b64 exec, exec, s[6:7]
	s_and_saveexec_b64 s[6:7], s[4:5]
	s_cbranch_execnz .LBB135_25
	s_branch .LBB135_26
.LBB135_66:
	v_add_u32_e32 v6, v5, v0
	v_mov_b32_e32 v7, 0
	s_waitcnt lgkmcnt(0)
	v_lshl_add_u64 v[6:7], v[6:7], 2, s[12:13]
	global_store_dword v[6:7], v137, off
	s_or_b64 exec, exec, s[6:7]
	s_and_saveexec_b64 s[6:7], s[0:1]
	s_cbranch_execz .LBB135_29
.LBB135_67:
	v_add_u32_e32 v6, v5, v2
	v_mov_b32_e32 v7, 0
	s_waitcnt lgkmcnt(0)
	v_lshl_add_u64 v[6:7], v[6:7], 2, s[12:13]
	global_store_dword v[6:7], v136, off
	s_or_b64 exec, exec, s[6:7]
	s_and_saveexec_b64 s[6:7], s[2:3]
	s_cbranch_execz .LBB135_30
.LBB135_68:
	v_add_u32_e32 v6, v5, v3
	v_mov_b32_e32 v7, 0
	s_waitcnt lgkmcnt(0)
	v_lshl_add_u64 v[6:7], v[6:7], 2, s[12:13]
	global_store_dword v[6:7], v134, off
	s_or_b64 exec, exec, s[6:7]
	s_and_saveexec_b64 s[6:7], s[4:5]
	s_cbranch_execnz .LBB135_31
	s_branch .LBB135_32
.LBB135_69:
	v_add_u32_e32 v6, v5, v0
	v_mov_b32_e32 v7, 0
	s_waitcnt lgkmcnt(0)
	v_lshl_add_u64 v[6:7], v[6:7], 2, s[12:13]
	global_store_dword v[6:7], v132, off
	s_or_b64 exec, exec, s[6:7]
	s_and_saveexec_b64 s[6:7], s[0:1]
	s_cbranch_execz .LBB135_35
.LBB135_70:
	v_add_u32_e32 v6, v5, v2
	v_mov_b32_e32 v7, 0
	s_waitcnt lgkmcnt(0)
	v_lshl_add_u64 v[6:7], v[6:7], 2, s[12:13]
	global_store_dword v[6:7], v65, off
	s_or_b64 exec, exec, s[6:7]
	s_and_saveexec_b64 s[6:7], s[2:3]
	s_cbranch_execz .LBB135_36
.LBB135_71:
	v_add_u32_e32 v6, v5, v3
	v_mov_b32_e32 v7, 0
	s_waitcnt lgkmcnt(0)
	v_lshl_add_u64 v[6:7], v[6:7], 2, s[12:13]
	global_store_dword v[6:7], v61, off
	s_or_b64 exec, exec, s[6:7]
	s_and_saveexec_b64 s[6:7], s[4:5]
	s_cbranch_execnz .LBB135_37
	s_branch .LBB135_38
.LBB135_72:
	v_add_u32_e32 v6, v5, v0
	v_mov_b32_e32 v7, 0
	s_waitcnt lgkmcnt(0)
	v_lshl_add_u64 v[6:7], v[6:7], 2, s[12:13]
	global_store_dword v[6:7], v53, off
	s_or_b64 exec, exec, s[6:7]
	s_and_saveexec_b64 s[6:7], s[0:1]
	s_cbranch_execz .LBB135_41
.LBB135_73:
	v_add_u32_e32 v6, v5, v2
	v_mov_b32_e32 v7, 0
	s_waitcnt lgkmcnt(0)
	v_lshl_add_u64 v[6:7], v[6:7], 2, s[12:13]
	global_store_dword v[6:7], v49, off
	s_or_b64 exec, exec, s[6:7]
	s_and_saveexec_b64 s[6:7], s[2:3]
	s_cbranch_execz .LBB135_42
.LBB135_74:
	v_add_u32_e32 v6, v5, v3
	v_mov_b32_e32 v7, 0
	s_waitcnt lgkmcnt(0)
	v_lshl_add_u64 v[6:7], v[6:7], 2, s[12:13]
	global_store_dword v[6:7], v47, off
	s_or_b64 exec, exec, s[6:7]
	s_and_saveexec_b64 s[6:7], s[4:5]
	s_cbranch_execnz .LBB135_43
	s_branch .LBB135_44
.LBB135_75:
	v_add_u32_e32 v6, v5, v0
	v_mov_b32_e32 v7, 0
	s_waitcnt lgkmcnt(0)
	v_lshl_add_u64 v[6:7], v[6:7], 2, s[12:13]
	global_store_dword v[6:7], v43, off
	s_or_b64 exec, exec, s[6:7]
	s_and_saveexec_b64 s[6:7], s[0:1]
	s_cbranch_execz .LBB135_47
.LBB135_76:
	v_add_u32_e32 v6, v5, v2
	v_mov_b32_e32 v7, 0
	s_waitcnt lgkmcnt(0)
	v_lshl_add_u64 v[6:7], v[6:7], 2, s[12:13]
	global_store_dword v[6:7], v41, off
	s_or_b64 exec, exec, s[6:7]
	s_and_saveexec_b64 s[6:7], s[2:3]
	s_cbranch_execz .LBB135_48
.LBB135_77:
	v_add_u32_e32 v6, v5, v3
	v_mov_b32_e32 v7, 0
	s_waitcnt lgkmcnt(0)
	v_lshl_add_u64 v[6:7], v[6:7], 2, s[12:13]
	global_store_dword v[6:7], v39, off
	s_or_b64 exec, exec, s[6:7]
	s_and_saveexec_b64 s[6:7], s[4:5]
	s_cbranch_execnz .LBB135_49
	s_branch .LBB135_50
.LBB135_78:
	v_add_u32_e32 v6, v5, v0
	v_mov_b32_e32 v7, 0
	s_waitcnt lgkmcnt(0)
	v_lshl_add_u64 v[6:7], v[6:7], 2, s[12:13]
	global_store_dword v[6:7], v35, off
	s_or_b64 exec, exec, s[6:7]
	s_and_saveexec_b64 s[6:7], s[0:1]
	s_cbranch_execz .LBB135_53
.LBB135_79:
	v_add_u32_e32 v6, v5, v2
	v_mov_b32_e32 v7, 0
	s_waitcnt lgkmcnt(0)
	v_lshl_add_u64 v[6:7], v[6:7], 2, s[12:13]
	global_store_dword v[6:7], v33, off
	s_or_b64 exec, exec, s[6:7]
	s_and_saveexec_b64 s[6:7], s[2:3]
	s_cbranch_execz .LBB135_54
.LBB135_80:
	v_add_u32_e32 v6, v5, v3
	v_mov_b32_e32 v7, 0
	s_waitcnt lgkmcnt(0)
	v_lshl_add_u64 v[6:7], v[6:7], 2, s[12:13]
	global_store_dword v[6:7], v31, off
	s_or_b64 exec, exec, s[6:7]
	s_and_saveexec_b64 s[6:7], s[4:5]
	s_cbranch_execnz .LBB135_55
	s_branch .LBB135_56
.LBB135_81:
	v_add_u32_e32 v6, v1, v0
	v_mov_b32_e32 v7, 0
	s_waitcnt lgkmcnt(0)
	v_lshl_add_u64 v[6:7], v[6:7], 2, s[12:13]
	global_store_dword v[6:7], v27, off
	s_or_b64 exec, exec, s[6:7]
	s_and_saveexec_b64 s[6:7], s[0:1]
	s_cbranch_execz .LBB135_59
.LBB135_82:
	v_add_u32_e32 v6, v1, v2
	v_mov_b32_e32 v7, 0
	s_waitcnt lgkmcnt(0)
	v_lshl_add_u64 v[6:7], v[6:7], 2, s[12:13]
	global_store_dword v[6:7], v25, off
	s_or_b64 exec, exec, s[6:7]
	s_and_saveexec_b64 s[0:1], s[2:3]
	s_cbranch_execz .LBB135_60
.LBB135_83:
	v_add_u32_e32 v2, v1, v3
	v_mov_b32_e32 v3, 0
	s_waitcnt lgkmcnt(0)
	v_lshl_add_u64 v[2:3], v[2:3], 2, s[12:13]
	global_store_dword v[2:3], v23, off
	s_or_b64 exec, exec, s[0:1]
	s_and_b64 exec, exec, s[4:5]
	s_cbranch_execnz .LBB135_61
	s_branch .LBB135_62
	.section	.rodata,"a",@progbits
	.p2align	6, 0x0
	.amdhsa_kernel _ZL12mul_mat_q6_KIfLb0EEvPKvS1_PT_iiiii
		.amdhsa_group_segment_fixed_size 45136
		.amdhsa_private_segment_fixed_size 0
		.amdhsa_kernarg_size 44
		.amdhsa_user_sgpr_count 2
		.amdhsa_user_sgpr_dispatch_ptr 0
		.amdhsa_user_sgpr_queue_ptr 0
		.amdhsa_user_sgpr_kernarg_segment_ptr 1
		.amdhsa_user_sgpr_dispatch_id 0
		.amdhsa_user_sgpr_kernarg_preload_length 0
		.amdhsa_user_sgpr_kernarg_preload_offset 0
		.amdhsa_user_sgpr_private_segment_size 0
		.amdhsa_uses_dynamic_stack 0
		.amdhsa_enable_private_segment 0
		.amdhsa_system_sgpr_workgroup_id_x 1
		.amdhsa_system_sgpr_workgroup_id_y 1
		.amdhsa_system_sgpr_workgroup_id_z 0
		.amdhsa_system_sgpr_workgroup_info 0
		.amdhsa_system_vgpr_workitem_id 1
		.amdhsa_next_free_vgpr 232
		.amdhsa_next_free_sgpr 26
		.amdhsa_accum_offset 232
		.amdhsa_reserve_vcc 1
		.amdhsa_float_round_mode_32 0
		.amdhsa_float_round_mode_16_64 0
		.amdhsa_float_denorm_mode_32 3
		.amdhsa_float_denorm_mode_16_64 3
		.amdhsa_dx10_clamp 1
		.amdhsa_ieee_mode 1
		.amdhsa_fp16_overflow 0
		.amdhsa_tg_split 0
		.amdhsa_exception_fp_ieee_invalid_op 0
		.amdhsa_exception_fp_denorm_src 0
		.amdhsa_exception_fp_ieee_div_zero 0
		.amdhsa_exception_fp_ieee_overflow 0
		.amdhsa_exception_fp_ieee_underflow 0
		.amdhsa_exception_fp_ieee_inexact 0
		.amdhsa_exception_int_div_zero 0
	.end_amdhsa_kernel
	.section	.text._ZL12mul_mat_q6_KIfLb0EEvPKvS1_PT_iiiii,"axG",@progbits,_ZL12mul_mat_q6_KIfLb0EEvPKvS1_PT_iiiii,comdat
.Lfunc_end135:
	.size	_ZL12mul_mat_q6_KIfLb0EEvPKvS1_PT_iiiii, .Lfunc_end135-_ZL12mul_mat_q6_KIfLb0EEvPKvS1_PT_iiiii
                                        ; -- End function
	.section	.AMDGPU.csdata,"",@progbits
; Kernel info:
; codeLenInByte = 19344
; NumSgprs: 32
; NumVgprs: 232
; NumAgprs: 0
; TotalNumVgprs: 232
; ScratchSize: 0
; MemoryBound: 0
; FloatMode: 240
; IeeeMode: 1
; LDSByteSize: 45136 bytes/workgroup (compile time only)
; SGPRBlocks: 3
; VGPRBlocks: 28
; NumSGPRsForWavesPerEU: 32
; NumVGPRsForWavesPerEU: 232
; AccumOffset: 232
; Occupancy: 1
; WaveLimiterHint : 0
; COMPUTE_PGM_RSRC2:SCRATCH_EN: 0
; COMPUTE_PGM_RSRC2:USER_SGPR: 2
; COMPUTE_PGM_RSRC2:TRAP_HANDLER: 0
; COMPUTE_PGM_RSRC2:TGID_X_EN: 1
; COMPUTE_PGM_RSRC2:TGID_Y_EN: 1
; COMPUTE_PGM_RSRC2:TGID_Z_EN: 0
; COMPUTE_PGM_RSRC2:TIDIG_COMP_CNT: 1
; COMPUTE_PGM_RSRC3_GFX90A:ACCUM_OFFSET: 57
; COMPUTE_PGM_RSRC3_GFX90A:TG_SPLIT: 0
	.section	.text._ZL12mul_mat_q6_KIfLb1EEvPKvS1_PT_iiiii,"axG",@progbits,_ZL12mul_mat_q6_KIfLb1EEvPKvS1_PT_iiiii,comdat
	.globl	_ZL12mul_mat_q6_KIfLb1EEvPKvS1_PT_iiiii ; -- Begin function _ZL12mul_mat_q6_KIfLb1EEvPKvS1_PT_iiiii
	.p2align	8
	.type	_ZL12mul_mat_q6_KIfLb1EEvPKvS1_PT_iiiii,@function
_ZL12mul_mat_q6_KIfLb1EEvPKvS1_PT_iiiii: ; @_ZL12mul_mat_q6_KIfLb1EEvPKvS1_PT_iiiii
; %bb.0:
	s_load_dwordx4 s[8:11], s[0:1], 0x18
	s_load_dword s14, s[0:1], 0x28
	s_lshl_b32 s15, s3, 6
	v_bfe_u32 v51, v0, 10, 10
	s_waitcnt lgkmcnt(0)
	s_cmpk_gt_i32 s8, 0xff
	s_cbranch_scc1 .LBB136_2
; %bb.1:
	v_bfe_u32 v1, v0, 10, 10
	v_and_b32_e32 v47, 0x3ff, v0
	v_add_u32_e32 v69, s15, v1
	s_mov_b64 s[4:5], 0
	s_mov_b32 s3, 0
	s_branch .LBB136_3
.LBB136_2:
	s_mov_b64 s[4:5], -1
                                        ; implicit-def: $sgpr3
                                        ; implicit-def: $vgpr1
                                        ; implicit-def: $vgpr47
                                        ; implicit-def: $vgpr69
.LBB136_3:
	s_load_dwordx2 s[12:13], s[0:1], 0x10
	s_lshl_b32 s6, s2, 7
	s_andn2_b64 vcc, exec, s[4:5]
	v_mov_b32_e32 v17, s3
	v_mov_b32_e32 v29, s3
	v_mov_b32_e32 v37, s3
	v_mov_b32_e32 v45, s3
	v_mov_b32_e32 v57, s3
	v_mov_b32_e32 v65, s3
	v_mov_b32_e32 v77, s3
	v_mov_b32_e32 v91, s3
	v_mov_b32_e32 v23, s3
	v_mov_b32_e32 v31, s3
	v_mov_b32_e32 v39, s3
	v_mov_b32_e32 v49, s3
	v_mov_b32_e32 v59, s3
	v_mov_b32_e32 v67, s3
	v_mov_b32_e32 v79, s3
	v_mov_b32_e32 v93, s3
	v_mov_b32_e32 v25, s3
	v_mov_b32_e32 v33, s3
	v_mov_b32_e32 v41, s3
	v_mov_b32_e32 v53, s3
	v_mov_b32_e32 v61, s3
	v_mov_b32_e32 v71, s3
	v_mov_b32_e32 v81, s3
	v_mov_b32_e32 v97, s3
	v_mov_b32_e32 v27, s3
	v_mov_b32_e32 v35, s3
	v_mov_b32_e32 v43, s3
	v_mov_b32_e32 v55, s3
	v_mov_b32_e32 v63, s3
	v_mov_b32_e32 v73, s3
	v_mov_b32_e32 v83, s3
	v_mov_b32_e32 v167, s3
	s_cbranch_vccnz .LBB136_11
; %bb.4:
	v_and_b32_e32 v47, 0x3ff, v0
	s_ashr_i32 s4, s8, 31
	v_and_b32_e32 v6, 31, v47
	s_load_dwordx4 s[0:3], s[0:1], 0x0
	s_lshr_b32 s4, s4, 24
	v_and_b32_e32 v0, 7, v47
	v_cmp_lt_u32_e32 vcc, 15, v6
	s_add_i32 s4, s8, s4
	s_ashr_i32 s5, s11, 31
	v_lshlrev_b32_e32 v0, 2, v0
	v_cndmask_b32_e64 v1, 0, 1, vcc
	s_ashr_i32 s4, s4, 8
	s_lshr_b32 s5, s5, 27
	v_lshl_or_b32 v20, v1, 5, v0
	v_add_u16_e32 v0, -16, v6
	v_cmp_gt_u32_e32 vcc, 16, v6
	s_add_i32 s5, s11, s5
	s_mul_i32 s7, s4, s6
	v_cndmask_b32_e32 v0, v0, v6, vcc
	s_ashr_i32 s11, s5, 5
	s_mul_hi_i32 s8, s7, 0xd2
	s_mulk_i32 s7, 0xd2
	v_cmp_lt_u16_e32 vcc, 7, v0
	s_waitcnt lgkmcnt(0)
	s_add_u32 s7, s0, s7
	s_addc_u32 s8, s1, s8
	v_cndmask_b32_e64 v0, 0, 1, vcc
	s_not_b32 s0, s6
	v_lshlrev_b32_e32 v75, 1, v0
	v_and_b32_e32 v0, 15, v47
	s_add_i32 s1, s0, s9
	v_lshlrev_b32_e32 v0, 2, v0
	v_min_i32_e32 v2, s1, v51
	v_lshl_or_b32 v0, v1, 7, v0
	s_movk_i32 s0, 0x104
	v_add_u32_e32 v7, 8, v51
	v_mad_u64_u32 v[24:25], s[16:17], v2, s0, v[0:1]
	v_min_i32_e32 v1, s1, v7
	v_add_u32_e32 v8, 16, v51
	v_mul_lo_u32 v26, v1, s4
	v_mad_u64_u32 v[28:29], s[16:17], v1, s0, v[0:1]
	v_min_i32_e32 v1, s1, v8
	v_add_u32_e32 v9, 24, v51
	v_mul_lo_u32 v30, v1, s4
	;; [unrolled: 4-line block ×6, first 2 shown]
	v_mad_u64_u32 v[48:49], s[16:17], v1, s0, v[0:1]
	v_min_i32_e32 v1, s1, v13
	v_mul_lo_u32 v50, v1, s4
	v_mad_u64_u32 v[52:53], s[16:17], v1, s0, v[0:1]
	v_add_u32_e32 v1, 64, v51
	v_min_i32_e32 v1, s1, v1
	v_mul_lo_u32 v54, v1, s4
	v_mad_u64_u32 v[56:57], s[16:17], v1, s0, v[0:1]
	v_add_u32_e32 v1, 0x48, v51
	v_min_i32_e32 v1, s1, v1
	v_mul_lo_u32 v58, v1, s4
	v_mad_u64_u32 v[60:61], s[16:17], v1, s0, v[0:1]
	v_add_u32_e32 v1, 0x50, v51
	v_min_i32_e32 v1, s1, v1
	v_mul_lo_u32 v62, v1, s4
	v_mad_u64_u32 v[64:65], s[16:17], v1, s0, v[0:1]
	v_add_u32_e32 v1, 0x58, v51
	v_min_i32_e32 v1, s1, v1
	v_mul_lo_u32 v66, v1, s4
	v_mad_u64_u32 v[68:69], s[16:17], v1, s0, v[0:1]
	v_add_u32_e32 v1, 0x60, v51
	v_min_i32_e32 v1, s1, v1
	v_mul_lo_u32 v70, v1, s4
	v_mad_u64_u32 v[72:73], s[16:17], v1, s0, v[0:1]
	v_add_u32_e32 v1, 0x68, v51
	v_min_i32_e32 v1, s1, v1
	v_mul_lo_u32 v74, v1, s4
	v_mad_u64_u32 v[76:77], s[16:17], v1, s0, v[0:1]
	v_add_u32_e32 v1, 0x70, v51
	v_min_i32_e32 v1, s1, v1
	v_mul_lo_u32 v78, v1, s4
	v_mad_u64_u32 v[80:81], s[16:17], v1, s0, v[0:1]
	v_add_u32_e32 v1, 0x78, v51
	v_min_i32_e32 v1, s1, v1
	v_mad_u64_u32 v[84:85], s[16:17], v1, s0, v[0:1]
	v_lshlrev_b32_e32 v85, 5, v51
	v_add_u32_e32 v0, v85, v47
	v_and_b32_e32 v0, 0x7f, v0
	v_min_i32_e32 v0, s1, v0
	v_mul_lo_u32 v82, v1, s4
	v_ashrrev_i32_e32 v1, 31, v0
	v_lshrrev_b32_e32 v1, 27, v1
	v_add_u32_e32 v1, v0, v1
	v_ashrrev_i32_e32 v1, 5, v1
	v_mul_lo_u32 v86, v0, s4
	v_lshlrev_b32_e32 v1, 2, v1
	v_lshlrev_b32_e32 v0, 2, v0
	s_mov_b32 s18, 0xae40
	v_add3_u32 v87, v1, v0, s18
	v_lshrrev_b32_e32 v0, 2, v47
	v_lshl_add_u32 v1, v51, 3, v0
	v_mul_lo_u32 v22, v2, s4
	v_and_b32_e32 v2, 0x7f, v1
	v_min_i32_e32 v3, s1, v2
	v_ashrrev_i32_e32 v4, 31, v3
	v_lshrrev_b32_e32 v4, 29, v4
	v_add_u32_e32 v4, v3, v4
	v_xor_b32_e32 v2, 64, v2
	v_and_b32_e32 v0, 3, v47
	v_ashrrev_i32_e32 v4, 3, v4
	v_min_i32_e32 v2, s1, v2
	v_mov_b32_e32 v19, 0
	v_lshlrev_b32_e32 v88, 2, v0
	v_mul_lo_u32 v90, v3, s4
	v_lshlrev_b32_e32 v4, 2, v4
	s_mov_b32 s19, 0xa200
	v_lshlrev_b32_e32 v15, 4, v3
	v_ashrrev_i32_e32 v3, 31, v2
	v_lshlrev_b32_e32 v25, 2, v47
	v_add3_u32 v14, v4, v88, s19
	v_lshrrev_b32_e32 v3, 29, v3
	v_and_b32_e32 v4, 28, v25
	v_mov_b32_e32 v5, v19
	v_and_b32_e32 v1, 63, v1
	v_add_u32_e32 v3, v2, v3
	s_add_i32 s1, s10, -1
	v_lshl_add_u64 v[94:95], s[2:3], 0, v[4:5]
	v_or_b32_e32 v4, s15, v1
	v_ashrrev_i32_e32 v3, 3, v3
	v_min_i32_e32 v4, s1, v4
	v_lshlrev_b32_e32 v3, 2, v3
	v_add_u32_e32 v69, s15, v51
	v_mad_u64_u32 v[96:97], s[16:17], v4, s11, v[0:1]
	v_lshl_or_b32 v0, v1, 4, v88
	v_mul_lo_u32 v92, v2, s4
	v_add3_u32 v17, v3, v88, s19
	v_lshlrev_b32_e32 v23, 4, v2
	v_cvt_f64_i32_e32 v[2:3], s1
	v_add_u32_e32 v164, 0xaa40, v0
	v_cvt_f64_u32_e32 v[0:1], v69
	v_min_f64 v[0:1], v[0:1], v[2:3]
	v_cvt_i32_f64_e32 v0, v[0:1]
	v_mul_lo_u32 v166, s11, v0
	v_or_b32_e32 v0, v85, v6
	v_mov_b32_e32 v4, 0x8200
	v_lshl_add_u32 v168, v0, 2, v4
	v_add_u32_e32 v0, 8, v69
	v_cvt_f64_u32_e32 v[0:1], v0
	v_min_f64 v[0:1], v[0:1], v[2:3]
	v_cvt_i32_f64_e32 v0, v[0:1]
	v_lshlrev_b32_e32 v170, 5, v7
	v_mul_lo_u32 v169, s11, v0
	v_or_b32_e32 v0, v170, v6
	v_lshl_add_u32 v171, v0, 2, v4
	v_add_u32_e32 v0, 16, v69
	v_cvt_f64_u32_e32 v[0:1], v0
	v_min_f64 v[0:1], v[0:1], v[2:3]
	v_cvt_i32_f64_e32 v0, v[0:1]
	v_lshlrev_b32_e32 v173, 5, v8
	v_mul_lo_u32 v172, s11, v0
	v_or_b32_e32 v0, v173, v6
	;; [unrolled: 8-line block ×6, first 2 shown]
	v_lshl_add_u32 v186, v0, 2, v4
	v_add_u32_e32 v0, 56, v69
	v_cvt_f64_u32_e32 v[0:1], v0
	v_min_f64 v[0:1], v[0:1], v[2:3]
	v_cvt_i32_f64_e32 v0, v[0:1]
	v_lshlrev_b32_e32 v188, 5, v13
	v_lshrrev_b32_e32 v16, 5, v47
	v_mul_lo_u32 v187, s11, v0
	v_or_b32_e32 v0, v188, v6
	v_lshl_add_u32 v189, v0, 2, v4
	v_lshlrev_b32_e32 v0, 2, v16
	v_add3_u32 v190, v0, v25, s18
	v_add_u32_e32 v0, 32, v47
	v_lshrrev_b32_e32 v191, 3, v0
	v_and_b32_e32 v1, 60, v191
	v_add3_u32 v192, v25, v1, s18
	v_add_u32_e32 v1, 64, v47
	v_lshrrev_b32_e32 v2, 3, v1
	v_and_b32_e32 v2, 60, v2
	v_add3_u32 v193, v25, v2, s18
	v_add_u32_e32 v2, 0x60, v47
	v_lshrrev_b32_e32 v3, 3, v2
	v_lshrrev_b32_e32 v165, 3, v47
	v_and_b32_e32 v3, 60, v3
	v_add3_u32 v194, v25, v3, s18
	v_lshlrev_b32_e32 v3, 2, v165
	v_lshlrev_b32_e32 v4, 4, v47
	v_add3_u32 v195, v4, v3, s19
	v_lshlrev_b32_e32 v3, 2, v191
	v_lshlrev_b32_e32 v0, 4, v0
	v_add3_u32 v197, v3, v0, s19
	v_mov_b32_e32 v0, 0x2080
	v_mad_u32_u24 v198, v47, s0, v0
	v_lshrrev_b32_e32 v0, 1, v1
	v_and_b32_e32 v0, 0xfc, v0
	v_lshlrev_b32_e32 v1, 4, v1
	v_add3_u32 v199, v1, v0, s19
	v_mov_b32_e32 v0, 0x4100
	v_mad_u32_u24 v200, v47, s0, v0
	v_lshrrev_b32_e32 v0, 1, v2
	v_and_b32_e32 v0, 0xfc, v0
	v_lshlrev_b32_e32 v1, 4, v2
	v_add3_u32 v201, v1, v0, s19
	v_mov_b32_e32 v0, 0x6180
	s_movk_i32 s5, 0xd2
	s_mov_b32 s9, 0
	v_lshlrev_b32_e32 v18, 2, v6
	v_mov_b32_e32 v21, v19
	v_mov_b32_e32 v89, v19
	v_mul_u32_u24_e32 v196, 0x104, v47
	v_mad_u32_u24 v202, v47, s0, v0
	s_mov_b32 s11, 0xf0f0f0f
	s_mov_b32 s16, 0x30303030
	s_movk_i32 s17, 0x3f00
	s_movk_i32 s18, 0xe000
	v_add_u32_e32 v203, v14, v15
	v_add_u32_e32 v204, v17, v23
	v_mov_b32_e32 v205, 8
	v_mov_b32_e32 v167, v19
	;; [unrolled: 1-line block ×33, first 2 shown]
.LBB136_5:                              ; =>This Loop Header: Depth=1
                                        ;     Child Loop BB136_6 Depth 2
                                        ;     Child Loop BB136_8 Depth 2
	s_mul_i32 s0, s9, 0xd2
	s_mul_hi_u32 s1, s9, 0xd2
	s_add_u32 s0, s7, s0
	s_addc_u32 s1, s8, s1
	v_mov_b64_e32 v[0:1], s[0:1]
	v_mad_u64_u32 v[2:3], s[20:21], v16, s5, v[0:1]
	v_mad_i64_i32 v[4:5], s[20:21], v22, s5, v[2:3]
	v_lshl_add_u64 v[6:7], v[4:5], 0, v[18:19]
	v_lshl_add_u64 v[4:5], v[4:5], 0, v[20:21]
	v_mad_i64_i32 v[8:9], s[20:21], v26, s5, v[2:3]
	global_load_dword v12, v[6:7], off
	v_lshl_add_u64 v[10:11], v[8:9], 0, v[18:19]
	v_lshl_add_u64 v[8:9], v[8:9], 0, v[20:21]
	v_mad_i64_i32 v[6:7], s[20:21], v30, s5, v[2:3]
	global_load_dword v13, v[4:5], off offset:128
	global_load_dword v14, v[10:11], off
	v_lshl_add_u64 v[4:5], v[6:7], 0, v[18:19]
	global_load_dword v15, v[8:9], off offset:128
	global_load_dword v98, v[4:5], off
	v_lshl_add_u64 v[4:5], v[6:7], 0, v[20:21]
	global_load_dword v99, v[4:5], off offset:128
	v_mad_i64_i32 v[4:5], s[20:21], v34, s5, v[2:3]
	v_lshl_add_u64 v[8:9], v[4:5], 0, v[18:19]
	v_lshl_add_u64 v[4:5], v[4:5], 0, v[20:21]
	global_load_dword v8, v[8:9], off
	s_nop 0
	global_load_dword v9, v[4:5], off offset:128
	v_mad_i64_i32 v[6:7], s[20:21], v38, s5, v[2:3]
	v_lshl_add_u64 v[10:11], v[6:7], 0, v[18:19]
	s_lshl_b32 s19, s9, 3
	v_mad_i64_i32 v[0:1], s[20:21], v86, s5, v[0:1]
	v_add_u32_e32 v206, s19, v96
	s_waitcnt vmcnt(7)
	v_and_b32_e32 v4, 0xf0f0f0f, v12
	v_lshrrev_b32_e32 v5, 4, v12
	s_waitcnt vmcnt(6)
	v_ashrrev_i32_e32 v12, v75, v13
	v_lshlrev_b32_e32 v101, 4, v12
	s_waitcnt vmcnt(4)
	v_ashrrev_i32_e32 v15, v75, v15
	v_and_b32_e32 v12, 0x30303030, v12
	v_and_b32_e32 v13, 0xf0f0f0f, v14
	v_lshrrev_b32_e32 v14, 4, v14
	v_lshlrev_b32_e32 v102, 4, v15
	v_and_b32_e32 v15, 0x30303030, v15
	v_and_or_b32 v4, v101, s16, v4
	v_and_or_b32 v5, v5, s11, v12
	;; [unrolled: 1-line block ×4, first 2 shown]
	v_and_b32_e32 v14, 0x3f00, v4
	v_lshlrev_b16_e32 v15, 8, v4
	v_and_b32_sdwa v101, v4, s17 dst_sel:DWORD dst_unused:UNUSED_PAD src0_sel:WORD_1 src1_sel:DWORD
	v_lshlrev_b16_sdwa v4, v205, v4 dst_sel:DWORD dst_unused:UNUSED_PAD src0_sel:DWORD src1_sel:WORD_1
	v_and_b32_e32 v102, 0x3f00, v5
	v_lshlrev_b16_e32 v103, 8, v5
	v_and_b32_sdwa v104, v5, s17 dst_sel:DWORD dst_unused:UNUSED_PAD src0_sel:WORD_1 src1_sel:DWORD
	v_lshlrev_b16_sdwa v5, v205, v5 dst_sel:DWORD dst_unused:UNUSED_PAD src0_sel:DWORD src1_sel:WORD_1
	;; [unrolled: 4-line block ×4, first 2 shown]
	v_add_u16_e32 v15, 0xe000, v15
	v_add_u16_e32 v4, 0xe000, v4
	v_add_u16_e32 v103, 0xe000, v103
	v_add_u16_e32 v5, 0xe000, v5
	v_add_u16_e32 v106, 0xe000, v106
	v_add_u16_e32 v12, 0xe000, v12
	v_add_u16_e32 v109, 0xe000, v109
	v_add_u16_e32 v13, 0xe000, v13
	v_or_b32_sdwa v14, v14, v15 dst_sel:DWORD dst_unused:UNUSED_PAD src0_sel:DWORD src1_sel:BYTE_1
	v_or_b32_sdwa v4, v101, v4 dst_sel:DWORD dst_unused:UNUSED_PAD src0_sel:DWORD src1_sel:BYTE_1
	;; [unrolled: 1-line block ×8, first 2 shown]
	v_add_u16_e32 v14, 0xe000, v14
	v_add_u16_sdwa v4, v4, s18 dst_sel:WORD_1 dst_unused:UNUSED_PAD src0_sel:DWORD src1_sel:DWORD
	v_add_u16_e32 v15, 0xe000, v15
	v_add_u16_sdwa v5, v5, s18 dst_sel:WORD_1 dst_unused:UNUSED_PAD src0_sel:DWORD src1_sel:DWORD
	v_add_u16_e32 v101, 0xe000, v101
	v_add_u16_sdwa v12, v12, s18 dst_sel:WORD_1 dst_unused:UNUSED_PAD src0_sel:DWORD src1_sel:DWORD
	v_add_u16_e32 v102, 0xe000, v102
	v_add_u16_sdwa v13, v13, s18 dst_sel:WORD_1 dst_unused:UNUSED_PAD src0_sel:DWORD src1_sel:DWORD
	v_or_b32_e32 v4, v14, v4
	v_or_b32_e32 v5, v15, v5
	;; [unrolled: 1-line block ×4, first 2 shown]
	ds_write2_b32 v24, v4, v5 offset1:16
	ds_write2_b32 v28, v12, v13 offset1:16
	v_lshl_add_u64 v[4:5], v[6:7], 0, v[20:21]
	global_load_dword v10, v[10:11], off
	s_waitcnt vmcnt(4)
	v_and_b32_e32 v100, 0xf0f0f0f, v98
	global_load_dword v11, v[4:5], off offset:128
	s_waitcnt vmcnt(4)
	v_ashrrev_i32_e32 v5, v75, v99
	v_lshlrev_b32_e32 v6, 4, v5
	v_and_or_b32 v6, v6, s16, v100
	v_lshlrev_b16_e32 v12, 8, v6
	v_and_b32_e32 v7, 0x3f00, v6
	v_add_u16_e32 v12, 0xe000, v12
	v_or_b32_sdwa v7, v7, v12 dst_sel:DWORD dst_unused:UNUSED_PAD src0_sel:DWORD src1_sel:BYTE_1
	v_and_b32_sdwa v12, v6, s17 dst_sel:DWORD dst_unused:UNUSED_PAD src0_sel:WORD_1 src1_sel:DWORD
	v_lshlrev_b16_sdwa v6, v205, v6 dst_sel:DWORD dst_unused:UNUSED_PAD src0_sel:DWORD src1_sel:WORD_1
	v_add_u16_e32 v6, 0xe000, v6
	v_lshrrev_b32_e32 v4, 4, v98
	v_and_b32_e32 v5, 0x30303030, v5
	v_or_b32_sdwa v6, v12, v6 dst_sel:DWORD dst_unused:UNUSED_PAD src0_sel:DWORD src1_sel:BYTE_1
	v_add_u16_e32 v7, 0xe000, v7
	v_add_u16_sdwa v6, v6, s18 dst_sel:WORD_1 dst_unused:UNUSED_PAD src0_sel:DWORD src1_sel:DWORD
	v_and_or_b32 v4, v4, s11, v5
	v_or_b32_e32 v12, v7, v6
	v_lshlrev_b16_e32 v6, 8, v4
	v_and_b32_e32 v5, 0x3f00, v4
	v_add_u16_e32 v6, 0xe000, v6
	v_or_b32_sdwa v5, v5, v6 dst_sel:DWORD dst_unused:UNUSED_PAD src0_sel:DWORD src1_sel:BYTE_1
	v_add_u16_e32 v13, 0xe000, v5
	v_and_b32_sdwa v14, v4, s17 dst_sel:DWORD dst_unused:UNUSED_PAD src0_sel:WORD_1 src1_sel:DWORD
	v_lshlrev_b16_sdwa v15, v205, v4 dst_sel:DWORD dst_unused:UNUSED_PAD src0_sel:DWORD src1_sel:WORD_1
	v_mad_i64_i32 v[4:5], s[20:21], v42, s5, v[2:3]
	v_lshl_add_u64 v[6:7], v[4:5], 0, v[18:19]
	v_lshl_add_u64 v[4:5], v[4:5], 0, v[20:21]
	global_load_dword v98, v[6:7], off
	global_load_dword v99, v[4:5], off offset:128
	v_add_u16_e32 v4, 0xe000, v15
	v_or_b32_sdwa v4, v14, v4 dst_sel:DWORD dst_unused:UNUSED_PAD src0_sel:DWORD src1_sel:BYTE_1
	v_add_u16_sdwa v4, v4, s18 dst_sel:WORD_1 dst_unused:UNUSED_PAD src0_sel:DWORD src1_sel:DWORD
	s_waitcnt vmcnt(4)
	v_ashrrev_i32_e32 v6, v75, v9
	v_or_b32_e32 v4, v13, v4
	ds_write2_b32 v32, v12, v4 offset1:16
	v_and_b32_e32 v4, 0xf0f0f0f, v8
	v_lshlrev_b32_e32 v7, 4, v6
	v_and_or_b32 v4, v7, s16, v4
	v_lshrrev_b32_e32 v5, 4, v8
	v_lshlrev_b16_e32 v8, 8, v4
	v_and_b32_e32 v7, 0x3f00, v4
	v_add_u16_e32 v8, 0xe000, v8
	v_or_b32_sdwa v7, v7, v8 dst_sel:DWORD dst_unused:UNUSED_PAD src0_sel:DWORD src1_sel:BYTE_1
	v_and_b32_sdwa v8, v4, s17 dst_sel:DWORD dst_unused:UNUSED_PAD src0_sel:WORD_1 src1_sel:DWORD
	v_lshlrev_b16_sdwa v4, v205, v4 dst_sel:DWORD dst_unused:UNUSED_PAD src0_sel:DWORD src1_sel:WORD_1
	v_add_u16_e32 v4, 0xe000, v4
	v_or_b32_sdwa v4, v8, v4 dst_sel:DWORD dst_unused:UNUSED_PAD src0_sel:DWORD src1_sel:BYTE_1
	v_and_b32_e32 v6, 0x30303030, v6
	v_add_u16_e32 v7, 0xe000, v7
	v_add_u16_sdwa v4, v4, s18 dst_sel:WORD_1 dst_unused:UNUSED_PAD src0_sel:DWORD src1_sel:DWORD
	v_and_or_b32 v9, v5, s11, v6
	v_or_b32_e32 v8, v7, v4
	v_mad_i64_i32 v[4:5], s[20:21], v46, s5, v[2:3]
	v_lshl_add_u64 v[6:7], v[4:5], 0, v[18:19]
	global_load_dword v13, v[6:7], off
	v_lshlrev_b16_e32 v6, 8, v9
	v_and_b32_e32 v12, 0x3f00, v9
	v_add_u16_e32 v6, 0xe000, v6
	v_lshl_add_u64 v[4:5], v[4:5], 0, v[20:21]
	v_or_b32_sdwa v6, v12, v6 dst_sel:DWORD dst_unused:UNUSED_PAD src0_sel:DWORD src1_sel:BYTE_1
	global_load_dword v12, v[4:5], off offset:128
	v_and_b32_sdwa v7, v9, s17 dst_sel:DWORD dst_unused:UNUSED_PAD src0_sel:WORD_1 src1_sel:DWORD
	v_lshlrev_b16_sdwa v9, v205, v9 dst_sel:DWORD dst_unused:UNUSED_PAD src0_sel:DWORD src1_sel:WORD_1
	v_add_u16_e32 v4, 0xe000, v9
	v_or_b32_sdwa v4, v7, v4 dst_sel:DWORD dst_unused:UNUSED_PAD src0_sel:DWORD src1_sel:BYTE_1
	v_add_u16_e32 v6, 0xe000, v6
	v_add_u16_sdwa v4, v4, s18 dst_sel:WORD_1 dst_unused:UNUSED_PAD src0_sel:DWORD src1_sel:DWORD
	s_nop 0
	v_or_b32_e32 v4, v6, v4
	ds_write2_b32 v36, v8, v4 offset1:16
	v_mad_i64_i32 v[4:5], s[20:21], v50, s5, v[2:3]
	v_lshl_add_u64 v[6:7], v[4:5], 0, v[18:19]
	v_lshl_add_u64 v[4:5], v[4:5], 0, v[20:21]
	global_load_dword v8, v[6:7], off
	global_load_dword v9, v[4:5], off offset:128
	s_waitcnt vmcnt(7)
	v_and_b32_e32 v4, 0xf0f0f0f, v10
	v_lshrrev_b32_e32 v5, 4, v10
	s_waitcnt vmcnt(6)
	v_ashrrev_i32_e32 v6, v75, v11
	v_lshlrev_b32_e32 v7, 4, v6
	v_and_or_b32 v4, v7, s16, v4
	v_lshlrev_b16_e32 v10, 8, v4
	v_and_b32_e32 v7, 0x3f00, v4
	v_add_u16_e32 v10, 0xe000, v10
	v_or_b32_sdwa v7, v7, v10 dst_sel:DWORD dst_unused:UNUSED_PAD src0_sel:DWORD src1_sel:BYTE_1
	v_and_b32_sdwa v10, v4, s17 dst_sel:DWORD dst_unused:UNUSED_PAD src0_sel:WORD_1 src1_sel:DWORD
	v_lshlrev_b16_sdwa v4, v205, v4 dst_sel:DWORD dst_unused:UNUSED_PAD src0_sel:DWORD src1_sel:WORD_1
	v_add_u16_e32 v4, 0xe000, v4
	v_and_b32_e32 v6, 0x30303030, v6
	v_or_b32_sdwa v4, v10, v4 dst_sel:DWORD dst_unused:UNUSED_PAD src0_sel:DWORD src1_sel:BYTE_1
	v_add_u16_e32 v7, 0xe000, v7
	v_add_u16_sdwa v4, v4, s18 dst_sel:WORD_1 dst_unused:UNUSED_PAD src0_sel:DWORD src1_sel:DWORD
	v_and_or_b32 v5, v5, s11, v6
	v_or_b32_e32 v4, v7, v4
	v_lshlrev_b16_e32 v7, 8, v5
	v_and_b32_e32 v6, 0x3f00, v5
	v_add_u16_e32 v7, 0xe000, v7
	v_or_b32_sdwa v6, v6, v7 dst_sel:DWORD dst_unused:UNUSED_PAD src0_sel:DWORD src1_sel:BYTE_1
	v_and_b32_sdwa v7, v5, s17 dst_sel:DWORD dst_unused:UNUSED_PAD src0_sel:WORD_1 src1_sel:DWORD
	v_lshlrev_b16_sdwa v5, v205, v5 dst_sel:DWORD dst_unused:UNUSED_PAD src0_sel:DWORD src1_sel:WORD_1
	v_add_u16_e32 v5, 0xe000, v5
	v_or_b32_sdwa v5, v7, v5 dst_sel:DWORD dst_unused:UNUSED_PAD src0_sel:DWORD src1_sel:BYTE_1
	v_add_u16_e32 v6, 0xe000, v6
	v_add_u16_sdwa v5, v5, s18 dst_sel:WORD_1 dst_unused:UNUSED_PAD src0_sel:DWORD src1_sel:DWORD
	s_nop 0
	v_or_b32_e32 v5, v6, v5
	ds_write2_b32 v40, v4, v5 offset1:16
	s_waitcnt vmcnt(5)
	v_and_b32_e32 v4, 0xf0f0f0f, v98
	s_waitcnt vmcnt(4)
	v_ashrrev_i32_e32 v6, v75, v99
	v_lshlrev_b32_e32 v7, 4, v6
	v_and_or_b32 v4, v7, s16, v4
	v_lshlrev_b16_e32 v10, 8, v4
	v_and_b32_e32 v7, 0x3f00, v4
	v_add_u16_e32 v10, 0xe000, v10
	v_or_b32_sdwa v7, v7, v10 dst_sel:DWORD dst_unused:UNUSED_PAD src0_sel:DWORD src1_sel:BYTE_1
	v_and_b32_sdwa v10, v4, s17 dst_sel:DWORD dst_unused:UNUSED_PAD src0_sel:WORD_1 src1_sel:DWORD
	v_lshlrev_b16_sdwa v4, v205, v4 dst_sel:DWORD dst_unused:UNUSED_PAD src0_sel:DWORD src1_sel:WORD_1
	v_add_u16_e32 v4, 0xe000, v4
	v_lshrrev_b32_e32 v5, 4, v98
	v_and_b32_e32 v6, 0x30303030, v6
	v_or_b32_sdwa v4, v10, v4 dst_sel:DWORD dst_unused:UNUSED_PAD src0_sel:DWORD src1_sel:BYTE_1
	v_add_u16_e32 v7, 0xe000, v7
	v_add_u16_sdwa v4, v4, s18 dst_sel:WORD_1 dst_unused:UNUSED_PAD src0_sel:DWORD src1_sel:DWORD
	v_and_or_b32 v5, v5, s11, v6
	v_or_b32_e32 v4, v7, v4
	v_lshlrev_b16_e32 v7, 8, v5
	v_and_b32_e32 v6, 0x3f00, v5
	v_add_u16_e32 v7, 0xe000, v7
	v_or_b32_sdwa v6, v6, v7 dst_sel:DWORD dst_unused:UNUSED_PAD src0_sel:DWORD src1_sel:BYTE_1
	v_and_b32_sdwa v7, v5, s17 dst_sel:DWORD dst_unused:UNUSED_PAD src0_sel:WORD_1 src1_sel:DWORD
	v_lshlrev_b16_sdwa v5, v205, v5 dst_sel:DWORD dst_unused:UNUSED_PAD src0_sel:DWORD src1_sel:WORD_1
	v_add_u16_e32 v5, 0xe000, v5
	v_or_b32_sdwa v5, v7, v5 dst_sel:DWORD dst_unused:UNUSED_PAD src0_sel:DWORD src1_sel:BYTE_1
	v_add_u16_e32 v6, 0xe000, v6
	v_add_u16_sdwa v5, v5, s18 dst_sel:WORD_1 dst_unused:UNUSED_PAD src0_sel:DWORD src1_sel:DWORD
	s_waitcnt vmcnt(3)
	v_and_b32_e32 v10, 0xf0f0f0f, v13
	v_or_b32_e32 v5, v6, v5
	ds_write2_b32 v44, v4, v5 offset1:16
	v_mad_i64_i32 v[4:5], s[20:21], v54, s5, v[2:3]
	v_lshl_add_u64 v[6:7], v[4:5], 0, v[18:19]
	v_lshl_add_u64 v[4:5], v[4:5], 0, v[20:21]
	global_load_dword v11, v[6:7], off
	global_load_dword v14, v[4:5], off offset:128
	s_waitcnt vmcnt(4)
	v_ashrrev_i32_e32 v5, v75, v12
	v_lshlrev_b32_e32 v6, 4, v5
	v_and_or_b32 v6, v6, s16, v10
	v_lshlrev_b16_e32 v10, 8, v6
	v_and_b32_e32 v7, 0x3f00, v6
	v_add_u16_e32 v10, 0xe000, v10
	v_or_b32_sdwa v7, v7, v10 dst_sel:DWORD dst_unused:UNUSED_PAD src0_sel:DWORD src1_sel:BYTE_1
	v_and_b32_sdwa v10, v6, s17 dst_sel:DWORD dst_unused:UNUSED_PAD src0_sel:WORD_1 src1_sel:DWORD
	v_lshlrev_b16_sdwa v6, v205, v6 dst_sel:DWORD dst_unused:UNUSED_PAD src0_sel:DWORD src1_sel:WORD_1
	v_add_u16_e32 v6, 0xe000, v6
	v_lshrrev_b32_e32 v4, 4, v13
	v_and_b32_e32 v5, 0x30303030, v5
	v_or_b32_sdwa v6, v10, v6 dst_sel:DWORD dst_unused:UNUSED_PAD src0_sel:DWORD src1_sel:BYTE_1
	v_add_u16_e32 v7, 0xe000, v7
	v_add_u16_sdwa v6, v6, s18 dst_sel:WORD_1 dst_unused:UNUSED_PAD src0_sel:DWORD src1_sel:DWORD
	v_and_or_b32 v4, v4, s11, v5
	v_or_b32_e32 v10, v7, v6
	v_lshlrev_b16_e32 v6, 8, v4
	v_and_b32_e32 v5, 0x3f00, v4
	v_add_u16_e32 v6, 0xe000, v6
	v_or_b32_sdwa v5, v5, v6 dst_sel:DWORD dst_unused:UNUSED_PAD src0_sel:DWORD src1_sel:BYTE_1
	v_add_u16_e32 v12, 0xe000, v5
	v_and_b32_sdwa v13, v4, s17 dst_sel:DWORD dst_unused:UNUSED_PAD src0_sel:WORD_1 src1_sel:DWORD
	v_lshlrev_b16_sdwa v15, v205, v4 dst_sel:DWORD dst_unused:UNUSED_PAD src0_sel:DWORD src1_sel:WORD_1
	v_mad_i64_i32 v[4:5], s[20:21], v58, s5, v[2:3]
	v_lshl_add_u64 v[6:7], v[4:5], 0, v[18:19]
	v_lshl_add_u64 v[4:5], v[4:5], 0, v[20:21]
	global_load_dword v98, v[6:7], off
	global_load_dword v99, v[4:5], off offset:128
	v_add_u16_e32 v4, 0xe000, v15
	v_or_b32_sdwa v4, v13, v4 dst_sel:DWORD dst_unused:UNUSED_PAD src0_sel:DWORD src1_sel:BYTE_1
	v_add_u16_sdwa v4, v4, s18 dst_sel:WORD_1 dst_unused:UNUSED_PAD src0_sel:DWORD src1_sel:DWORD
	s_waitcnt vmcnt(4)
	v_ashrrev_i32_e32 v6, v75, v9
	v_or_b32_e32 v4, v12, v4
	ds_write2_b32 v48, v10, v4 offset1:16
	v_and_b32_e32 v4, 0xf0f0f0f, v8
	v_lshlrev_b32_e32 v7, 4, v6
	v_and_or_b32 v4, v7, s16, v4
	v_lshrrev_b32_e32 v5, 4, v8
	v_lshlrev_b16_e32 v8, 8, v4
	v_and_b32_e32 v7, 0x3f00, v4
	v_add_u16_e32 v8, 0xe000, v8
	v_or_b32_sdwa v7, v7, v8 dst_sel:DWORD dst_unused:UNUSED_PAD src0_sel:DWORD src1_sel:BYTE_1
	v_and_b32_sdwa v8, v4, s17 dst_sel:DWORD dst_unused:UNUSED_PAD src0_sel:WORD_1 src1_sel:DWORD
	v_lshlrev_b16_sdwa v4, v205, v4 dst_sel:DWORD dst_unused:UNUSED_PAD src0_sel:DWORD src1_sel:WORD_1
	v_add_u16_e32 v4, 0xe000, v4
	v_or_b32_sdwa v4, v8, v4 dst_sel:DWORD dst_unused:UNUSED_PAD src0_sel:DWORD src1_sel:BYTE_1
	v_and_b32_e32 v6, 0x30303030, v6
	v_add_u16_e32 v7, 0xe000, v7
	v_add_u16_sdwa v4, v4, s18 dst_sel:WORD_1 dst_unused:UNUSED_PAD src0_sel:DWORD src1_sel:DWORD
	v_and_or_b32 v9, v5, s11, v6
	v_or_b32_e32 v8, v7, v4
	v_mad_i64_i32 v[4:5], s[20:21], v62, s5, v[2:3]
	v_lshl_add_u64 v[6:7], v[4:5], 0, v[18:19]
	global_load_dword v12, v[6:7], off
	v_lshlrev_b16_e32 v6, 8, v9
	v_and_b32_e32 v10, 0x3f00, v9
	v_add_u16_e32 v6, 0xe000, v6
	v_lshl_add_u64 v[4:5], v[4:5], 0, v[20:21]
	v_or_b32_sdwa v6, v10, v6 dst_sel:DWORD dst_unused:UNUSED_PAD src0_sel:DWORD src1_sel:BYTE_1
	global_load_dword v10, v[4:5], off offset:128
	v_and_b32_sdwa v7, v9, s17 dst_sel:DWORD dst_unused:UNUSED_PAD src0_sel:WORD_1 src1_sel:DWORD
	v_lshlrev_b16_sdwa v9, v205, v9 dst_sel:DWORD dst_unused:UNUSED_PAD src0_sel:DWORD src1_sel:WORD_1
	v_add_u16_e32 v4, 0xe000, v9
	v_or_b32_sdwa v4, v7, v4 dst_sel:DWORD dst_unused:UNUSED_PAD src0_sel:DWORD src1_sel:BYTE_1
	v_add_u16_e32 v6, 0xe000, v6
	v_add_u16_sdwa v4, v4, s18 dst_sel:WORD_1 dst_unused:UNUSED_PAD src0_sel:DWORD src1_sel:DWORD
	s_nop 0
	v_or_b32_e32 v4, v6, v4
	ds_write2_b32 v52, v8, v4 offset1:16
	v_mad_i64_i32 v[4:5], s[20:21], v66, s5, v[2:3]
	v_lshl_add_u64 v[6:7], v[4:5], 0, v[18:19]
	v_lshl_add_u64 v[4:5], v[4:5], 0, v[20:21]
	global_load_dword v8, v[6:7], off
	global_load_dword v9, v[4:5], off offset:128
	s_waitcnt vmcnt(7)
	v_and_b32_e32 v4, 0xf0f0f0f, v11
	s_waitcnt vmcnt(6)
	v_ashrrev_i32_e32 v6, v75, v14
	v_lshlrev_b32_e32 v7, 4, v6
	v_and_or_b32 v4, v7, s16, v4
	v_lshrrev_b32_e32 v5, 4, v11
	v_lshlrev_b16_e32 v11, 8, v4
	v_and_b32_e32 v7, 0x3f00, v4
	v_add_u16_e32 v11, 0xe000, v11
	v_or_b32_sdwa v7, v7, v11 dst_sel:DWORD dst_unused:UNUSED_PAD src0_sel:DWORD src1_sel:BYTE_1
	v_and_b32_sdwa v11, v4, s17 dst_sel:DWORD dst_unused:UNUSED_PAD src0_sel:WORD_1 src1_sel:DWORD
	v_lshlrev_b16_sdwa v4, v205, v4 dst_sel:DWORD dst_unused:UNUSED_PAD src0_sel:DWORD src1_sel:WORD_1
	v_add_u16_e32 v4, 0xe000, v4
	v_and_b32_e32 v6, 0x30303030, v6
	v_or_b32_sdwa v4, v11, v4 dst_sel:DWORD dst_unused:UNUSED_PAD src0_sel:DWORD src1_sel:BYTE_1
	v_add_u16_e32 v7, 0xe000, v7
	v_add_u16_sdwa v4, v4, s18 dst_sel:WORD_1 dst_unused:UNUSED_PAD src0_sel:DWORD src1_sel:DWORD
	v_and_or_b32 v5, v5, s11, v6
	v_or_b32_e32 v4, v7, v4
	v_lshlrev_b16_e32 v7, 8, v5
	v_and_b32_e32 v6, 0x3f00, v5
	v_add_u16_e32 v7, 0xe000, v7
	v_or_b32_sdwa v6, v6, v7 dst_sel:DWORD dst_unused:UNUSED_PAD src0_sel:DWORD src1_sel:BYTE_1
	v_and_b32_sdwa v7, v5, s17 dst_sel:DWORD dst_unused:UNUSED_PAD src0_sel:WORD_1 src1_sel:DWORD
	v_lshlrev_b16_sdwa v5, v205, v5 dst_sel:DWORD dst_unused:UNUSED_PAD src0_sel:DWORD src1_sel:WORD_1
	v_add_u16_e32 v5, 0xe000, v5
	v_or_b32_sdwa v5, v7, v5 dst_sel:DWORD dst_unused:UNUSED_PAD src0_sel:DWORD src1_sel:BYTE_1
	v_add_u16_e32 v6, 0xe000, v6
	v_add_u16_sdwa v5, v5, s18 dst_sel:WORD_1 dst_unused:UNUSED_PAD src0_sel:DWORD src1_sel:DWORD
	s_nop 0
	v_or_b32_e32 v5, v6, v5
	ds_write2_b32 v56, v4, v5 offset1:16
	s_waitcnt vmcnt(4)
	v_ashrrev_i32_e32 v6, v75, v99
	v_and_b32_e32 v4, 0xf0f0f0f, v98
	v_lshlrev_b32_e32 v7, 4, v6
	v_and_or_b32 v4, v7, s16, v4
	v_lshlrev_b16_e32 v11, 8, v4
	v_and_b32_e32 v7, 0x3f00, v4
	v_add_u16_e32 v11, 0xe000, v11
	v_or_b32_sdwa v7, v7, v11 dst_sel:DWORD dst_unused:UNUSED_PAD src0_sel:DWORD src1_sel:BYTE_1
	v_and_b32_sdwa v11, v4, s17 dst_sel:DWORD dst_unused:UNUSED_PAD src0_sel:WORD_1 src1_sel:DWORD
	v_lshlrev_b16_sdwa v4, v205, v4 dst_sel:DWORD dst_unused:UNUSED_PAD src0_sel:DWORD src1_sel:WORD_1
	v_add_u16_e32 v4, 0xe000, v4
	v_lshrrev_b32_e32 v5, 4, v98
	v_and_b32_e32 v6, 0x30303030, v6
	v_or_b32_sdwa v4, v11, v4 dst_sel:DWORD dst_unused:UNUSED_PAD src0_sel:DWORD src1_sel:BYTE_1
	v_add_u16_e32 v7, 0xe000, v7
	v_add_u16_sdwa v4, v4, s18 dst_sel:WORD_1 dst_unused:UNUSED_PAD src0_sel:DWORD src1_sel:DWORD
	v_and_or_b32 v5, v5, s11, v6
	v_or_b32_e32 v4, v7, v4
	v_lshlrev_b16_e32 v7, 8, v5
	v_and_b32_e32 v6, 0x3f00, v5
	v_add_u16_e32 v7, 0xe000, v7
	v_or_b32_sdwa v6, v6, v7 dst_sel:DWORD dst_unused:UNUSED_PAD src0_sel:DWORD src1_sel:BYTE_1
	v_and_b32_sdwa v7, v5, s17 dst_sel:DWORD dst_unused:UNUSED_PAD src0_sel:WORD_1 src1_sel:DWORD
	v_lshlrev_b16_sdwa v5, v205, v5 dst_sel:DWORD dst_unused:UNUSED_PAD src0_sel:DWORD src1_sel:WORD_1
	v_add_u16_e32 v5, 0xe000, v5
	v_or_b32_sdwa v5, v7, v5 dst_sel:DWORD dst_unused:UNUSED_PAD src0_sel:DWORD src1_sel:BYTE_1
	v_add_u16_e32 v6, 0xe000, v6
	v_add_u16_sdwa v5, v5, s18 dst_sel:WORD_1 dst_unused:UNUSED_PAD src0_sel:DWORD src1_sel:DWORD
	s_waitcnt vmcnt(3)
	v_and_b32_e32 v11, 0xf0f0f0f, v12
	v_or_b32_e32 v5, v6, v5
	ds_write2_b32 v60, v4, v5 offset1:16
	v_mad_i64_i32 v[4:5], s[20:21], v70, s5, v[2:3]
	v_lshl_add_u64 v[6:7], v[4:5], 0, v[18:19]
	v_lshl_add_u64 v[4:5], v[4:5], 0, v[20:21]
	global_load_dword v13, v[6:7], off
	global_load_dword v14, v[4:5], off offset:128
	s_waitcnt vmcnt(4)
	v_ashrrev_i32_e32 v5, v75, v10
	v_lshlrev_b32_e32 v6, 4, v5
	v_and_or_b32 v6, v6, s16, v11
	v_lshlrev_b16_e32 v10, 8, v6
	v_and_b32_e32 v7, 0x3f00, v6
	v_add_u16_e32 v10, 0xe000, v10
	v_or_b32_sdwa v7, v7, v10 dst_sel:DWORD dst_unused:UNUSED_PAD src0_sel:DWORD src1_sel:BYTE_1
	v_and_b32_sdwa v10, v6, s17 dst_sel:DWORD dst_unused:UNUSED_PAD src0_sel:WORD_1 src1_sel:DWORD
	v_lshlrev_b16_sdwa v6, v205, v6 dst_sel:DWORD dst_unused:UNUSED_PAD src0_sel:DWORD src1_sel:WORD_1
	v_add_u16_e32 v6, 0xe000, v6
	v_lshrrev_b32_e32 v4, 4, v12
	v_and_b32_e32 v5, 0x30303030, v5
	v_or_b32_sdwa v6, v10, v6 dst_sel:DWORD dst_unused:UNUSED_PAD src0_sel:DWORD src1_sel:BYTE_1
	v_add_u16_e32 v7, 0xe000, v7
	v_add_u16_sdwa v6, v6, s18 dst_sel:WORD_1 dst_unused:UNUSED_PAD src0_sel:DWORD src1_sel:DWORD
	v_and_or_b32 v4, v4, s11, v5
	v_or_b32_e32 v10, v7, v6
	v_lshlrev_b16_e32 v6, 8, v4
	v_and_b32_e32 v5, 0x3f00, v4
	v_add_u16_e32 v6, 0xe000, v6
	v_or_b32_sdwa v5, v5, v6 dst_sel:DWORD dst_unused:UNUSED_PAD src0_sel:DWORD src1_sel:BYTE_1
	v_add_u16_e32 v11, 0xe000, v5
	v_and_b32_sdwa v12, v4, s17 dst_sel:DWORD dst_unused:UNUSED_PAD src0_sel:WORD_1 src1_sel:DWORD
	v_lshlrev_b16_sdwa v15, v205, v4 dst_sel:DWORD dst_unused:UNUSED_PAD src0_sel:DWORD src1_sel:WORD_1
	v_mad_i64_i32 v[4:5], s[20:21], v74, s5, v[2:3]
	v_lshl_add_u64 v[6:7], v[4:5], 0, v[18:19]
	v_lshl_add_u64 v[4:5], v[4:5], 0, v[20:21]
	global_load_dword v98, v[6:7], off
	global_load_dword v99, v[4:5], off offset:128
	v_add_u16_e32 v4, 0xe000, v15
	v_or_b32_sdwa v4, v12, v4 dst_sel:DWORD dst_unused:UNUSED_PAD src0_sel:DWORD src1_sel:BYTE_1
	v_add_u16_sdwa v4, v4, s18 dst_sel:WORD_1 dst_unused:UNUSED_PAD src0_sel:DWORD src1_sel:DWORD
	s_waitcnt vmcnt(4)
	v_ashrrev_i32_e32 v6, v75, v9
	v_or_b32_e32 v4, v11, v4
	ds_write2_b32 v64, v10, v4 offset1:16
	v_and_b32_e32 v4, 0xf0f0f0f, v8
	v_lshlrev_b32_e32 v7, 4, v6
	v_and_or_b32 v4, v7, s16, v4
	v_lshrrev_b32_e32 v5, 4, v8
	v_lshlrev_b16_e32 v8, 8, v4
	v_and_b32_e32 v7, 0x3f00, v4
	v_add_u16_e32 v8, 0xe000, v8
	v_or_b32_sdwa v7, v7, v8 dst_sel:DWORD dst_unused:UNUSED_PAD src0_sel:DWORD src1_sel:BYTE_1
	v_and_b32_sdwa v8, v4, s17 dst_sel:DWORD dst_unused:UNUSED_PAD src0_sel:WORD_1 src1_sel:DWORD
	v_lshlrev_b16_sdwa v4, v205, v4 dst_sel:DWORD dst_unused:UNUSED_PAD src0_sel:DWORD src1_sel:WORD_1
	v_add_u16_e32 v4, 0xe000, v4
	v_and_b32_e32 v6, 0x30303030, v6
	v_or_b32_sdwa v4, v8, v4 dst_sel:DWORD dst_unused:UNUSED_PAD src0_sel:DWORD src1_sel:BYTE_1
	v_add_u16_e32 v7, 0xe000, v7
	v_add_u16_sdwa v4, v4, s18 dst_sel:WORD_1 dst_unused:UNUSED_PAD src0_sel:DWORD src1_sel:DWORD
	v_and_or_b32 v5, v5, s11, v6
	v_or_b32_e32 v4, v7, v4
	v_lshlrev_b16_e32 v7, 8, v5
	v_and_b32_e32 v6, 0x3f00, v5
	v_add_u16_e32 v7, 0xe000, v7
	v_or_b32_sdwa v6, v6, v7 dst_sel:DWORD dst_unused:UNUSED_PAD src0_sel:DWORD src1_sel:BYTE_1
	v_and_b32_sdwa v7, v5, s17 dst_sel:DWORD dst_unused:UNUSED_PAD src0_sel:WORD_1 src1_sel:DWORD
	v_lshlrev_b16_sdwa v5, v205, v5 dst_sel:DWORD dst_unused:UNUSED_PAD src0_sel:DWORD src1_sel:WORD_1
	v_add_u16_e32 v5, 0xe000, v5
	v_or_b32_sdwa v5, v7, v5 dst_sel:DWORD dst_unused:UNUSED_PAD src0_sel:DWORD src1_sel:BYTE_1
	v_add_u16_e32 v6, 0xe000, v6
	v_add_u16_sdwa v5, v5, s18 dst_sel:WORD_1 dst_unused:UNUSED_PAD src0_sel:DWORD src1_sel:DWORD
	s_nop 0
	v_or_b32_e32 v5, v6, v5
	ds_write2_b32 v68, v4, v5 offset1:16
	v_mad_i64_i32 v[4:5], s[20:21], v78, s5, v[2:3]
	v_lshl_add_u64 v[6:7], v[4:5], 0, v[18:19]
	v_lshl_add_u64 v[4:5], v[4:5], 0, v[20:21]
	v_mad_i64_i32 v[2:3], s[20:21], v82, s5, v[2:3]
	v_lshl_add_u64 v[8:9], v[2:3], 0, v[18:19]
	v_lshl_add_u64 v[2:3], v[2:3], 0, v[20:21]
	global_load_dword v100, v[6:7], off
	global_load_dword v101, v[4:5], off offset:128
	global_load_dword v102, v[8:9], off
	global_load_dword v103, v[2:3], off offset:128
	s_mov_b32 s21, 0
	s_waitcnt vmcnt(7)
	v_and_b32_e32 v2, 0xf0f0f0f, v13
	s_waitcnt vmcnt(6)
	v_ashrrev_i32_e32 v4, v75, v14
	v_lshlrev_b32_e32 v5, 4, v4
	v_and_or_b32 v2, v5, s16, v2
	v_lshlrev_b16_e32 v6, 8, v2
	v_and_b32_e32 v5, 0x3f00, v2
	v_add_u16_e32 v6, 0xe000, v6
	v_or_b32_sdwa v5, v5, v6 dst_sel:DWORD dst_unused:UNUSED_PAD src0_sel:DWORD src1_sel:BYTE_1
	v_and_b32_sdwa v6, v2, s17 dst_sel:DWORD dst_unused:UNUSED_PAD src0_sel:WORD_1 src1_sel:DWORD
	v_lshlrev_b16_sdwa v2, v205, v2 dst_sel:DWORD dst_unused:UNUSED_PAD src0_sel:DWORD src1_sel:WORD_1
	v_add_u16_e32 v2, 0xe000, v2
	v_lshrrev_b32_e32 v3, 4, v13
	v_and_b32_e32 v4, 0x30303030, v4
	v_or_b32_sdwa v2, v6, v2 dst_sel:DWORD dst_unused:UNUSED_PAD src0_sel:DWORD src1_sel:BYTE_1
	v_add_u16_e32 v5, 0xe000, v5
	v_add_u16_sdwa v2, v2, s18 dst_sel:WORD_1 dst_unused:UNUSED_PAD src0_sel:DWORD src1_sel:DWORD
	v_and_or_b32 v3, v3, s11, v4
	v_or_b32_e32 v2, v5, v2
	v_lshlrev_b16_e32 v5, 8, v3
	v_and_b32_e32 v4, 0x3f00, v3
	v_add_u16_e32 v5, 0xe000, v5
	v_or_b32_sdwa v4, v4, v5 dst_sel:DWORD dst_unused:UNUSED_PAD src0_sel:DWORD src1_sel:BYTE_1
	v_and_b32_sdwa v5, v3, s17 dst_sel:DWORD dst_unused:UNUSED_PAD src0_sel:WORD_1 src1_sel:DWORD
	v_lshlrev_b16_sdwa v3, v205, v3 dst_sel:DWORD dst_unused:UNUSED_PAD src0_sel:DWORD src1_sel:WORD_1
	v_add_u16_e32 v3, 0xe000, v3
	v_or_b32_sdwa v3, v5, v3 dst_sel:DWORD dst_unused:UNUSED_PAD src0_sel:DWORD src1_sel:BYTE_1
	v_add_u16_e32 v4, 0xe000, v4
	v_add_u16_sdwa v3, v3, s18 dst_sel:WORD_1 dst_unused:UNUSED_PAD src0_sel:DWORD src1_sel:DWORD
	v_add_u32_e32 v14, s19, v165
	v_or_b32_e32 v3, v4, v3
	ds_write2_b32 v72, v2, v3 offset1:16
	s_waitcnt vmcnt(4)
	v_ashrrev_i32_e32 v4, v75, v99
	v_and_b32_e32 v2, 0xf0f0f0f, v98
	v_lshlrev_b32_e32 v5, 4, v4
	v_and_or_b32 v2, v5, s16, v2
	v_lshlrev_b16_e32 v6, 8, v2
	v_and_b32_e32 v5, 0x3f00, v2
	v_add_u16_e32 v6, 0xe000, v6
	v_or_b32_sdwa v5, v5, v6 dst_sel:DWORD dst_unused:UNUSED_PAD src0_sel:DWORD src1_sel:BYTE_1
	v_and_b32_sdwa v6, v2, s17 dst_sel:DWORD dst_unused:UNUSED_PAD src0_sel:WORD_1 src1_sel:DWORD
	v_lshlrev_b16_sdwa v2, v205, v2 dst_sel:DWORD dst_unused:UNUSED_PAD src0_sel:DWORD src1_sel:WORD_1
	v_lshrrev_b32_e32 v3, 4, v98
	v_and_b32_e32 v4, 0x30303030, v4
	v_add_u16_e32 v2, 0xe000, v2
	v_or_b32_sdwa v2, v6, v2 dst_sel:DWORD dst_unused:UNUSED_PAD src0_sel:DWORD src1_sel:BYTE_1
	v_and_or_b32 v105, v3, s11, v4
	v_add_u16_e32 v5, 0xe000, v5
	v_add_u16_sdwa v2, v2, s18 dst_sel:WORD_1 dst_unused:UNUSED_PAD src0_sel:DWORD src1_sel:DWORD
	v_lshlrev_b16_e32 v3, 8, v105
	v_or_b32_e32 v104, v5, v2
	v_and_b32_e32 v2, 0x3f00, v105
	v_add_u16_e32 v3, 0xe000, v3
	v_or_b32_sdwa v2, v2, v3 dst_sel:DWORD dst_unused:UNUSED_PAD src0_sel:DWORD src1_sel:BYTE_1
	v_add_u16_e32 v106, 0xe000, v2
	v_lshl_add_u64 v[2:3], s[0:1], 0, v[88:89]
	v_mad_i64_i32 v[4:5], s[0:1], v90, s5, v[2:3]
	v_mad_i64_i32 v[2:3], s[0:1], v92, s5, v[2:3]
	global_load_ushort v107, v[0:1], off offset:208
	global_load_dword v108, v[4:5], off offset:192
	global_load_dword v109, v[2:3], off offset:192
	v_add_u32_e32 v0, v14, v166
	v_add_u32_e32 v2, v14, v169
	;; [unrolled: 1-line block ×5, first 2 shown]
	v_mad_i64_i32 v[0:1], s[0:1], v0, 36, v[94:95]
	v_mad_i64_i32 v[2:3], s[0:1], v2, 36, v[94:95]
	;; [unrolled: 1-line block ×5, first 2 shown]
	v_add_u32_e32 v10, v14, v181
	v_add_u32_e32 v12, v14, v184
	;; [unrolled: 1-line block ×3, first 2 shown]
	v_mad_i64_i32 v[10:11], s[0:1], v10, 36, v[94:95]
	v_mad_i64_i32 v[12:13], s[0:1], v12, 36, v[94:95]
	;; [unrolled: 1-line block ×3, first 2 shown]
	v_mad_u64_u32 v[98:99], s[0:1], v206, 36, s[2:3]
	global_load_dword v0, v[0:1], off offset:4
	s_nop 0
	global_load_dword v1, v[2:3], off offset:4
	s_nop 0
	global_load_dword v2, v[4:5], off offset:4
	global_load_dword v3, v[6:7], off offset:4
	s_nop 0
	global_load_dword v4, v[8:9], off offset:4
	global_load_dword v5, v[98:99], off
	global_load_dword v6, v[10:11], off offset:4
	global_load_dword v7, v[12:13], off offset:4
	s_nop 0
	global_load_dword v8, v[14:15], off offset:4
	v_lshlrev_b16_sdwa v10, v205, v105 dst_sel:DWORD dst_unused:UNUSED_PAD src0_sel:DWORD src1_sel:WORD_1
	v_and_b32_sdwa v9, v105, s17 dst_sel:DWORD dst_unused:UNUSED_PAD src0_sel:WORD_1 src1_sel:DWORD
	v_add_u16_e32 v10, 0xe000, v10
	v_or_b32_sdwa v9, v9, v10 dst_sel:DWORD dst_unused:UNUSED_PAD src0_sel:DWORD src1_sel:BYTE_1
	v_add_u16_sdwa v9, v9, s18 dst_sel:WORD_1 dst_unused:UNUSED_PAD src0_sel:DWORD src1_sel:DWORD
	s_waitcnt vmcnt(14)
	v_ashrrev_i32_e32 v11, v75, v101
	v_or_b32_e32 v9, v106, v9
	ds_write2_b32 v76, v104, v9 offset1:16
	v_and_b32_e32 v9, 0xf0f0f0f, v100
	v_lshlrev_b32_e32 v12, 4, v11
	v_and_or_b32 v9, v12, s16, v9
	v_lshlrev_b16_e32 v13, 8, v9
	v_and_b32_e32 v12, 0x3f00, v9
	v_add_u16_e32 v13, 0xe000, v13
	v_or_b32_sdwa v12, v12, v13 dst_sel:DWORD dst_unused:UNUSED_PAD src0_sel:DWORD src1_sel:BYTE_1
	v_and_b32_sdwa v13, v9, s17 dst_sel:DWORD dst_unused:UNUSED_PAD src0_sel:WORD_1 src1_sel:DWORD
	v_lshlrev_b16_sdwa v9, v205, v9 dst_sel:DWORD dst_unused:UNUSED_PAD src0_sel:DWORD src1_sel:WORD_1
	v_add_u16_e32 v9, 0xe000, v9
	v_lshrrev_b32_e32 v10, 4, v100
	v_and_b32_e32 v11, 0x30303030, v11
	v_or_b32_sdwa v9, v13, v9 dst_sel:DWORD dst_unused:UNUSED_PAD src0_sel:DWORD src1_sel:BYTE_1
	v_add_u16_e32 v12, 0xe000, v12
	v_add_u16_sdwa v9, v9, s18 dst_sel:WORD_1 dst_unused:UNUSED_PAD src0_sel:DWORD src1_sel:DWORD
	v_and_or_b32 v10, v10, s11, v11
	v_or_b32_e32 v9, v12, v9
	v_lshlrev_b16_e32 v12, 8, v10
	v_and_b32_e32 v11, 0x3f00, v10
	v_add_u16_e32 v12, 0xe000, v12
	v_or_b32_sdwa v11, v11, v12 dst_sel:DWORD dst_unused:UNUSED_PAD src0_sel:DWORD src1_sel:BYTE_1
	v_and_b32_sdwa v12, v10, s17 dst_sel:DWORD dst_unused:UNUSED_PAD src0_sel:WORD_1 src1_sel:DWORD
	v_lshlrev_b16_sdwa v10, v205, v10 dst_sel:DWORD dst_unused:UNUSED_PAD src0_sel:DWORD src1_sel:WORD_1
	v_add_u16_e32 v10, 0xe000, v10
	v_or_b32_sdwa v10, v12, v10 dst_sel:DWORD dst_unused:UNUSED_PAD src0_sel:DWORD src1_sel:BYTE_1
	v_add_u16_e32 v11, 0xe000, v11
	v_add_u16_sdwa v10, v10, s18 dst_sel:WORD_1 dst_unused:UNUSED_PAD src0_sel:DWORD src1_sel:DWORD
	s_mov_b64 s[0:1], -1
	v_or_b32_e32 v10, v11, v10
	s_waitcnt vmcnt(12)
	v_ashrrev_i32_e32 v11, v75, v103
	ds_write2_b32 v80, v9, v10 offset1:16
	v_and_b32_e32 v9, 0xf0f0f0f, v102
	v_lshlrev_b32_e32 v12, 4, v11
	v_and_or_b32 v9, v12, s16, v9
	v_lshlrev_b16_e32 v13, 8, v9
	v_and_b32_e32 v12, 0x3f00, v9
	v_add_u16_e32 v13, 0xe000, v13
	v_or_b32_sdwa v12, v12, v13 dst_sel:DWORD dst_unused:UNUSED_PAD src0_sel:DWORD src1_sel:BYTE_1
	v_and_b32_sdwa v13, v9, s17 dst_sel:DWORD dst_unused:UNUSED_PAD src0_sel:WORD_1 src1_sel:DWORD
	v_lshlrev_b16_sdwa v9, v205, v9 dst_sel:DWORD dst_unused:UNUSED_PAD src0_sel:DWORD src1_sel:WORD_1
	v_add_u16_e32 v9, 0xe000, v9
	v_lshrrev_b32_e32 v10, 4, v102
	v_and_b32_e32 v11, 0x30303030, v11
	v_or_b32_sdwa v9, v13, v9 dst_sel:DWORD dst_unused:UNUSED_PAD src0_sel:DWORD src1_sel:BYTE_1
	v_add_u16_e32 v12, 0xe000, v12
	v_add_u16_sdwa v9, v9, s18 dst_sel:WORD_1 dst_unused:UNUSED_PAD src0_sel:DWORD src1_sel:DWORD
	v_and_or_b32 v10, v10, s11, v11
	v_or_b32_e32 v9, v12, v9
	v_lshlrev_b16_e32 v12, 8, v10
	v_and_b32_e32 v11, 0x3f00, v10
	v_add_u16_e32 v12, 0xe000, v12
	v_or_b32_sdwa v11, v11, v12 dst_sel:DWORD dst_unused:UNUSED_PAD src0_sel:DWORD src1_sel:BYTE_1
	v_and_b32_sdwa v12, v10, s17 dst_sel:DWORD dst_unused:UNUSED_PAD src0_sel:WORD_1 src1_sel:DWORD
	v_lshlrev_b16_sdwa v10, v205, v10 dst_sel:DWORD dst_unused:UNUSED_PAD src0_sel:DWORD src1_sel:WORD_1
	v_add_u16_e32 v10, 0xe000, v10
	v_or_b32_sdwa v10, v12, v10 dst_sel:DWORD dst_unused:UNUSED_PAD src0_sel:DWORD src1_sel:BYTE_1
	s_waitcnt vmcnt(11)
	v_cvt_f32_f16_e32 v12, v107
	v_add_u16_e32 v11, 0xe000, v11
	v_add_u16_sdwa v10, v10, s18 dst_sel:WORD_1 dst_unused:UNUSED_PAD src0_sel:DWORD src1_sel:DWORD
	s_nop 0
	v_or_b32_e32 v10, v11, v10
	ds_write2_b32 v84, v9, v10 offset1:16
	ds_write_b32 v87, v12
	s_waitcnt vmcnt(10)
	ds_write_b32 v203, v108
	s_waitcnt vmcnt(9)
	ds_write_b32 v204, v109
	s_waitcnt vmcnt(8)
	ds_write_b32 v168, v0
	s_waitcnt vmcnt(7)
	ds_write_b32 v171, v1
	s_waitcnt vmcnt(6)
	ds_write_b32 v174, v2
	s_waitcnt vmcnt(5)
	ds_write_b32 v177, v3
	s_waitcnt vmcnt(4)
	ds_write_b32 v180, v4
	s_waitcnt vmcnt(3)
	v_cvt_f32_f16_e32 v0, v5
	s_waitcnt vmcnt(2)
	ds_write_b32 v183, v6
	s_waitcnt vmcnt(1)
	ds_write_b32 v186, v7
	;; [unrolled: 2-line block ×3, first 2 shown]
	ds_write_b32 v164, v0
	s_waitcnt lgkmcnt(0)
	s_barrier
	ds_read_b32 v207, v190
	ds_read_b32 v208, v192 offset:128
	ds_read_b32 v209, v193 offset:256
	;; [unrolled: 1-line block ×3, first 2 shown]
.LBB136_6:                              ;   Parent Loop BB136_5 Depth=1
                                        ; =>  This Inner Loop Header: Depth=2
	s_lshl_b32 s20, s21, 1
	v_or_b32_e32 v0, s20, v85
	v_lshlrev_b32_e32 v12, 2, v0
	s_lshr_b32 s22, s21, 1
	s_lshl_b32 s21, s21, 3
	v_lshrrev_b32_e32 v98, 1, v0
	ds_read_b128 v[0:3], v12 offset:33280
	ds_read_b128 v[4:7], v12 offset:33296
	;; [unrolled: 1-line block ×4, first 2 shown]
	ds_read_b64 v[162:163], v98 offset:43584
	v_add_u32_e32 v106, s22, v195
	v_add_u32_e32 v107, s21, v196
	ds_read2_b32 v[102:103], v107 offset0:6 offset1:7
	ds_read2_b32 v[104:105], v107 offset0:4 offset1:5
	;; [unrolled: 1-line block ×3, first 2 shown]
	ds_read2_b32 v[100:101], v107 offset1:1
	ds_read_b32 v108, v106
	ds_read2_b32 v[158:159], v107 offset0:14 offset1:15
	ds_read2_b32 v[160:161], v107 offset0:12 offset1:13
	v_mov_b32_e32 v106, 0
	ds_read2_b32 v[114:115], v107 offset0:10 offset1:11
	ds_read2_b32 v[116:117], v107 offset0:8 offset1:9
	s_waitcnt lgkmcnt(7)
	v_dot4c_i32_i8_e32 v106, v104, v4
	v_mov_b32_e32 v107, 0
	v_dot4c_i32_i8_e32 v106, v105, v5
	s_waitcnt lgkmcnt(5)
	v_dot4c_i32_i8_e32 v107, v100, v0
	v_dot4c_i32_i8_e32 v106, v102, v6
	;; [unrolled: 1-line block ×4, first 2 shown]
	s_waitcnt lgkmcnt(4)
	v_bfe_i32 v211, v108, 8, 8
	v_dot4c_i32_i8_e32 v107, v98, v2
	v_dot4c_i32_i8_e32 v107, v99, v3
	v_mul_lo_u32 v106, v106, v211
	v_bfe_i32 v212, v108, 0, 8
	v_mov_b32_e32 v109, 0
	v_mad_u64_u32 v[106:107], s[24:25], v107, v212, v[106:107]
	s_waitcnt lgkmcnt(2)
	v_dot4c_i32_i8_e32 v109, v160, v12
	v_mov_b32_e32 v110, 0
	v_cvt_f32_i32_e32 v106, v106
	v_dot4c_i32_i8_e32 v109, v161, v13
	s_waitcnt lgkmcnt(0)
	v_dot4c_i32_i8_e32 v110, v116, v8
	v_dot4c_i32_i8_e32 v109, v158, v14
	;; [unrolled: 1-line block ×5, first 2 shown]
	v_ashrrev_i32_e32 v214, 24, v108
	v_dot4c_i32_i8_e32 v110, v115, v11
	v_fma_f32 v111, v162, v106, 0
	v_bfe_i32 v213, v108, 16, 8
	v_mul_lo_u32 v106, v109, v214
	v_mad_u64_u32 v[106:107], s[24:25], v110, v213, v[106:107]
	v_cvt_f32_i32_e32 v106, v106
	v_add_u32_e32 v118, s22, v197
	v_add_u32_e32 v122, s21, v198
	v_mov_b32_e32 v123, 0
	v_fmac_f32_e32 v111, v163, v106
	v_fmac_f32_e32 v167, v207, v111
	ds_read2_b32 v[110:111], v122 offset0:6 offset1:7
	ds_read2_b32 v[112:113], v122 offset0:4 offset1:5
	;; [unrolled: 1-line block ×3, first 2 shown]
	ds_read2_b32 v[108:109], v122 offset1:1
	ds_read_b32 v124, v118
	ds_read2_b32 v[118:119], v122 offset0:14 offset1:15
	ds_read2_b32 v[120:121], v122 offset0:12 offset1:13
	;; [unrolled: 1-line block ×4, first 2 shown]
	v_mov_b32_e32 v122, 0
	s_waitcnt lgkmcnt(7)
	v_dot4c_i32_i8_e32 v122, v112, v4
	v_dot4c_i32_i8_e32 v122, v113, v5
	s_waitcnt lgkmcnt(5)
	v_dot4c_i32_i8_e32 v123, v108, v0
	v_dot4c_i32_i8_e32 v122, v110, v6
	v_dot4c_i32_i8_e32 v123, v109, v1
	v_dot4c_i32_i8_e32 v122, v111, v7
	s_waitcnt lgkmcnt(4)
	v_bfe_i32 v215, v124, 8, 8
	v_dot4c_i32_i8_e32 v123, v106, v2
	v_dot4c_i32_i8_e32 v123, v107, v3
	v_mul_lo_u32 v122, v122, v215
	v_bfe_i32 v216, v124, 0, 8
	v_mov_b32_e32 v125, 0
	v_mad_u64_u32 v[122:123], s[24:25], v123, v216, v[122:123]
	s_waitcnt lgkmcnt(2)
	v_dot4c_i32_i8_e32 v125, v120, v12
	v_mov_b32_e32 v126, 0
	v_cvt_f32_i32_e32 v122, v122
	v_dot4c_i32_i8_e32 v125, v121, v13
	s_waitcnt lgkmcnt(0)
	v_dot4c_i32_i8_e32 v126, v136, v8
	v_dot4c_i32_i8_e32 v125, v118, v14
	;; [unrolled: 1-line block ×5, first 2 shown]
	v_ashrrev_i32_e32 v218, 24, v124
	v_dot4c_i32_i8_e32 v126, v133, v11
	v_fma_f32 v127, v162, v122, 0
	v_bfe_i32 v217, v124, 16, 8
	v_mul_lo_u32 v122, v125, v218
	v_mad_u64_u32 v[122:123], s[24:25], v126, v217, v[122:123]
	v_cvt_f32_i32_e32 v122, v122
	v_add_u32_e32 v130, s22, v199
	v_add_u32_e32 v131, s21, v200
	v_mov_b32_e32 v135, 0
	v_fmac_f32_e32 v127, v163, v122
	v_fmac_f32_e32 v97, v208, v127
	ds_read2_b32 v[126:127], v131 offset0:6 offset1:7
	ds_read2_b32 v[128:129], v131 offset0:4 offset1:5
	;; [unrolled: 1-line block ×3, first 2 shown]
	ds_read2_b32 v[124:125], v131 offset1:1
	ds_read_b32 v134, v130
	ds_read2_b32 v[138:139], v131 offset0:14 offset1:15
	ds_read2_b32 v[140:141], v131 offset0:12 offset1:13
	v_mov_b32_e32 v130, 0
	ds_read2_b32 v[148:149], v131 offset0:10 offset1:11
	ds_read2_b32 v[152:153], v131 offset0:8 offset1:9
	s_waitcnt lgkmcnt(7)
	v_dot4c_i32_i8_e32 v130, v128, v4
	v_mov_b32_e32 v131, 0
	v_dot4c_i32_i8_e32 v130, v129, v5
	s_waitcnt lgkmcnt(5)
	v_dot4c_i32_i8_e32 v131, v124, v0
	v_dot4c_i32_i8_e32 v130, v126, v6
	v_dot4c_i32_i8_e32 v131, v125, v1
	v_dot4c_i32_i8_e32 v130, v127, v7
	s_waitcnt lgkmcnt(4)
	v_bfe_i32 v219, v134, 8, 8
	v_dot4c_i32_i8_e32 v131, v122, v2
	v_dot4c_i32_i8_e32 v131, v123, v3
	v_mul_lo_u32 v130, v130, v219
	v_bfe_i32 v220, v134, 0, 8
	s_waitcnt lgkmcnt(2)
	v_dot4c_i32_i8_e32 v135, v140, v12
	v_mad_u64_u32 v[130:131], s[24:25], v131, v220, v[130:131]
	v_mov_b32_e32 v142, 0
	v_cvt_f32_i32_e32 v130, v130
	v_dot4c_i32_i8_e32 v135, v141, v13
	s_waitcnt lgkmcnt(0)
	v_dot4c_i32_i8_e32 v142, v152, v8
	v_dot4c_i32_i8_e32 v135, v138, v14
	;; [unrolled: 1-line block ×5, first 2 shown]
	v_ashrrev_i32_e32 v222, 24, v134
	v_dot4c_i32_i8_e32 v142, v149, v11
	v_fma_f32 v143, v162, v130, 0
	v_bfe_i32 v221, v134, 16, 8
	v_mul_lo_u32 v130, v135, v222
	v_mad_u64_u32 v[130:131], s[24:25], v142, v221, v[130:131]
	v_cvt_f32_i32_e32 v130, v130
	v_add_u32_e32 v146, s22, v201
	v_add_u32_e32 v156, s21, v202
	v_mov_b32_e32 v227, 0
	v_fmac_f32_e32 v143, v163, v130
	v_fmac_f32_e32 v93, v209, v143
	ds_read2_b32 v[142:143], v156 offset0:6 offset1:7
	ds_read2_b32 v[144:145], v156 offset0:4 offset1:5
	ds_read2_b32 v[130:131], v156 offset0:2 offset1:3
	ds_read2_b32 v[134:135], v156 offset1:1
	ds_read_b32 v226, v146
	ds_read2_b32 v[146:147], v156 offset0:14 offset1:15
	ds_read2_b32 v[150:151], v156 offset0:12 offset1:13
	;; [unrolled: 1-line block ×4, first 2 shown]
	v_mov_b32_e32 v228, 0
	s_waitcnt lgkmcnt(4)
	v_bfe_i32 v223, v226, 8, 8
	v_bfe_i32 v224, v226, 0, 8
	s_waitcnt lgkmcnt(2)
	v_dot4c_i32_i8_e32 v227, v150, v12
	v_mov_b32_e32 v12, 0
	s_waitcnt lgkmcnt(0)
	v_dot4c_i32_i8_e32 v12, v156, v8
	v_mov_b32_e32 v8, 0
	v_dot4c_i32_i8_e32 v8, v144, v4
	v_dot4c_i32_i8_e32 v8, v145, v5
	v_mov_b32_e32 v5, 0
	v_dot4c_i32_i8_e32 v5, v134, v0
	v_dot4c_i32_i8_e32 v8, v142, v6
	;; [unrolled: 1-line block ×7, first 2 shown]
	v_mul_lo_u32 v4, v8, v223
	v_dot4c_i32_i8_e32 v227, v146, v14
	v_mad_u64_u32 v[0:1], s[22:23], v5, v224, v[4:5]
	v_cvt_f32_i32_e32 v0, v0
	v_dot4c_i32_i8_e32 v12, v157, v9
	v_dot4c_i32_i8_e32 v227, v147, v15
	;; [unrolled: 1-line block ×3, first 2 shown]
	v_bfe_i32 v225, v226, 16, 8
	v_ashrrev_i32_e32 v226, 24, v226
	v_dot4c_i32_i8_e32 v12, v155, v11
	v_fma_f32 v2, v162, v0, 0
	v_mul_lo_u32 v0, v227, v226
	v_mov_b32_e32 v229, 0
	v_mad_u64_u32 v[0:1], s[22:23], v12, v225, v[0:1]
	v_cvt_f32_i32_e32 v0, v0
	v_mov_b32_e32 v227, 0
	v_mov_b32_e32 v230, 0
	s_and_b64 vcc, exec, s[0:1]
	v_fmac_f32_e32 v2, v163, v0
	v_or_b32_e32 v0, s20, v170
	v_lshlrev_b32_e32 v12, 2, v0
	v_lshrrev_b32_e32 v162, 1, v0
	v_fmac_f32_e32 v91, v210, v2
	ds_read_b128 v[0:3], v12 offset:33280
	ds_read_b128 v[4:7], v12 offset:33296
	;; [unrolled: 1-line block ×4, first 2 shown]
	ds_read_b64 v[162:163], v162 offset:43584
	s_waitcnt lgkmcnt(4)
	v_dot4c_i32_i8_e32 v229, v100, v0
	s_waitcnt lgkmcnt(3)
	v_dot4c_i32_i8_e32 v228, v104, v4
	v_dot4c_i32_i8_e32 v228, v105, v5
	;; [unrolled: 1-line block ×7, first 2 shown]
	s_waitcnt lgkmcnt(1)
	v_dot4c_i32_i8_e32 v227, v160, v12
	v_mul_lo_u32 v228, v228, v211
	v_dot4c_i32_i8_e32 v227, v161, v13
	v_mad_u64_u32 v[228:229], s[22:23], v229, v212, v[228:229]
	v_cvt_f32_i32_e32 v228, v228
	v_dot4c_i32_i8_e32 v230, v116, v8
	v_dot4c_i32_i8_e32 v227, v158, v14
	;; [unrolled: 1-line block ×6, first 2 shown]
	s_waitcnt lgkmcnt(0)
	v_fma_f32 v231, v162, v228, 0
	v_mul_lo_u32 v228, v227, v214
	s_mov_b64 s[0:1], 0
	v_mad_u64_u32 v[228:229], s[22:23], v230, v213, v[228:229]
	v_cvt_f32_i32_e32 v227, v228
	v_mov_b32_e32 v228, 0
	v_dot4c_i32_i8_e32 v228, v112, v4
	v_mov_b32_e32 v229, 0
	v_dot4c_i32_i8_e32 v228, v113, v5
	v_dot4c_i32_i8_e32 v229, v108, v0
	;; [unrolled: 1-line block ×7, first 2 shown]
	v_fmac_f32_e32 v231, v163, v227
	v_mul_lo_u32 v228, v228, v215
	v_mov_b32_e32 v227, 0
	v_mad_u64_u32 v[228:229], s[22:23], v229, v216, v[228:229]
	v_dot4c_i32_i8_e32 v227, v120, v12
	v_mov_b32_e32 v230, 0
	v_cvt_f32_i32_e32 v228, v228
	v_dot4c_i32_i8_e32 v227, v121, v13
	v_dot4c_i32_i8_e32 v230, v136, v8
	;; [unrolled: 1-line block ×6, first 2 shown]
	v_fmac_f32_e32 v83, v207, v231
	v_dot4c_i32_i8_e32 v230, v133, v11
	v_fma_f32 v231, v162, v228, 0
	v_mul_lo_u32 v228, v227, v218
	s_nop 0
	v_mad_u64_u32 v[228:229], s[22:23], v230, v217, v[228:229]
	v_cvt_f32_i32_e32 v227, v228
	v_mov_b32_e32 v228, 0
	v_dot4c_i32_i8_e32 v228, v128, v4
	v_mov_b32_e32 v229, 0
	v_dot4c_i32_i8_e32 v228, v129, v5
	v_dot4c_i32_i8_e32 v229, v124, v0
	;; [unrolled: 1-line block ×7, first 2 shown]
	v_fmac_f32_e32 v231, v163, v227
	v_mul_lo_u32 v228, v228, v219
	v_mov_b32_e32 v227, 0
	v_mad_u64_u32 v[228:229], s[22:23], v229, v220, v[228:229]
	v_dot4c_i32_i8_e32 v227, v140, v12
	v_mov_b32_e32 v230, 0
	v_cvt_f32_i32_e32 v228, v228
	v_dot4c_i32_i8_e32 v227, v141, v13
	v_dot4c_i32_i8_e32 v230, v152, v8
	;; [unrolled: 1-line block ×6, first 2 shown]
	v_fmac_f32_e32 v81, v208, v231
	v_dot4c_i32_i8_e32 v230, v149, v11
	v_fma_f32 v231, v162, v228, 0
	v_mul_lo_u32 v228, v227, v222
	s_nop 0
	v_mad_u64_u32 v[228:229], s[22:23], v230, v221, v[228:229]
	v_cvt_f32_i32_e32 v227, v228
	v_mov_b32_e32 v228, 0
	v_mov_b32_e32 v229, 0
	;; [unrolled: 1-line block ×3, first 2 shown]
	v_fmac_f32_e32 v231, v163, v227
	v_mov_b32_e32 v227, 0
	v_dot4c_i32_i8_e32 v227, v150, v12
	v_mov_b32_e32 v12, 0
	v_dot4c_i32_i8_e32 v12, v156, v8
	;; [unrolled: 2-line block ×3, first 2 shown]
	v_dot4c_i32_i8_e32 v8, v145, v5
	v_mov_b32_e32 v5, 0
	v_dot4c_i32_i8_e32 v5, v134, v0
	v_dot4c_i32_i8_e32 v8, v142, v6
	;; [unrolled: 1-line block ×7, first 2 shown]
	v_mul_lo_u32 v4, v8, v223
	v_dot4c_i32_i8_e32 v227, v146, v14
	v_mad_u64_u32 v[0:1], s[22:23], v5, v224, v[4:5]
	v_cvt_f32_i32_e32 v0, v0
	v_dot4c_i32_i8_e32 v12, v157, v9
	v_dot4c_i32_i8_e32 v227, v147, v15
	;; [unrolled: 1-line block ×4, first 2 shown]
	v_fma_f32 v2, v162, v0, 0
	v_mul_lo_u32 v0, v227, v226
	v_mov_b32_e32 v227, 0
	v_mad_u64_u32 v[0:1], s[22:23], v12, v225, v[0:1]
	v_cvt_f32_i32_e32 v0, v0
	v_fmac_f32_e32 v79, v209, v231
	v_fmac_f32_e32 v2, v163, v0
	v_or_b32_e32 v0, s20, v173
	v_lshlrev_b32_e32 v12, 2, v0
	v_lshrrev_b32_e32 v162, 1, v0
	v_fmac_f32_e32 v77, v210, v2
	ds_read_b128 v[0:3], v12 offset:33280
	ds_read_b128 v[4:7], v12 offset:33296
	;; [unrolled: 1-line block ×4, first 2 shown]
	ds_read_b64 v[162:163], v162 offset:43584
	s_waitcnt lgkmcnt(4)
	v_dot4c_i32_i8_e32 v229, v100, v0
	s_waitcnt lgkmcnt(3)
	v_dot4c_i32_i8_e32 v228, v104, v4
	v_dot4c_i32_i8_e32 v228, v105, v5
	;; [unrolled: 1-line block ×7, first 2 shown]
	s_waitcnt lgkmcnt(1)
	v_dot4c_i32_i8_e32 v227, v160, v12
	v_mul_lo_u32 v228, v228, v211
	v_dot4c_i32_i8_e32 v227, v161, v13
	v_mad_u64_u32 v[228:229], s[22:23], v229, v212, v[228:229]
	v_cvt_f32_i32_e32 v228, v228
	v_dot4c_i32_i8_e32 v230, v116, v8
	v_dot4c_i32_i8_e32 v227, v158, v14
	;; [unrolled: 1-line block ×6, first 2 shown]
	s_waitcnt lgkmcnt(0)
	v_fma_f32 v231, v162, v228, 0
	v_mul_lo_u32 v228, v227, v214
	v_mad_u64_u32 v[228:229], s[22:23], v230, v213, v[228:229]
	v_cvt_f32_i32_e32 v227, v228
	v_mov_b32_e32 v228, 0
	v_dot4c_i32_i8_e32 v228, v112, v4
	v_mov_b32_e32 v229, 0
	v_dot4c_i32_i8_e32 v228, v113, v5
	v_dot4c_i32_i8_e32 v229, v108, v0
	;; [unrolled: 1-line block ×7, first 2 shown]
	v_fmac_f32_e32 v231, v163, v227
	v_mul_lo_u32 v228, v228, v215
	v_mov_b32_e32 v227, 0
	v_mad_u64_u32 v[228:229], s[22:23], v229, v216, v[228:229]
	v_dot4c_i32_i8_e32 v227, v120, v12
	v_mov_b32_e32 v230, 0
	v_cvt_f32_i32_e32 v228, v228
	v_dot4c_i32_i8_e32 v227, v121, v13
	v_dot4c_i32_i8_e32 v230, v136, v8
	;; [unrolled: 1-line block ×6, first 2 shown]
	v_fmac_f32_e32 v73, v207, v231
	v_dot4c_i32_i8_e32 v230, v133, v11
	v_fma_f32 v231, v162, v228, 0
	v_mul_lo_u32 v228, v227, v218
	s_nop 0
	v_mad_u64_u32 v[228:229], s[22:23], v230, v217, v[228:229]
	v_cvt_f32_i32_e32 v227, v228
	v_mov_b32_e32 v228, 0
	v_dot4c_i32_i8_e32 v228, v128, v4
	v_mov_b32_e32 v229, 0
	v_dot4c_i32_i8_e32 v228, v129, v5
	v_dot4c_i32_i8_e32 v229, v124, v0
	;; [unrolled: 1-line block ×7, first 2 shown]
	v_fmac_f32_e32 v231, v163, v227
	v_mul_lo_u32 v228, v228, v219
	v_mov_b32_e32 v227, 0
	v_mad_u64_u32 v[228:229], s[22:23], v229, v220, v[228:229]
	v_dot4c_i32_i8_e32 v227, v140, v12
	v_mov_b32_e32 v230, 0
	v_cvt_f32_i32_e32 v228, v228
	v_dot4c_i32_i8_e32 v227, v141, v13
	v_dot4c_i32_i8_e32 v230, v152, v8
	v_dot4c_i32_i8_e32 v227, v138, v14
	v_dot4c_i32_i8_e32 v230, v153, v9
	v_dot4c_i32_i8_e32 v227, v139, v15
	v_dot4c_i32_i8_e32 v230, v148, v10
	v_fmac_f32_e32 v71, v208, v231
	v_dot4c_i32_i8_e32 v230, v149, v11
	v_fma_f32 v231, v162, v228, 0
	v_mul_lo_u32 v228, v227, v222
	s_nop 0
	v_mad_u64_u32 v[228:229], s[22:23], v230, v221, v[228:229]
	v_cvt_f32_i32_e32 v227, v228
	v_mov_b32_e32 v228, 0
	v_mov_b32_e32 v229, 0
	;; [unrolled: 1-line block ×3, first 2 shown]
	v_fmac_f32_e32 v231, v163, v227
	v_mov_b32_e32 v227, 0
	v_dot4c_i32_i8_e32 v227, v150, v12
	v_mov_b32_e32 v12, 0
	v_dot4c_i32_i8_e32 v12, v156, v8
	;; [unrolled: 2-line block ×3, first 2 shown]
	v_dot4c_i32_i8_e32 v8, v145, v5
	v_mov_b32_e32 v5, 0
	v_dot4c_i32_i8_e32 v5, v134, v0
	v_dot4c_i32_i8_e32 v8, v142, v6
	;; [unrolled: 1-line block ×7, first 2 shown]
	v_mul_lo_u32 v4, v8, v223
	v_dot4c_i32_i8_e32 v227, v146, v14
	v_mad_u64_u32 v[0:1], s[22:23], v5, v224, v[4:5]
	v_cvt_f32_i32_e32 v0, v0
	v_dot4c_i32_i8_e32 v12, v157, v9
	v_dot4c_i32_i8_e32 v227, v147, v15
	;; [unrolled: 1-line block ×4, first 2 shown]
	v_fma_f32 v2, v162, v0, 0
	v_mul_lo_u32 v0, v227, v226
	v_mov_b32_e32 v227, 0
	v_mad_u64_u32 v[0:1], s[22:23], v12, v225, v[0:1]
	v_cvt_f32_i32_e32 v0, v0
	v_fmac_f32_e32 v67, v209, v231
	v_fmac_f32_e32 v2, v163, v0
	v_or_b32_e32 v0, s20, v176
	v_lshlrev_b32_e32 v12, 2, v0
	v_lshrrev_b32_e32 v162, 1, v0
	v_fmac_f32_e32 v65, v210, v2
	ds_read_b128 v[0:3], v12 offset:33280
	ds_read_b128 v[4:7], v12 offset:33296
	;; [unrolled: 1-line block ×4, first 2 shown]
	ds_read_b64 v[162:163], v162 offset:43584
	s_waitcnt lgkmcnt(4)
	v_dot4c_i32_i8_e32 v229, v100, v0
	s_waitcnt lgkmcnt(3)
	v_dot4c_i32_i8_e32 v228, v104, v4
	v_dot4c_i32_i8_e32 v228, v105, v5
	;; [unrolled: 1-line block ×7, first 2 shown]
	s_waitcnt lgkmcnt(1)
	v_dot4c_i32_i8_e32 v227, v160, v12
	v_mul_lo_u32 v228, v228, v211
	v_dot4c_i32_i8_e32 v227, v161, v13
	v_mad_u64_u32 v[228:229], s[22:23], v229, v212, v[228:229]
	v_cvt_f32_i32_e32 v228, v228
	v_dot4c_i32_i8_e32 v230, v116, v8
	v_dot4c_i32_i8_e32 v227, v158, v14
	v_dot4c_i32_i8_e32 v230, v117, v9
	v_dot4c_i32_i8_e32 v227, v159, v15
	v_dot4c_i32_i8_e32 v230, v114, v10
	v_dot4c_i32_i8_e32 v230, v115, v11
	s_waitcnt lgkmcnt(0)
	v_fma_f32 v231, v162, v228, 0
	v_mul_lo_u32 v228, v227, v214
	v_mad_u64_u32 v[228:229], s[22:23], v230, v213, v[228:229]
	v_cvt_f32_i32_e32 v227, v228
	v_mov_b32_e32 v228, 0
	v_dot4c_i32_i8_e32 v228, v112, v4
	v_mov_b32_e32 v229, 0
	v_dot4c_i32_i8_e32 v228, v113, v5
	v_dot4c_i32_i8_e32 v229, v108, v0
	;; [unrolled: 1-line block ×7, first 2 shown]
	v_fmac_f32_e32 v231, v163, v227
	v_mul_lo_u32 v228, v228, v215
	v_mov_b32_e32 v227, 0
	v_mad_u64_u32 v[228:229], s[22:23], v229, v216, v[228:229]
	v_dot4c_i32_i8_e32 v227, v120, v12
	v_mov_b32_e32 v230, 0
	v_cvt_f32_i32_e32 v228, v228
	v_dot4c_i32_i8_e32 v227, v121, v13
	v_dot4c_i32_i8_e32 v230, v136, v8
	;; [unrolled: 1-line block ×6, first 2 shown]
	v_fmac_f32_e32 v63, v207, v231
	v_dot4c_i32_i8_e32 v230, v133, v11
	v_fma_f32 v231, v162, v228, 0
	v_mul_lo_u32 v228, v227, v218
	s_nop 0
	v_mad_u64_u32 v[228:229], s[22:23], v230, v217, v[228:229]
	v_cvt_f32_i32_e32 v227, v228
	v_mov_b32_e32 v228, 0
	v_dot4c_i32_i8_e32 v228, v128, v4
	v_mov_b32_e32 v229, 0
	v_dot4c_i32_i8_e32 v228, v129, v5
	v_dot4c_i32_i8_e32 v229, v124, v0
	;; [unrolled: 1-line block ×7, first 2 shown]
	v_fmac_f32_e32 v231, v163, v227
	v_mul_lo_u32 v228, v228, v219
	v_mov_b32_e32 v227, 0
	v_mad_u64_u32 v[228:229], s[22:23], v229, v220, v[228:229]
	v_dot4c_i32_i8_e32 v227, v140, v12
	v_mov_b32_e32 v230, 0
	v_cvt_f32_i32_e32 v228, v228
	v_dot4c_i32_i8_e32 v227, v141, v13
	v_dot4c_i32_i8_e32 v230, v152, v8
	;; [unrolled: 1-line block ×6, first 2 shown]
	v_fmac_f32_e32 v61, v208, v231
	v_dot4c_i32_i8_e32 v230, v149, v11
	v_fma_f32 v231, v162, v228, 0
	v_mul_lo_u32 v228, v227, v222
	s_nop 0
	v_mad_u64_u32 v[228:229], s[22:23], v230, v221, v[228:229]
	v_cvt_f32_i32_e32 v227, v228
	v_mov_b32_e32 v228, 0
	v_mov_b32_e32 v229, 0
	;; [unrolled: 1-line block ×3, first 2 shown]
	v_fmac_f32_e32 v231, v163, v227
	v_mov_b32_e32 v227, 0
	v_dot4c_i32_i8_e32 v227, v150, v12
	v_mov_b32_e32 v12, 0
	v_dot4c_i32_i8_e32 v12, v156, v8
	;; [unrolled: 2-line block ×3, first 2 shown]
	v_dot4c_i32_i8_e32 v8, v145, v5
	v_mov_b32_e32 v5, 0
	v_dot4c_i32_i8_e32 v5, v134, v0
	v_dot4c_i32_i8_e32 v8, v142, v6
	;; [unrolled: 1-line block ×7, first 2 shown]
	v_mul_lo_u32 v4, v8, v223
	v_dot4c_i32_i8_e32 v227, v146, v14
	v_mad_u64_u32 v[0:1], s[22:23], v5, v224, v[4:5]
	v_cvt_f32_i32_e32 v0, v0
	v_dot4c_i32_i8_e32 v12, v157, v9
	v_dot4c_i32_i8_e32 v227, v147, v15
	;; [unrolled: 1-line block ×4, first 2 shown]
	v_fma_f32 v2, v162, v0, 0
	v_mul_lo_u32 v0, v227, v226
	v_mov_b32_e32 v227, 0
	v_mad_u64_u32 v[0:1], s[22:23], v12, v225, v[0:1]
	v_cvt_f32_i32_e32 v0, v0
	v_fmac_f32_e32 v59, v209, v231
	v_fmac_f32_e32 v2, v163, v0
	v_or_b32_e32 v0, s20, v179
	v_lshlrev_b32_e32 v12, 2, v0
	v_lshrrev_b32_e32 v162, 1, v0
	v_fmac_f32_e32 v57, v210, v2
	ds_read_b128 v[0:3], v12 offset:33280
	ds_read_b128 v[4:7], v12 offset:33296
	;; [unrolled: 1-line block ×4, first 2 shown]
	ds_read_b64 v[162:163], v162 offset:43584
	s_waitcnt lgkmcnt(4)
	v_dot4c_i32_i8_e32 v229, v100, v0
	s_waitcnt lgkmcnt(3)
	v_dot4c_i32_i8_e32 v228, v104, v4
	v_dot4c_i32_i8_e32 v228, v105, v5
	;; [unrolled: 1-line block ×7, first 2 shown]
	s_waitcnt lgkmcnt(1)
	v_dot4c_i32_i8_e32 v227, v160, v12
	v_mul_lo_u32 v228, v228, v211
	v_dot4c_i32_i8_e32 v227, v161, v13
	v_mad_u64_u32 v[228:229], s[22:23], v229, v212, v[228:229]
	v_cvt_f32_i32_e32 v228, v228
	v_dot4c_i32_i8_e32 v230, v116, v8
	v_dot4c_i32_i8_e32 v227, v158, v14
	;; [unrolled: 1-line block ×6, first 2 shown]
	s_waitcnt lgkmcnt(0)
	v_fma_f32 v231, v162, v228, 0
	v_mul_lo_u32 v228, v227, v214
	v_mad_u64_u32 v[228:229], s[22:23], v230, v213, v[228:229]
	v_cvt_f32_i32_e32 v227, v228
	v_mov_b32_e32 v228, 0
	v_dot4c_i32_i8_e32 v228, v112, v4
	v_mov_b32_e32 v229, 0
	v_dot4c_i32_i8_e32 v228, v113, v5
	v_dot4c_i32_i8_e32 v229, v108, v0
	;; [unrolled: 1-line block ×7, first 2 shown]
	v_fmac_f32_e32 v231, v163, v227
	v_mul_lo_u32 v228, v228, v215
	v_mov_b32_e32 v227, 0
	v_mad_u64_u32 v[228:229], s[22:23], v229, v216, v[228:229]
	v_dot4c_i32_i8_e32 v227, v120, v12
	v_mov_b32_e32 v230, 0
	v_cvt_f32_i32_e32 v228, v228
	v_dot4c_i32_i8_e32 v227, v121, v13
	v_dot4c_i32_i8_e32 v230, v136, v8
	v_dot4c_i32_i8_e32 v227, v118, v14
	v_dot4c_i32_i8_e32 v230, v137, v9
	v_dot4c_i32_i8_e32 v227, v119, v15
	v_dot4c_i32_i8_e32 v230, v132, v10
	v_fmac_f32_e32 v55, v207, v231
	v_dot4c_i32_i8_e32 v230, v133, v11
	v_fma_f32 v231, v162, v228, 0
	v_mul_lo_u32 v228, v227, v218
	s_nop 0
	v_mad_u64_u32 v[228:229], s[22:23], v230, v217, v[228:229]
	v_cvt_f32_i32_e32 v227, v228
	v_mov_b32_e32 v228, 0
	v_dot4c_i32_i8_e32 v228, v128, v4
	v_mov_b32_e32 v229, 0
	v_dot4c_i32_i8_e32 v228, v129, v5
	v_dot4c_i32_i8_e32 v229, v124, v0
	;; [unrolled: 1-line block ×7, first 2 shown]
	v_fmac_f32_e32 v231, v163, v227
	v_mul_lo_u32 v228, v228, v219
	v_mov_b32_e32 v227, 0
	v_mad_u64_u32 v[228:229], s[22:23], v229, v220, v[228:229]
	v_dot4c_i32_i8_e32 v227, v140, v12
	v_mov_b32_e32 v230, 0
	v_cvt_f32_i32_e32 v228, v228
	v_dot4c_i32_i8_e32 v227, v141, v13
	v_dot4c_i32_i8_e32 v230, v152, v8
	v_dot4c_i32_i8_e32 v227, v138, v14
	v_dot4c_i32_i8_e32 v230, v153, v9
	v_dot4c_i32_i8_e32 v227, v139, v15
	v_dot4c_i32_i8_e32 v230, v148, v10
	v_fmac_f32_e32 v53, v208, v231
	v_dot4c_i32_i8_e32 v230, v149, v11
	v_fma_f32 v231, v162, v228, 0
	v_mul_lo_u32 v228, v227, v222
	s_nop 0
	v_mad_u64_u32 v[228:229], s[22:23], v230, v221, v[228:229]
	v_cvt_f32_i32_e32 v227, v228
	v_mov_b32_e32 v228, 0
	v_mov_b32_e32 v229, 0
	;; [unrolled: 1-line block ×3, first 2 shown]
	v_fmac_f32_e32 v231, v163, v227
	v_mov_b32_e32 v227, 0
	v_dot4c_i32_i8_e32 v227, v150, v12
	v_mov_b32_e32 v12, 0
	v_dot4c_i32_i8_e32 v12, v156, v8
	;; [unrolled: 2-line block ×3, first 2 shown]
	v_dot4c_i32_i8_e32 v8, v145, v5
	v_mov_b32_e32 v5, 0
	v_dot4c_i32_i8_e32 v5, v134, v0
	v_dot4c_i32_i8_e32 v8, v142, v6
	;; [unrolled: 1-line block ×7, first 2 shown]
	v_mul_lo_u32 v4, v8, v223
	v_dot4c_i32_i8_e32 v227, v146, v14
	v_mad_u64_u32 v[0:1], s[22:23], v5, v224, v[4:5]
	v_cvt_f32_i32_e32 v0, v0
	v_dot4c_i32_i8_e32 v12, v157, v9
	v_dot4c_i32_i8_e32 v227, v147, v15
	v_dot4c_i32_i8_e32 v12, v154, v10
	v_dot4c_i32_i8_e32 v12, v155, v11
	v_fma_f32 v2, v162, v0, 0
	v_mul_lo_u32 v0, v227, v226
	v_mov_b32_e32 v227, 0
	v_mad_u64_u32 v[0:1], s[22:23], v12, v225, v[0:1]
	v_cvt_f32_i32_e32 v0, v0
	v_fmac_f32_e32 v49, v209, v231
	v_fmac_f32_e32 v2, v163, v0
	v_or_b32_e32 v0, s20, v182
	v_lshlrev_b32_e32 v12, 2, v0
	v_lshrrev_b32_e32 v162, 1, v0
	v_fmac_f32_e32 v45, v210, v2
	ds_read_b128 v[0:3], v12 offset:33280
	ds_read_b128 v[4:7], v12 offset:33296
	;; [unrolled: 1-line block ×4, first 2 shown]
	ds_read_b64 v[162:163], v162 offset:43584
	s_waitcnt lgkmcnt(4)
	v_dot4c_i32_i8_e32 v229, v100, v0
	s_waitcnt lgkmcnt(3)
	v_dot4c_i32_i8_e32 v228, v104, v4
	v_dot4c_i32_i8_e32 v228, v105, v5
	;; [unrolled: 1-line block ×7, first 2 shown]
	s_waitcnt lgkmcnt(1)
	v_dot4c_i32_i8_e32 v227, v160, v12
	v_mul_lo_u32 v228, v228, v211
	v_dot4c_i32_i8_e32 v227, v161, v13
	v_mad_u64_u32 v[228:229], s[22:23], v229, v212, v[228:229]
	v_cvt_f32_i32_e32 v228, v228
	v_dot4c_i32_i8_e32 v230, v116, v8
	v_dot4c_i32_i8_e32 v227, v158, v14
	;; [unrolled: 1-line block ×6, first 2 shown]
	s_waitcnt lgkmcnt(0)
	v_fma_f32 v231, v162, v228, 0
	v_mul_lo_u32 v228, v227, v214
	v_mad_u64_u32 v[228:229], s[22:23], v230, v213, v[228:229]
	v_cvt_f32_i32_e32 v227, v228
	v_mov_b32_e32 v228, 0
	v_dot4c_i32_i8_e32 v228, v112, v4
	v_mov_b32_e32 v229, 0
	v_dot4c_i32_i8_e32 v228, v113, v5
	v_dot4c_i32_i8_e32 v229, v108, v0
	v_dot4c_i32_i8_e32 v228, v110, v6
	v_dot4c_i32_i8_e32 v229, v109, v1
	v_dot4c_i32_i8_e32 v228, v111, v7
	v_dot4c_i32_i8_e32 v229, v106, v2
	v_dot4c_i32_i8_e32 v229, v107, v3
	v_fmac_f32_e32 v231, v163, v227
	v_mul_lo_u32 v228, v228, v215
	v_mov_b32_e32 v227, 0
	v_mad_u64_u32 v[228:229], s[22:23], v229, v216, v[228:229]
	v_dot4c_i32_i8_e32 v227, v120, v12
	v_mov_b32_e32 v230, 0
	v_cvt_f32_i32_e32 v228, v228
	v_dot4c_i32_i8_e32 v227, v121, v13
	v_dot4c_i32_i8_e32 v230, v136, v8
	;; [unrolled: 1-line block ×6, first 2 shown]
	v_fmac_f32_e32 v43, v207, v231
	v_dot4c_i32_i8_e32 v230, v133, v11
	v_fma_f32 v231, v162, v228, 0
	v_mul_lo_u32 v228, v227, v218
	s_nop 0
	v_mad_u64_u32 v[228:229], s[22:23], v230, v217, v[228:229]
	v_cvt_f32_i32_e32 v227, v228
	v_mov_b32_e32 v228, 0
	v_dot4c_i32_i8_e32 v228, v128, v4
	v_mov_b32_e32 v229, 0
	v_dot4c_i32_i8_e32 v228, v129, v5
	v_dot4c_i32_i8_e32 v229, v124, v0
	;; [unrolled: 1-line block ×7, first 2 shown]
	v_fmac_f32_e32 v231, v163, v227
	v_mul_lo_u32 v228, v228, v219
	v_mov_b32_e32 v227, 0
	v_mad_u64_u32 v[228:229], s[22:23], v229, v220, v[228:229]
	v_dot4c_i32_i8_e32 v227, v140, v12
	v_mov_b32_e32 v230, 0
	v_cvt_f32_i32_e32 v228, v228
	v_dot4c_i32_i8_e32 v227, v141, v13
	v_dot4c_i32_i8_e32 v230, v152, v8
	;; [unrolled: 1-line block ×6, first 2 shown]
	v_fmac_f32_e32 v41, v208, v231
	v_dot4c_i32_i8_e32 v230, v149, v11
	v_fma_f32 v231, v162, v228, 0
	v_mul_lo_u32 v228, v227, v222
	s_nop 0
	v_mad_u64_u32 v[228:229], s[22:23], v230, v221, v[228:229]
	v_cvt_f32_i32_e32 v227, v228
	v_mov_b32_e32 v228, 0
	v_mov_b32_e32 v229, 0
	;; [unrolled: 1-line block ×3, first 2 shown]
	v_fmac_f32_e32 v231, v163, v227
	v_mov_b32_e32 v227, 0
	v_dot4c_i32_i8_e32 v227, v150, v12
	v_mov_b32_e32 v12, 0
	v_dot4c_i32_i8_e32 v12, v156, v8
	;; [unrolled: 2-line block ×3, first 2 shown]
	v_dot4c_i32_i8_e32 v8, v145, v5
	v_mov_b32_e32 v5, 0
	v_dot4c_i32_i8_e32 v5, v134, v0
	v_dot4c_i32_i8_e32 v8, v142, v6
	;; [unrolled: 1-line block ×7, first 2 shown]
	v_mul_lo_u32 v4, v8, v223
	v_dot4c_i32_i8_e32 v227, v146, v14
	v_mad_u64_u32 v[0:1], s[22:23], v5, v224, v[4:5]
	v_cvt_f32_i32_e32 v0, v0
	v_dot4c_i32_i8_e32 v12, v157, v9
	v_dot4c_i32_i8_e32 v227, v147, v15
	;; [unrolled: 1-line block ×4, first 2 shown]
	v_fma_f32 v2, v162, v0, 0
	v_mul_lo_u32 v0, v227, v226
	v_mov_b32_e32 v227, 0
	v_mad_u64_u32 v[0:1], s[22:23], v12, v225, v[0:1]
	v_cvt_f32_i32_e32 v0, v0
	v_fmac_f32_e32 v39, v209, v231
	v_fmac_f32_e32 v2, v163, v0
	v_or_b32_e32 v0, s20, v185
	v_lshlrev_b32_e32 v12, 2, v0
	v_lshrrev_b32_e32 v162, 1, v0
	v_fmac_f32_e32 v37, v210, v2
	ds_read_b128 v[0:3], v12 offset:33280
	ds_read_b128 v[4:7], v12 offset:33296
	;; [unrolled: 1-line block ×4, first 2 shown]
	ds_read_b64 v[162:163], v162 offset:43584
	s_waitcnt lgkmcnt(4)
	v_dot4c_i32_i8_e32 v229, v100, v0
	s_waitcnt lgkmcnt(3)
	v_dot4c_i32_i8_e32 v228, v104, v4
	v_dot4c_i32_i8_e32 v228, v105, v5
	;; [unrolled: 1-line block ×7, first 2 shown]
	s_waitcnt lgkmcnt(1)
	v_dot4c_i32_i8_e32 v227, v160, v12
	v_mul_lo_u32 v228, v228, v211
	v_dot4c_i32_i8_e32 v227, v161, v13
	v_mad_u64_u32 v[228:229], s[22:23], v229, v212, v[228:229]
	v_cvt_f32_i32_e32 v228, v228
	v_dot4c_i32_i8_e32 v230, v116, v8
	v_dot4c_i32_i8_e32 v227, v158, v14
	v_dot4c_i32_i8_e32 v230, v117, v9
	v_dot4c_i32_i8_e32 v227, v159, v15
	v_dot4c_i32_i8_e32 v230, v114, v10
	v_dot4c_i32_i8_e32 v230, v115, v11
	s_waitcnt lgkmcnt(0)
	v_fma_f32 v231, v162, v228, 0
	v_mul_lo_u32 v228, v227, v214
	v_mad_u64_u32 v[228:229], s[22:23], v230, v213, v[228:229]
	v_cvt_f32_i32_e32 v227, v228
	v_mov_b32_e32 v228, 0
	v_dot4c_i32_i8_e32 v228, v112, v4
	v_mov_b32_e32 v229, 0
	v_dot4c_i32_i8_e32 v228, v113, v5
	v_dot4c_i32_i8_e32 v229, v108, v0
	;; [unrolled: 1-line block ×7, first 2 shown]
	v_fmac_f32_e32 v231, v163, v227
	v_mul_lo_u32 v228, v228, v215
	v_mov_b32_e32 v227, 0
	v_mad_u64_u32 v[228:229], s[22:23], v229, v216, v[228:229]
	v_dot4c_i32_i8_e32 v227, v120, v12
	v_mov_b32_e32 v230, 0
	v_cvt_f32_i32_e32 v228, v228
	v_dot4c_i32_i8_e32 v227, v121, v13
	v_dot4c_i32_i8_e32 v230, v136, v8
	v_dot4c_i32_i8_e32 v227, v118, v14
	v_dot4c_i32_i8_e32 v230, v137, v9
	v_dot4c_i32_i8_e32 v227, v119, v15
	v_dot4c_i32_i8_e32 v230, v132, v10
	v_fmac_f32_e32 v35, v207, v231
	v_dot4c_i32_i8_e32 v230, v133, v11
	v_fma_f32 v231, v162, v228, 0
	v_mul_lo_u32 v228, v227, v218
	s_nop 0
	v_mad_u64_u32 v[228:229], s[22:23], v230, v217, v[228:229]
	v_cvt_f32_i32_e32 v227, v228
	v_mov_b32_e32 v228, 0
	v_dot4c_i32_i8_e32 v228, v128, v4
	v_mov_b32_e32 v229, 0
	v_dot4c_i32_i8_e32 v228, v129, v5
	v_dot4c_i32_i8_e32 v229, v124, v0
	;; [unrolled: 1-line block ×7, first 2 shown]
	v_fmac_f32_e32 v231, v163, v227
	v_mul_lo_u32 v228, v228, v219
	v_mov_b32_e32 v227, 0
	v_mad_u64_u32 v[228:229], s[22:23], v229, v220, v[228:229]
	v_dot4c_i32_i8_e32 v227, v140, v12
	v_mov_b32_e32 v230, 0
	v_cvt_f32_i32_e32 v228, v228
	v_dot4c_i32_i8_e32 v227, v141, v13
	v_dot4c_i32_i8_e32 v230, v152, v8
	;; [unrolled: 1-line block ×6, first 2 shown]
	v_fmac_f32_e32 v33, v208, v231
	v_dot4c_i32_i8_e32 v230, v149, v11
	v_fma_f32 v231, v162, v228, 0
	v_mul_lo_u32 v228, v227, v222
	s_nop 0
	v_mad_u64_u32 v[228:229], s[22:23], v230, v221, v[228:229]
	v_cvt_f32_i32_e32 v227, v228
	v_fmac_f32_e32 v231, v163, v227
	v_mov_b32_e32 v227, 0
	v_dot4c_i32_i8_e32 v227, v150, v12
	v_mov_b32_e32 v12, 0
	v_dot4c_i32_i8_e32 v12, v156, v8
	;; [unrolled: 2-line block ×3, first 2 shown]
	v_dot4c_i32_i8_e32 v8, v145, v5
	v_mov_b32_e32 v5, 0
	v_dot4c_i32_i8_e32 v5, v134, v0
	v_dot4c_i32_i8_e32 v8, v142, v6
	;; [unrolled: 1-line block ×7, first 2 shown]
	v_mul_lo_u32 v4, v8, v223
	v_dot4c_i32_i8_e32 v227, v146, v14
	v_mad_u64_u32 v[0:1], s[22:23], v5, v224, v[4:5]
	v_cvt_f32_i32_e32 v0, v0
	v_dot4c_i32_i8_e32 v12, v157, v9
	v_dot4c_i32_i8_e32 v227, v147, v15
	v_dot4c_i32_i8_e32 v12, v154, v10
	v_dot4c_i32_i8_e32 v12, v155, v11
	v_fma_f32 v2, v162, v0, 0
	v_mul_lo_u32 v0, v227, v226
	v_mov_b32_e32 v227, 0
	v_mad_u64_u32 v[0:1], s[22:23], v12, v225, v[0:1]
	v_cvt_f32_i32_e32 v0, v0
	v_fmac_f32_e32 v31, v209, v231
	v_fmac_f32_e32 v2, v163, v0
	v_or_b32_e32 v0, s20, v188
	v_lshlrev_b32_e32 v12, 2, v0
	v_lshrrev_b32_e32 v162, 1, v0
	v_fmac_f32_e32 v29, v210, v2
	ds_read_b128 v[0:3], v12 offset:33280
	ds_read_b128 v[4:7], v12 offset:33296
	;; [unrolled: 1-line block ×4, first 2 shown]
	ds_read_b64 v[162:163], v162 offset:43584
	s_waitcnt lgkmcnt(1)
	v_dot4c_i32_i8_e32 v227, v160, v12
	v_dot4c_i32_i8_e32 v227, v161, v13
	;; [unrolled: 1-line block ×3, first 2 shown]
	v_mov_b32_e32 v158, 0
	v_dot4c_i32_i8_e32 v158, v116, v8
	v_dot4c_i32_i8_e32 v158, v117, v9
	;; [unrolled: 1-line block ×3, first 2 shown]
	v_mov_b32_e32 v114, 0
	v_dot4c_i32_i8_e32 v114, v104, v4
	v_dot4c_i32_i8_e32 v114, v105, v5
	v_dot4c_i32_i8_e32 v114, v102, v6
	v_dot4c_i32_i8_e32 v114, v103, v7
	v_mov_b32_e32 v103, 0
	v_dot4c_i32_i8_e32 v103, v100, v0
	v_dot4c_i32_i8_e32 v103, v101, v1
	;; [unrolled: 1-line block ×3, first 2 shown]
	v_mul_lo_u32 v102, v114, v211
	v_dot4c_i32_i8_e32 v103, v99, v3
	v_dot4c_i32_i8_e32 v227, v159, v15
	;; [unrolled: 1-line block ×3, first 2 shown]
	v_mov_b32_e32 v101, 0
	v_mad_u64_u32 v[98:99], s[20:21], v103, v212, v[102:103]
	v_cvt_f32_i32_e32 v98, v98
	v_dot4c_i32_i8_e32 v101, v136, v8
	v_dot4c_i32_i8_e32 v101, v137, v9
	;; [unrolled: 1-line block ×3, first 2 shown]
	s_waitcnt lgkmcnt(0)
	v_fma_f32 v100, v162, v98, 0
	v_mul_lo_u32 v98, v227, v214
	v_mad_u64_u32 v[98:99], s[20:21], v158, v213, v[98:99]
	v_cvt_f32_i32_e32 v98, v98
	v_mov_b32_e32 v99, 0
	v_dot4c_i32_i8_e32 v99, v108, v0
	v_dot4c_i32_i8_e32 v99, v109, v1
	v_fmac_f32_e32 v100, v163, v98
	v_mov_b32_e32 v98, 0
	v_dot4c_i32_i8_e32 v98, v112, v4
	v_dot4c_i32_i8_e32 v98, v113, v5
	;; [unrolled: 1-line block ×6, first 2 shown]
	v_fmac_f32_e32 v27, v207, v100
	v_mul_lo_u32 v98, v98, v215
	v_mov_b32_e32 v100, 0
	v_mad_u64_u32 v[98:99], s[20:21], v99, v216, v[98:99]
	v_dot4c_i32_i8_e32 v100, v120, v12
	v_cvt_f32_i32_e32 v98, v98
	v_dot4c_i32_i8_e32 v100, v121, v13
	v_dot4c_i32_i8_e32 v100, v118, v14
	;; [unrolled: 1-line block ×4, first 2 shown]
	v_fma_f32 v102, v162, v98, 0
	s_nop 0
	v_mul_lo_u32 v98, v100, v218
	v_mad_u64_u32 v[98:99], s[20:21], v101, v217, v[98:99]
	v_cvt_f32_i32_e32 v98, v98
	v_mov_b32_e32 v99, 0
	v_dot4c_i32_i8_e32 v99, v124, v0
	v_dot4c_i32_i8_e32 v99, v125, v1
	v_fmac_f32_e32 v102, v163, v98
	v_mov_b32_e32 v98, 0
	v_dot4c_i32_i8_e32 v98, v128, v4
	v_dot4c_i32_i8_e32 v98, v129, v5
	;; [unrolled: 1-line block ×6, first 2 shown]
	v_mov_b32_e32 v100, 0
	v_mul_lo_u32 v98, v98, v219
	v_dot4c_i32_i8_e32 v100, v140, v12
	v_mad_u64_u32 v[98:99], s[20:21], v99, v220, v[98:99]
	v_mov_b32_e32 v101, 0
	v_cvt_f32_i32_e32 v98, v98
	v_dot4c_i32_i8_e32 v100, v141, v13
	v_dot4c_i32_i8_e32 v101, v152, v8
	;; [unrolled: 1-line block ×6, first 2 shown]
	v_fmac_f32_e32 v25, v208, v102
	v_dot4c_i32_i8_e32 v101, v149, v11
	v_fma_f32 v102, v162, v98, 0
	v_mul_lo_u32 v98, v100, v222
	s_nop 0
	v_mad_u64_u32 v[98:99], s[20:21], v101, v221, v[98:99]
	v_cvt_f32_i32_e32 v98, v98
	v_fmac_f32_e32 v102, v163, v98
	v_mov_b32_e32 v98, 0
	v_dot4c_i32_i8_e32 v98, v150, v12
	v_mov_b32_e32 v12, 0
	v_dot4c_i32_i8_e32 v12, v156, v8
	;; [unrolled: 2-line block ×3, first 2 shown]
	v_dot4c_i32_i8_e32 v8, v145, v5
	v_mov_b32_e32 v5, 0
	v_dot4c_i32_i8_e32 v5, v134, v0
	v_dot4c_i32_i8_e32 v8, v142, v6
	;; [unrolled: 1-line block ×7, first 2 shown]
	v_mul_lo_u32 v4, v8, v223
	v_dot4c_i32_i8_e32 v98, v146, v14
	v_mad_u64_u32 v[0:1], s[20:21], v5, v224, v[4:5]
	v_cvt_f32_i32_e32 v0, v0
	v_dot4c_i32_i8_e32 v12, v157, v9
	v_dot4c_i32_i8_e32 v98, v147, v15
	;; [unrolled: 1-line block ×4, first 2 shown]
	v_fma_f32 v2, v162, v0, 0
	v_mul_lo_u32 v0, v98, v226
	v_fmac_f32_e32 v23, v209, v102
	v_mad_u64_u32 v[0:1], s[20:21], v12, v225, v[0:1]
	v_cvt_f32_i32_e32 v0, v0
	s_mov_b32 s21, 8
	v_fmac_f32_e32 v2, v163, v0
	v_fmac_f32_e32 v17, v210, v2
	s_cbranch_vccnz .LBB136_6
; %bb.7:                                ;   in Loop: Header=BB136_5 Depth=1
	v_add_u32_e32 v14, s19, v191
	v_add_u32_e32 v0, v14, v166
	;; [unrolled: 1-line block ×6, first 2 shown]
	v_mad_i64_i32 v[0:1], s[0:1], v0, 36, v[94:95]
	v_mad_i64_i32 v[2:3], s[0:1], v2, 36, v[94:95]
	;; [unrolled: 1-line block ×4, first 2 shown]
	v_add_u32_e32 v8, v14, v178
	v_add_u32_e32 v10, v14, v181
	;; [unrolled: 1-line block ×4, first 2 shown]
	v_mad_u64_u32 v[98:99], s[0:1], v98, 36, s[2:3]
	s_barrier
	v_mad_i64_i32 v[8:9], s[0:1], v8, 36, v[94:95]
	v_mad_i64_i32 v[10:11], s[0:1], v10, 36, v[94:95]
	;; [unrolled: 1-line block ×4, first 2 shown]
	global_load_dword v98, v[98:99], off
	s_nop 0
	global_load_dword v0, v[0:1], off offset:4
	s_nop 0
	global_load_dword v1, v[2:3], off offset:4
	;; [unrolled: 2-line block ×3, first 2 shown]
	global_load_dword v3, v[6:7], off offset:4
	s_nop 0
	global_load_dword v4, v[8:9], off offset:4
	global_load_dword v5, v[10:11], off offset:4
	;; [unrolled: 1-line block ×4, first 2 shown]
	s_mov_b32 s0, 16
	s_waitcnt vmcnt(8)
	v_cvt_f32_f16_e32 v8, v98
	s_waitcnt vmcnt(7)
	ds_write_b32 v168, v0
	s_waitcnt vmcnt(6)
	ds_write_b32 v171, v1
	;; [unrolled: 2-line block ×8, first 2 shown]
	ds_write_b32 v164, v8
	s_waitcnt lgkmcnt(0)
	s_barrier
	ds_read_b32 v206, v190
	ds_read_b32 v207, v192 offset:128
	ds_read_b32 v208, v193 offset:256
	ds_read_b32 v209, v194 offset:384
.LBB136_8:                              ;   Parent Loop BB136_5 Depth=1
                                        ; =>  This Inner Loop Header: Depth=2
	s_lshl_b32 s1, s0, 1
	s_and_b32 s1, s1, 16
	v_or_b32_e32 v0, s1, v85
	v_lshlrev_b32_e32 v12, 2, v0
	s_lshr_b32 s19, s0, 1
	s_lshl_b32 s20, s0, 3
	v_lshrrev_b32_e32 v98, 1, v0
	ds_read_b128 v[0:3], v12 offset:33280
	ds_read_b128 v[4:7], v12 offset:33296
	;; [unrolled: 1-line block ×4, first 2 shown]
	ds_read_b64 v[162:163], v98 offset:43584
	v_add_u32_e32 v106, s19, v195
	v_add_u32_e32 v107, s20, v196
	ds_read2_b32 v[102:103], v107 offset0:6 offset1:7
	ds_read2_b32 v[104:105], v107 offset0:4 offset1:5
	;; [unrolled: 1-line block ×3, first 2 shown]
	ds_read2_b32 v[100:101], v107 offset1:1
	ds_read_b32 v108, v106
	ds_read2_b32 v[158:159], v107 offset0:14 offset1:15
	ds_read2_b32 v[160:161], v107 offset0:12 offset1:13
	v_mov_b32_e32 v106, 0
	ds_read2_b32 v[114:115], v107 offset0:10 offset1:11
	ds_read2_b32 v[116:117], v107 offset0:8 offset1:9
	s_waitcnt lgkmcnt(7)
	v_dot4c_i32_i8_e32 v106, v104, v4
	v_mov_b32_e32 v107, 0
	v_dot4c_i32_i8_e32 v106, v105, v5
	s_waitcnt lgkmcnt(5)
	v_dot4c_i32_i8_e32 v107, v100, v0
	v_dot4c_i32_i8_e32 v106, v102, v6
	;; [unrolled: 1-line block ×4, first 2 shown]
	s_waitcnt lgkmcnt(4)
	v_bfe_i32 v210, v108, 8, 8
	v_dot4c_i32_i8_e32 v107, v98, v2
	v_dot4c_i32_i8_e32 v107, v99, v3
	v_mul_lo_u32 v106, v106, v210
	v_bfe_i32 v211, v108, 0, 8
	v_mov_b32_e32 v109, 0
	v_mad_u64_u32 v[106:107], s[22:23], v107, v211, v[106:107]
	s_waitcnt lgkmcnt(2)
	v_dot4c_i32_i8_e32 v109, v160, v12
	v_mov_b32_e32 v110, 0
	v_cvt_f32_i32_e32 v106, v106
	v_dot4c_i32_i8_e32 v109, v161, v13
	s_waitcnt lgkmcnt(0)
	v_dot4c_i32_i8_e32 v110, v116, v8
	v_dot4c_i32_i8_e32 v109, v158, v14
	;; [unrolled: 1-line block ×5, first 2 shown]
	v_ashrrev_i32_e32 v213, 24, v108
	v_dot4c_i32_i8_e32 v110, v115, v11
	v_fma_f32 v111, v162, v106, 0
	v_bfe_i32 v212, v108, 16, 8
	v_mul_lo_u32 v106, v109, v213
	v_mad_u64_u32 v[106:107], s[22:23], v110, v212, v[106:107]
	v_cvt_f32_i32_e32 v106, v106
	v_add_u32_e32 v118, s19, v197
	v_add_u32_e32 v122, s20, v198
	v_mov_b32_e32 v123, 0
	v_fmac_f32_e32 v111, v163, v106
	v_fmac_f32_e32 v167, v206, v111
	ds_read2_b32 v[110:111], v122 offset0:6 offset1:7
	ds_read2_b32 v[112:113], v122 offset0:4 offset1:5
	;; [unrolled: 1-line block ×3, first 2 shown]
	ds_read2_b32 v[108:109], v122 offset1:1
	ds_read_b32 v124, v118
	ds_read2_b32 v[118:119], v122 offset0:14 offset1:15
	ds_read2_b32 v[120:121], v122 offset0:12 offset1:13
	;; [unrolled: 1-line block ×4, first 2 shown]
	v_mov_b32_e32 v122, 0
	s_waitcnt lgkmcnt(7)
	v_dot4c_i32_i8_e32 v122, v112, v4
	v_dot4c_i32_i8_e32 v122, v113, v5
	s_waitcnt lgkmcnt(5)
	v_dot4c_i32_i8_e32 v123, v108, v0
	v_dot4c_i32_i8_e32 v122, v110, v6
	;; [unrolled: 1-line block ×4, first 2 shown]
	s_waitcnt lgkmcnt(4)
	v_bfe_i32 v214, v124, 8, 8
	v_dot4c_i32_i8_e32 v123, v106, v2
	v_dot4c_i32_i8_e32 v123, v107, v3
	v_mul_lo_u32 v122, v122, v214
	v_bfe_i32 v215, v124, 0, 8
	v_mov_b32_e32 v125, 0
	v_mad_u64_u32 v[122:123], s[22:23], v123, v215, v[122:123]
	s_waitcnt lgkmcnt(2)
	v_dot4c_i32_i8_e32 v125, v120, v12
	v_mov_b32_e32 v126, 0
	v_cvt_f32_i32_e32 v122, v122
	v_dot4c_i32_i8_e32 v125, v121, v13
	s_waitcnt lgkmcnt(0)
	v_dot4c_i32_i8_e32 v126, v136, v8
	v_dot4c_i32_i8_e32 v125, v118, v14
	;; [unrolled: 1-line block ×5, first 2 shown]
	v_ashrrev_i32_e32 v217, 24, v124
	v_dot4c_i32_i8_e32 v126, v133, v11
	v_fma_f32 v127, v162, v122, 0
	v_bfe_i32 v216, v124, 16, 8
	v_mul_lo_u32 v122, v125, v217
	v_mad_u64_u32 v[122:123], s[22:23], v126, v216, v[122:123]
	v_cvt_f32_i32_e32 v122, v122
	v_add_u32_e32 v130, s19, v199
	v_add_u32_e32 v131, s20, v200
	v_mov_b32_e32 v135, 0
	v_fmac_f32_e32 v127, v163, v122
	v_fmac_f32_e32 v97, v207, v127
	ds_read2_b32 v[126:127], v131 offset0:6 offset1:7
	ds_read2_b32 v[128:129], v131 offset0:4 offset1:5
	;; [unrolled: 1-line block ×3, first 2 shown]
	ds_read2_b32 v[124:125], v131 offset1:1
	ds_read_b32 v134, v130
	ds_read2_b32 v[138:139], v131 offset0:14 offset1:15
	ds_read2_b32 v[140:141], v131 offset0:12 offset1:13
	v_mov_b32_e32 v130, 0
	ds_read2_b32 v[148:149], v131 offset0:10 offset1:11
	ds_read2_b32 v[152:153], v131 offset0:8 offset1:9
	s_waitcnt lgkmcnt(7)
	v_dot4c_i32_i8_e32 v130, v128, v4
	v_mov_b32_e32 v131, 0
	v_dot4c_i32_i8_e32 v130, v129, v5
	s_waitcnt lgkmcnt(5)
	v_dot4c_i32_i8_e32 v131, v124, v0
	v_dot4c_i32_i8_e32 v130, v126, v6
	;; [unrolled: 1-line block ×4, first 2 shown]
	s_waitcnt lgkmcnt(4)
	v_bfe_i32 v218, v134, 8, 8
	v_dot4c_i32_i8_e32 v131, v122, v2
	v_dot4c_i32_i8_e32 v131, v123, v3
	v_mul_lo_u32 v130, v130, v218
	v_bfe_i32 v219, v134, 0, 8
	s_waitcnt lgkmcnt(2)
	v_dot4c_i32_i8_e32 v135, v140, v12
	v_mad_u64_u32 v[130:131], s[22:23], v131, v219, v[130:131]
	v_mov_b32_e32 v142, 0
	v_cvt_f32_i32_e32 v130, v130
	v_dot4c_i32_i8_e32 v135, v141, v13
	s_waitcnt lgkmcnt(0)
	v_dot4c_i32_i8_e32 v142, v152, v8
	v_dot4c_i32_i8_e32 v135, v138, v14
	;; [unrolled: 1-line block ×5, first 2 shown]
	v_ashrrev_i32_e32 v221, 24, v134
	v_dot4c_i32_i8_e32 v142, v149, v11
	v_fma_f32 v143, v162, v130, 0
	v_bfe_i32 v220, v134, 16, 8
	v_mul_lo_u32 v130, v135, v221
	v_mad_u64_u32 v[130:131], s[22:23], v142, v220, v[130:131]
	v_cvt_f32_i32_e32 v130, v130
	v_add_u32_e32 v146, s19, v201
	v_add_u32_e32 v156, s20, v202
	v_mov_b32_e32 v226, 0
	v_fmac_f32_e32 v143, v163, v130
	v_fmac_f32_e32 v93, v208, v143
	ds_read2_b32 v[142:143], v156 offset0:6 offset1:7
	ds_read2_b32 v[144:145], v156 offset0:4 offset1:5
	;; [unrolled: 1-line block ×3, first 2 shown]
	ds_read2_b32 v[134:135], v156 offset1:1
	ds_read_b32 v225, v146
	ds_read2_b32 v[146:147], v156 offset0:14 offset1:15
	ds_read2_b32 v[150:151], v156 offset0:12 offset1:13
	;; [unrolled: 1-line block ×4, first 2 shown]
	v_mov_b32_e32 v227, 0
	s_waitcnt lgkmcnt(4)
	v_bfe_i32 v222, v225, 8, 8
	v_bfe_i32 v223, v225, 0, 8
	s_waitcnt lgkmcnt(2)
	v_dot4c_i32_i8_e32 v226, v150, v12
	v_mov_b32_e32 v12, 0
	s_waitcnt lgkmcnt(0)
	v_dot4c_i32_i8_e32 v12, v156, v8
	v_mov_b32_e32 v8, 0
	v_dot4c_i32_i8_e32 v8, v144, v4
	v_dot4c_i32_i8_e32 v8, v145, v5
	v_mov_b32_e32 v5, 0
	v_dot4c_i32_i8_e32 v5, v134, v0
	v_dot4c_i32_i8_e32 v8, v142, v6
	;; [unrolled: 1-line block ×7, first 2 shown]
	v_mul_lo_u32 v4, v8, v222
	v_dot4c_i32_i8_e32 v226, v146, v14
	v_mad_u64_u32 v[0:1], s[20:21], v5, v223, v[4:5]
	v_cvt_f32_i32_e32 v0, v0
	v_dot4c_i32_i8_e32 v12, v157, v9
	v_dot4c_i32_i8_e32 v226, v147, v15
	;; [unrolled: 1-line block ×3, first 2 shown]
	v_bfe_i32 v224, v225, 16, 8
	v_ashrrev_i32_e32 v225, 24, v225
	v_dot4c_i32_i8_e32 v12, v155, v11
	v_fma_f32 v2, v162, v0, 0
	v_mul_lo_u32 v0, v226, v225
	v_mov_b32_e32 v226, 0
	v_mad_u64_u32 v[0:1], s[20:21], v12, v224, v[0:1]
	v_cvt_f32_i32_e32 v0, v0
	v_mov_b32_e32 v228, 0
	v_mov_b32_e32 v229, 0
	v_fmac_f32_e32 v2, v163, v0
	v_or_b32_e32 v0, s1, v170
	v_lshlrev_b32_e32 v12, 2, v0
	v_lshrrev_b32_e32 v162, 1, v0
	v_fmac_f32_e32 v91, v209, v2
	ds_read_b128 v[0:3], v12 offset:33280
	ds_read_b128 v[4:7], v12 offset:33296
	;; [unrolled: 1-line block ×4, first 2 shown]
	ds_read_b64 v[162:163], v162 offset:43584
	s_waitcnt lgkmcnt(4)
	v_dot4c_i32_i8_e32 v227, v100, v0
	s_waitcnt lgkmcnt(3)
	v_dot4c_i32_i8_e32 v226, v104, v4
	v_dot4c_i32_i8_e32 v226, v105, v5
	;; [unrolled: 1-line block ×7, first 2 shown]
	s_waitcnt lgkmcnt(1)
	v_dot4c_i32_i8_e32 v228, v160, v12
	v_mul_lo_u32 v226, v226, v210
	v_dot4c_i32_i8_e32 v228, v161, v13
	v_mad_u64_u32 v[226:227], s[20:21], v227, v211, v[226:227]
	v_cvt_f32_i32_e32 v226, v226
	v_dot4c_i32_i8_e32 v229, v116, v8
	v_dot4c_i32_i8_e32 v228, v158, v14
	v_dot4c_i32_i8_e32 v229, v117, v9
	v_dot4c_i32_i8_e32 v228, v159, v15
	v_dot4c_i32_i8_e32 v229, v114, v10
	v_dot4c_i32_i8_e32 v229, v115, v11
	s_waitcnt lgkmcnt(0)
	v_fma_f32 v230, v162, v226, 0
	v_mul_lo_u32 v226, v228, v213
	v_mov_b32_e32 v228, 0
	v_mad_u64_u32 v[226:227], s[20:21], v229, v212, v[226:227]
	v_cvt_f32_i32_e32 v226, v226
	v_mov_b32_e32 v227, 0
	v_dot4c_i32_i8_e32 v227, v108, v0
	v_dot4c_i32_i8_e32 v227, v109, v1
	v_fmac_f32_e32 v230, v163, v226
	v_mov_b32_e32 v226, 0
	v_dot4c_i32_i8_e32 v226, v112, v4
	v_dot4c_i32_i8_e32 v226, v113, v5
	;; [unrolled: 1-line block ×7, first 2 shown]
	v_mul_lo_u32 v226, v226, v214
	v_mov_b32_e32 v229, 0
	v_mad_u64_u32 v[226:227], s[20:21], v227, v215, v[226:227]
	v_cvt_f32_i32_e32 v226, v226
	v_dot4c_i32_i8_e32 v228, v121, v13
	v_dot4c_i32_i8_e32 v229, v136, v8
	;; [unrolled: 1-line block ×6, first 2 shown]
	v_fmac_f32_e32 v83, v206, v230
	v_dot4c_i32_i8_e32 v229, v133, v11
	v_fma_f32 v230, v162, v226, 0
	v_mul_lo_u32 v226, v228, v217
	v_mov_b32_e32 v228, 0
	v_mad_u64_u32 v[226:227], s[20:21], v229, v216, v[226:227]
	v_cvt_f32_i32_e32 v226, v226
	v_mov_b32_e32 v227, 0
	v_dot4c_i32_i8_e32 v227, v124, v0
	v_dot4c_i32_i8_e32 v227, v125, v1
	v_fmac_f32_e32 v230, v163, v226
	v_mov_b32_e32 v226, 0
	v_dot4c_i32_i8_e32 v226, v128, v4
	v_dot4c_i32_i8_e32 v226, v129, v5
	;; [unrolled: 1-line block ×7, first 2 shown]
	v_mul_lo_u32 v226, v226, v218
	v_mov_b32_e32 v229, 0
	v_mad_u64_u32 v[226:227], s[20:21], v227, v219, v[226:227]
	v_cvt_f32_i32_e32 v226, v226
	v_dot4c_i32_i8_e32 v228, v141, v13
	v_dot4c_i32_i8_e32 v229, v152, v8
	;; [unrolled: 1-line block ×6, first 2 shown]
	v_fmac_f32_e32 v81, v207, v230
	v_dot4c_i32_i8_e32 v229, v149, v11
	v_fma_f32 v230, v162, v226, 0
	v_mul_lo_u32 v226, v228, v221
	v_mov_b32_e32 v228, 0
	v_mad_u64_u32 v[226:227], s[20:21], v229, v220, v[226:227]
	v_cvt_f32_i32_e32 v226, v226
	v_mov_b32_e32 v227, 0
	v_mov_b32_e32 v229, 0
	v_fmac_f32_e32 v230, v163, v226
	v_mov_b32_e32 v226, 0
	v_dot4c_i32_i8_e32 v226, v150, v12
	v_mov_b32_e32 v12, 0
	v_dot4c_i32_i8_e32 v12, v156, v8
	;; [unrolled: 2-line block ×3, first 2 shown]
	v_dot4c_i32_i8_e32 v8, v145, v5
	v_mov_b32_e32 v5, 0
	v_dot4c_i32_i8_e32 v5, v134, v0
	v_dot4c_i32_i8_e32 v8, v142, v6
	;; [unrolled: 1-line block ×7, first 2 shown]
	v_mul_lo_u32 v4, v8, v222
	v_dot4c_i32_i8_e32 v226, v146, v14
	v_mad_u64_u32 v[0:1], s[20:21], v5, v223, v[4:5]
	v_cvt_f32_i32_e32 v0, v0
	v_dot4c_i32_i8_e32 v12, v157, v9
	v_dot4c_i32_i8_e32 v226, v147, v15
	;; [unrolled: 1-line block ×4, first 2 shown]
	v_fma_f32 v2, v162, v0, 0
	v_mul_lo_u32 v0, v226, v225
	v_mov_b32_e32 v226, 0
	v_mad_u64_u32 v[0:1], s[20:21], v12, v224, v[0:1]
	v_cvt_f32_i32_e32 v0, v0
	v_fmac_f32_e32 v79, v208, v230
	v_fmac_f32_e32 v2, v163, v0
	v_or_b32_e32 v0, s1, v173
	v_lshlrev_b32_e32 v12, 2, v0
	v_lshrrev_b32_e32 v162, 1, v0
	v_fmac_f32_e32 v77, v209, v2
	ds_read_b128 v[0:3], v12 offset:33280
	ds_read_b128 v[4:7], v12 offset:33296
	;; [unrolled: 1-line block ×4, first 2 shown]
	ds_read_b64 v[162:163], v162 offset:43584
	s_waitcnt lgkmcnt(4)
	v_dot4c_i32_i8_e32 v227, v100, v0
	s_waitcnt lgkmcnt(3)
	v_dot4c_i32_i8_e32 v226, v104, v4
	v_dot4c_i32_i8_e32 v226, v105, v5
	;; [unrolled: 1-line block ×7, first 2 shown]
	s_waitcnt lgkmcnt(1)
	v_dot4c_i32_i8_e32 v228, v160, v12
	v_mul_lo_u32 v226, v226, v210
	v_dot4c_i32_i8_e32 v228, v161, v13
	v_mad_u64_u32 v[226:227], s[20:21], v227, v211, v[226:227]
	v_cvt_f32_i32_e32 v226, v226
	v_dot4c_i32_i8_e32 v229, v116, v8
	v_dot4c_i32_i8_e32 v228, v158, v14
	;; [unrolled: 1-line block ×6, first 2 shown]
	s_waitcnt lgkmcnt(0)
	v_fma_f32 v230, v162, v226, 0
	v_mul_lo_u32 v226, v228, v213
	v_mov_b32_e32 v228, 0
	v_mad_u64_u32 v[226:227], s[20:21], v229, v212, v[226:227]
	v_cvt_f32_i32_e32 v226, v226
	v_mov_b32_e32 v227, 0
	v_dot4c_i32_i8_e32 v227, v108, v0
	v_dot4c_i32_i8_e32 v227, v109, v1
	v_fmac_f32_e32 v230, v163, v226
	v_mov_b32_e32 v226, 0
	v_dot4c_i32_i8_e32 v226, v112, v4
	v_dot4c_i32_i8_e32 v226, v113, v5
	;; [unrolled: 1-line block ×7, first 2 shown]
	v_mul_lo_u32 v226, v226, v214
	v_mov_b32_e32 v229, 0
	v_mad_u64_u32 v[226:227], s[20:21], v227, v215, v[226:227]
	v_cvt_f32_i32_e32 v226, v226
	v_dot4c_i32_i8_e32 v228, v121, v13
	v_dot4c_i32_i8_e32 v229, v136, v8
	v_dot4c_i32_i8_e32 v228, v118, v14
	v_dot4c_i32_i8_e32 v229, v137, v9
	v_dot4c_i32_i8_e32 v228, v119, v15
	v_dot4c_i32_i8_e32 v229, v132, v10
	v_fmac_f32_e32 v73, v206, v230
	v_dot4c_i32_i8_e32 v229, v133, v11
	v_fma_f32 v230, v162, v226, 0
	v_mul_lo_u32 v226, v228, v217
	v_mov_b32_e32 v228, 0
	v_mad_u64_u32 v[226:227], s[20:21], v229, v216, v[226:227]
	v_cvt_f32_i32_e32 v226, v226
	v_mov_b32_e32 v227, 0
	v_dot4c_i32_i8_e32 v227, v124, v0
	v_dot4c_i32_i8_e32 v227, v125, v1
	v_fmac_f32_e32 v230, v163, v226
	v_mov_b32_e32 v226, 0
	v_dot4c_i32_i8_e32 v226, v128, v4
	v_dot4c_i32_i8_e32 v226, v129, v5
	;; [unrolled: 1-line block ×7, first 2 shown]
	v_mul_lo_u32 v226, v226, v218
	v_mov_b32_e32 v229, 0
	v_mad_u64_u32 v[226:227], s[20:21], v227, v219, v[226:227]
	v_cvt_f32_i32_e32 v226, v226
	v_dot4c_i32_i8_e32 v228, v141, v13
	v_dot4c_i32_i8_e32 v229, v152, v8
	;; [unrolled: 1-line block ×6, first 2 shown]
	v_fmac_f32_e32 v71, v207, v230
	v_dot4c_i32_i8_e32 v229, v149, v11
	v_fma_f32 v230, v162, v226, 0
	v_mul_lo_u32 v226, v228, v221
	v_mov_b32_e32 v228, 0
	v_mad_u64_u32 v[226:227], s[20:21], v229, v220, v[226:227]
	v_cvt_f32_i32_e32 v226, v226
	v_mov_b32_e32 v227, 0
	v_mov_b32_e32 v229, 0
	v_fmac_f32_e32 v230, v163, v226
	v_mov_b32_e32 v226, 0
	v_dot4c_i32_i8_e32 v226, v150, v12
	v_mov_b32_e32 v12, 0
	v_dot4c_i32_i8_e32 v12, v156, v8
	;; [unrolled: 2-line block ×3, first 2 shown]
	v_dot4c_i32_i8_e32 v8, v145, v5
	v_mov_b32_e32 v5, 0
	v_dot4c_i32_i8_e32 v5, v134, v0
	v_dot4c_i32_i8_e32 v8, v142, v6
	;; [unrolled: 1-line block ×7, first 2 shown]
	v_mul_lo_u32 v4, v8, v222
	v_dot4c_i32_i8_e32 v226, v146, v14
	v_mad_u64_u32 v[0:1], s[20:21], v5, v223, v[4:5]
	v_cvt_f32_i32_e32 v0, v0
	v_dot4c_i32_i8_e32 v12, v157, v9
	v_dot4c_i32_i8_e32 v226, v147, v15
	;; [unrolled: 1-line block ×4, first 2 shown]
	v_fma_f32 v2, v162, v0, 0
	v_mul_lo_u32 v0, v226, v225
	v_mov_b32_e32 v226, 0
	v_mad_u64_u32 v[0:1], s[20:21], v12, v224, v[0:1]
	v_cvt_f32_i32_e32 v0, v0
	v_fmac_f32_e32 v67, v208, v230
	v_fmac_f32_e32 v2, v163, v0
	v_or_b32_e32 v0, s1, v176
	v_lshlrev_b32_e32 v12, 2, v0
	v_lshrrev_b32_e32 v162, 1, v0
	v_fmac_f32_e32 v65, v209, v2
	ds_read_b128 v[0:3], v12 offset:33280
	ds_read_b128 v[4:7], v12 offset:33296
	;; [unrolled: 1-line block ×4, first 2 shown]
	ds_read_b64 v[162:163], v162 offset:43584
	s_waitcnt lgkmcnt(4)
	v_dot4c_i32_i8_e32 v227, v100, v0
	s_waitcnt lgkmcnt(3)
	v_dot4c_i32_i8_e32 v226, v104, v4
	v_dot4c_i32_i8_e32 v226, v105, v5
	;; [unrolled: 1-line block ×7, first 2 shown]
	s_waitcnt lgkmcnt(1)
	v_dot4c_i32_i8_e32 v228, v160, v12
	v_mul_lo_u32 v226, v226, v210
	v_dot4c_i32_i8_e32 v228, v161, v13
	v_mad_u64_u32 v[226:227], s[20:21], v227, v211, v[226:227]
	v_cvt_f32_i32_e32 v226, v226
	v_dot4c_i32_i8_e32 v229, v116, v8
	v_dot4c_i32_i8_e32 v228, v158, v14
	;; [unrolled: 1-line block ×6, first 2 shown]
	s_waitcnt lgkmcnt(0)
	v_fma_f32 v230, v162, v226, 0
	v_mul_lo_u32 v226, v228, v213
	v_mov_b32_e32 v228, 0
	v_mad_u64_u32 v[226:227], s[20:21], v229, v212, v[226:227]
	v_cvt_f32_i32_e32 v226, v226
	v_mov_b32_e32 v227, 0
	v_dot4c_i32_i8_e32 v227, v108, v0
	v_dot4c_i32_i8_e32 v227, v109, v1
	v_fmac_f32_e32 v230, v163, v226
	v_mov_b32_e32 v226, 0
	v_dot4c_i32_i8_e32 v226, v112, v4
	v_dot4c_i32_i8_e32 v226, v113, v5
	;; [unrolled: 1-line block ×7, first 2 shown]
	v_mul_lo_u32 v226, v226, v214
	v_mov_b32_e32 v229, 0
	v_mad_u64_u32 v[226:227], s[20:21], v227, v215, v[226:227]
	v_cvt_f32_i32_e32 v226, v226
	v_dot4c_i32_i8_e32 v228, v121, v13
	v_dot4c_i32_i8_e32 v229, v136, v8
	v_dot4c_i32_i8_e32 v228, v118, v14
	v_dot4c_i32_i8_e32 v229, v137, v9
	v_dot4c_i32_i8_e32 v228, v119, v15
	v_dot4c_i32_i8_e32 v229, v132, v10
	v_fmac_f32_e32 v63, v206, v230
	v_dot4c_i32_i8_e32 v229, v133, v11
	v_fma_f32 v230, v162, v226, 0
	v_mul_lo_u32 v226, v228, v217
	v_mov_b32_e32 v228, 0
	v_mad_u64_u32 v[226:227], s[20:21], v229, v216, v[226:227]
	v_cvt_f32_i32_e32 v226, v226
	v_mov_b32_e32 v227, 0
	v_dot4c_i32_i8_e32 v227, v124, v0
	v_dot4c_i32_i8_e32 v227, v125, v1
	v_fmac_f32_e32 v230, v163, v226
	v_mov_b32_e32 v226, 0
	v_dot4c_i32_i8_e32 v226, v128, v4
	v_dot4c_i32_i8_e32 v226, v129, v5
	;; [unrolled: 1-line block ×7, first 2 shown]
	v_mul_lo_u32 v226, v226, v218
	v_mov_b32_e32 v229, 0
	v_mad_u64_u32 v[226:227], s[20:21], v227, v219, v[226:227]
	v_cvt_f32_i32_e32 v226, v226
	v_dot4c_i32_i8_e32 v228, v141, v13
	v_dot4c_i32_i8_e32 v229, v152, v8
	;; [unrolled: 1-line block ×6, first 2 shown]
	v_fmac_f32_e32 v61, v207, v230
	v_dot4c_i32_i8_e32 v229, v149, v11
	v_fma_f32 v230, v162, v226, 0
	v_mul_lo_u32 v226, v228, v221
	v_mov_b32_e32 v228, 0
	v_mad_u64_u32 v[226:227], s[20:21], v229, v220, v[226:227]
	v_cvt_f32_i32_e32 v226, v226
	v_mov_b32_e32 v227, 0
	v_mov_b32_e32 v229, 0
	v_fmac_f32_e32 v230, v163, v226
	v_mov_b32_e32 v226, 0
	v_dot4c_i32_i8_e32 v226, v150, v12
	v_mov_b32_e32 v12, 0
	v_dot4c_i32_i8_e32 v12, v156, v8
	;; [unrolled: 2-line block ×3, first 2 shown]
	v_dot4c_i32_i8_e32 v8, v145, v5
	v_mov_b32_e32 v5, 0
	v_dot4c_i32_i8_e32 v5, v134, v0
	v_dot4c_i32_i8_e32 v8, v142, v6
	v_dot4c_i32_i8_e32 v5, v135, v1
	v_dot4c_i32_i8_e32 v8, v143, v7
	v_dot4c_i32_i8_e32 v5, v130, v2
	v_dot4c_i32_i8_e32 v5, v131, v3
	v_dot4c_i32_i8_e32 v226, v151, v13
	v_mul_lo_u32 v4, v8, v222
	v_dot4c_i32_i8_e32 v226, v146, v14
	v_mad_u64_u32 v[0:1], s[20:21], v5, v223, v[4:5]
	v_cvt_f32_i32_e32 v0, v0
	v_dot4c_i32_i8_e32 v12, v157, v9
	v_dot4c_i32_i8_e32 v226, v147, v15
	;; [unrolled: 1-line block ×4, first 2 shown]
	v_fma_f32 v2, v162, v0, 0
	v_mul_lo_u32 v0, v226, v225
	v_mov_b32_e32 v226, 0
	v_mad_u64_u32 v[0:1], s[20:21], v12, v224, v[0:1]
	v_cvt_f32_i32_e32 v0, v0
	v_fmac_f32_e32 v59, v208, v230
	v_fmac_f32_e32 v2, v163, v0
	v_or_b32_e32 v0, s1, v179
	v_lshlrev_b32_e32 v12, 2, v0
	v_lshrrev_b32_e32 v162, 1, v0
	v_fmac_f32_e32 v57, v209, v2
	ds_read_b128 v[0:3], v12 offset:33280
	ds_read_b128 v[4:7], v12 offset:33296
	;; [unrolled: 1-line block ×4, first 2 shown]
	ds_read_b64 v[162:163], v162 offset:43584
	s_waitcnt lgkmcnt(4)
	v_dot4c_i32_i8_e32 v227, v100, v0
	s_waitcnt lgkmcnt(3)
	v_dot4c_i32_i8_e32 v226, v104, v4
	v_dot4c_i32_i8_e32 v226, v105, v5
	;; [unrolled: 1-line block ×7, first 2 shown]
	s_waitcnt lgkmcnt(1)
	v_dot4c_i32_i8_e32 v228, v160, v12
	v_mul_lo_u32 v226, v226, v210
	v_dot4c_i32_i8_e32 v228, v161, v13
	v_mad_u64_u32 v[226:227], s[20:21], v227, v211, v[226:227]
	v_cvt_f32_i32_e32 v226, v226
	v_dot4c_i32_i8_e32 v229, v116, v8
	v_dot4c_i32_i8_e32 v228, v158, v14
	;; [unrolled: 1-line block ×6, first 2 shown]
	s_waitcnt lgkmcnt(0)
	v_fma_f32 v230, v162, v226, 0
	v_mul_lo_u32 v226, v228, v213
	v_mov_b32_e32 v228, 0
	v_mad_u64_u32 v[226:227], s[20:21], v229, v212, v[226:227]
	v_cvt_f32_i32_e32 v226, v226
	v_mov_b32_e32 v227, 0
	v_dot4c_i32_i8_e32 v227, v108, v0
	v_dot4c_i32_i8_e32 v227, v109, v1
	v_fmac_f32_e32 v230, v163, v226
	v_mov_b32_e32 v226, 0
	v_dot4c_i32_i8_e32 v226, v112, v4
	v_dot4c_i32_i8_e32 v226, v113, v5
	;; [unrolled: 1-line block ×7, first 2 shown]
	v_mul_lo_u32 v226, v226, v214
	v_mov_b32_e32 v229, 0
	v_mad_u64_u32 v[226:227], s[20:21], v227, v215, v[226:227]
	v_cvt_f32_i32_e32 v226, v226
	v_dot4c_i32_i8_e32 v228, v121, v13
	v_dot4c_i32_i8_e32 v229, v136, v8
	;; [unrolled: 1-line block ×6, first 2 shown]
	v_fmac_f32_e32 v55, v206, v230
	v_dot4c_i32_i8_e32 v229, v133, v11
	v_fma_f32 v230, v162, v226, 0
	v_mul_lo_u32 v226, v228, v217
	v_mov_b32_e32 v228, 0
	v_mad_u64_u32 v[226:227], s[20:21], v229, v216, v[226:227]
	v_cvt_f32_i32_e32 v226, v226
	v_mov_b32_e32 v227, 0
	v_dot4c_i32_i8_e32 v227, v124, v0
	v_dot4c_i32_i8_e32 v227, v125, v1
	v_fmac_f32_e32 v230, v163, v226
	v_mov_b32_e32 v226, 0
	v_dot4c_i32_i8_e32 v226, v128, v4
	v_dot4c_i32_i8_e32 v226, v129, v5
	;; [unrolled: 1-line block ×7, first 2 shown]
	v_mul_lo_u32 v226, v226, v218
	v_mov_b32_e32 v229, 0
	v_mad_u64_u32 v[226:227], s[20:21], v227, v219, v[226:227]
	v_cvt_f32_i32_e32 v226, v226
	v_dot4c_i32_i8_e32 v228, v141, v13
	v_dot4c_i32_i8_e32 v229, v152, v8
	;; [unrolled: 1-line block ×6, first 2 shown]
	v_fmac_f32_e32 v53, v207, v230
	v_dot4c_i32_i8_e32 v229, v149, v11
	v_fma_f32 v230, v162, v226, 0
	v_mul_lo_u32 v226, v228, v221
	v_mov_b32_e32 v228, 0
	v_mad_u64_u32 v[226:227], s[20:21], v229, v220, v[226:227]
	v_cvt_f32_i32_e32 v226, v226
	v_mov_b32_e32 v227, 0
	v_mov_b32_e32 v229, 0
	v_fmac_f32_e32 v230, v163, v226
	v_mov_b32_e32 v226, 0
	v_dot4c_i32_i8_e32 v226, v150, v12
	v_mov_b32_e32 v12, 0
	v_dot4c_i32_i8_e32 v12, v156, v8
	;; [unrolled: 2-line block ×3, first 2 shown]
	v_dot4c_i32_i8_e32 v8, v145, v5
	v_mov_b32_e32 v5, 0
	v_dot4c_i32_i8_e32 v5, v134, v0
	v_dot4c_i32_i8_e32 v8, v142, v6
	;; [unrolled: 1-line block ×7, first 2 shown]
	v_mul_lo_u32 v4, v8, v222
	v_dot4c_i32_i8_e32 v226, v146, v14
	v_mad_u64_u32 v[0:1], s[20:21], v5, v223, v[4:5]
	v_cvt_f32_i32_e32 v0, v0
	v_dot4c_i32_i8_e32 v12, v157, v9
	v_dot4c_i32_i8_e32 v226, v147, v15
	;; [unrolled: 1-line block ×4, first 2 shown]
	v_fma_f32 v2, v162, v0, 0
	v_mul_lo_u32 v0, v226, v225
	v_mov_b32_e32 v226, 0
	v_mad_u64_u32 v[0:1], s[20:21], v12, v224, v[0:1]
	v_cvt_f32_i32_e32 v0, v0
	v_fmac_f32_e32 v49, v208, v230
	v_fmac_f32_e32 v2, v163, v0
	v_or_b32_e32 v0, s1, v182
	v_lshlrev_b32_e32 v12, 2, v0
	v_lshrrev_b32_e32 v162, 1, v0
	v_fmac_f32_e32 v45, v209, v2
	ds_read_b128 v[0:3], v12 offset:33280
	ds_read_b128 v[4:7], v12 offset:33296
	;; [unrolled: 1-line block ×4, first 2 shown]
	ds_read_b64 v[162:163], v162 offset:43584
	s_waitcnt lgkmcnt(4)
	v_dot4c_i32_i8_e32 v227, v100, v0
	s_waitcnt lgkmcnt(3)
	v_dot4c_i32_i8_e32 v226, v104, v4
	v_dot4c_i32_i8_e32 v226, v105, v5
	;; [unrolled: 1-line block ×7, first 2 shown]
	s_waitcnt lgkmcnt(1)
	v_dot4c_i32_i8_e32 v228, v160, v12
	v_mul_lo_u32 v226, v226, v210
	v_dot4c_i32_i8_e32 v228, v161, v13
	v_mad_u64_u32 v[226:227], s[20:21], v227, v211, v[226:227]
	v_cvt_f32_i32_e32 v226, v226
	v_dot4c_i32_i8_e32 v229, v116, v8
	v_dot4c_i32_i8_e32 v228, v158, v14
	;; [unrolled: 1-line block ×6, first 2 shown]
	s_waitcnt lgkmcnt(0)
	v_fma_f32 v230, v162, v226, 0
	v_mul_lo_u32 v226, v228, v213
	v_mov_b32_e32 v228, 0
	v_mad_u64_u32 v[226:227], s[20:21], v229, v212, v[226:227]
	v_cvt_f32_i32_e32 v226, v226
	v_mov_b32_e32 v227, 0
	v_dot4c_i32_i8_e32 v227, v108, v0
	v_dot4c_i32_i8_e32 v227, v109, v1
	v_fmac_f32_e32 v230, v163, v226
	v_mov_b32_e32 v226, 0
	v_dot4c_i32_i8_e32 v226, v112, v4
	v_dot4c_i32_i8_e32 v226, v113, v5
	;; [unrolled: 1-line block ×7, first 2 shown]
	v_mul_lo_u32 v226, v226, v214
	v_mov_b32_e32 v229, 0
	v_mad_u64_u32 v[226:227], s[20:21], v227, v215, v[226:227]
	v_cvt_f32_i32_e32 v226, v226
	v_dot4c_i32_i8_e32 v228, v121, v13
	v_dot4c_i32_i8_e32 v229, v136, v8
	;; [unrolled: 1-line block ×6, first 2 shown]
	v_fmac_f32_e32 v43, v206, v230
	v_dot4c_i32_i8_e32 v229, v133, v11
	v_fma_f32 v230, v162, v226, 0
	v_mul_lo_u32 v226, v228, v217
	v_mov_b32_e32 v228, 0
	v_mad_u64_u32 v[226:227], s[20:21], v229, v216, v[226:227]
	v_cvt_f32_i32_e32 v226, v226
	v_mov_b32_e32 v227, 0
	v_dot4c_i32_i8_e32 v227, v124, v0
	v_dot4c_i32_i8_e32 v227, v125, v1
	v_fmac_f32_e32 v230, v163, v226
	v_mov_b32_e32 v226, 0
	v_dot4c_i32_i8_e32 v226, v128, v4
	v_dot4c_i32_i8_e32 v226, v129, v5
	;; [unrolled: 1-line block ×7, first 2 shown]
	v_mul_lo_u32 v226, v226, v218
	v_mov_b32_e32 v229, 0
	v_mad_u64_u32 v[226:227], s[20:21], v227, v219, v[226:227]
	v_cvt_f32_i32_e32 v226, v226
	v_dot4c_i32_i8_e32 v228, v141, v13
	v_dot4c_i32_i8_e32 v229, v152, v8
	;; [unrolled: 1-line block ×6, first 2 shown]
	v_fmac_f32_e32 v41, v207, v230
	v_dot4c_i32_i8_e32 v229, v149, v11
	v_fma_f32 v230, v162, v226, 0
	v_mul_lo_u32 v226, v228, v221
	v_mov_b32_e32 v228, 0
	v_mad_u64_u32 v[226:227], s[20:21], v229, v220, v[226:227]
	v_cvt_f32_i32_e32 v226, v226
	v_mov_b32_e32 v227, 0
	v_mov_b32_e32 v229, 0
	v_fmac_f32_e32 v230, v163, v226
	v_mov_b32_e32 v226, 0
	v_dot4c_i32_i8_e32 v226, v150, v12
	v_mov_b32_e32 v12, 0
	v_dot4c_i32_i8_e32 v12, v156, v8
	;; [unrolled: 2-line block ×3, first 2 shown]
	v_dot4c_i32_i8_e32 v8, v145, v5
	v_mov_b32_e32 v5, 0
	v_dot4c_i32_i8_e32 v5, v134, v0
	v_dot4c_i32_i8_e32 v8, v142, v6
	;; [unrolled: 1-line block ×7, first 2 shown]
	v_mul_lo_u32 v4, v8, v222
	v_dot4c_i32_i8_e32 v226, v146, v14
	v_mad_u64_u32 v[0:1], s[20:21], v5, v223, v[4:5]
	v_cvt_f32_i32_e32 v0, v0
	v_dot4c_i32_i8_e32 v12, v157, v9
	v_dot4c_i32_i8_e32 v226, v147, v15
	;; [unrolled: 1-line block ×4, first 2 shown]
	v_fma_f32 v2, v162, v0, 0
	v_mul_lo_u32 v0, v226, v225
	v_mov_b32_e32 v226, 0
	v_mad_u64_u32 v[0:1], s[20:21], v12, v224, v[0:1]
	v_cvt_f32_i32_e32 v0, v0
	v_fmac_f32_e32 v39, v208, v230
	v_fmac_f32_e32 v2, v163, v0
	v_or_b32_e32 v0, s1, v185
	v_lshlrev_b32_e32 v12, 2, v0
	v_lshrrev_b32_e32 v162, 1, v0
	v_fmac_f32_e32 v37, v209, v2
	ds_read_b128 v[0:3], v12 offset:33280
	ds_read_b128 v[4:7], v12 offset:33296
	;; [unrolled: 1-line block ×4, first 2 shown]
	ds_read_b64 v[162:163], v162 offset:43584
	s_waitcnt lgkmcnt(4)
	v_dot4c_i32_i8_e32 v227, v100, v0
	s_waitcnt lgkmcnt(3)
	v_dot4c_i32_i8_e32 v226, v104, v4
	v_dot4c_i32_i8_e32 v226, v105, v5
	;; [unrolled: 1-line block ×7, first 2 shown]
	s_waitcnt lgkmcnt(1)
	v_dot4c_i32_i8_e32 v228, v160, v12
	v_mul_lo_u32 v226, v226, v210
	v_dot4c_i32_i8_e32 v228, v161, v13
	v_mad_u64_u32 v[226:227], s[20:21], v227, v211, v[226:227]
	v_cvt_f32_i32_e32 v226, v226
	v_dot4c_i32_i8_e32 v229, v116, v8
	v_dot4c_i32_i8_e32 v228, v158, v14
	;; [unrolled: 1-line block ×6, first 2 shown]
	s_waitcnt lgkmcnt(0)
	v_fma_f32 v230, v162, v226, 0
	v_mul_lo_u32 v226, v228, v213
	v_mov_b32_e32 v228, 0
	v_mad_u64_u32 v[226:227], s[20:21], v229, v212, v[226:227]
	v_cvt_f32_i32_e32 v226, v226
	v_mov_b32_e32 v227, 0
	v_dot4c_i32_i8_e32 v227, v108, v0
	v_dot4c_i32_i8_e32 v227, v109, v1
	v_fmac_f32_e32 v230, v163, v226
	v_mov_b32_e32 v226, 0
	v_dot4c_i32_i8_e32 v226, v112, v4
	v_dot4c_i32_i8_e32 v226, v113, v5
	;; [unrolled: 1-line block ×7, first 2 shown]
	v_mul_lo_u32 v226, v226, v214
	v_mov_b32_e32 v229, 0
	v_mad_u64_u32 v[226:227], s[20:21], v227, v215, v[226:227]
	v_cvt_f32_i32_e32 v226, v226
	v_dot4c_i32_i8_e32 v228, v121, v13
	v_dot4c_i32_i8_e32 v229, v136, v8
	v_dot4c_i32_i8_e32 v228, v118, v14
	v_dot4c_i32_i8_e32 v229, v137, v9
	v_dot4c_i32_i8_e32 v228, v119, v15
	v_dot4c_i32_i8_e32 v229, v132, v10
	v_fmac_f32_e32 v35, v206, v230
	v_dot4c_i32_i8_e32 v229, v133, v11
	v_fma_f32 v230, v162, v226, 0
	v_mul_lo_u32 v226, v228, v217
	v_mov_b32_e32 v228, 0
	v_mad_u64_u32 v[226:227], s[20:21], v229, v216, v[226:227]
	v_cvt_f32_i32_e32 v226, v226
	v_mov_b32_e32 v227, 0
	v_dot4c_i32_i8_e32 v227, v124, v0
	v_dot4c_i32_i8_e32 v227, v125, v1
	v_fmac_f32_e32 v230, v163, v226
	v_mov_b32_e32 v226, 0
	v_dot4c_i32_i8_e32 v226, v128, v4
	v_dot4c_i32_i8_e32 v226, v129, v5
	;; [unrolled: 1-line block ×7, first 2 shown]
	v_mul_lo_u32 v226, v226, v218
	v_mov_b32_e32 v229, 0
	v_mad_u64_u32 v[226:227], s[20:21], v227, v219, v[226:227]
	v_cvt_f32_i32_e32 v226, v226
	v_dot4c_i32_i8_e32 v228, v141, v13
	v_dot4c_i32_i8_e32 v229, v152, v8
	v_dot4c_i32_i8_e32 v228, v138, v14
	v_dot4c_i32_i8_e32 v229, v153, v9
	v_dot4c_i32_i8_e32 v228, v139, v15
	v_dot4c_i32_i8_e32 v229, v148, v10
	v_fmac_f32_e32 v33, v207, v230
	v_dot4c_i32_i8_e32 v229, v149, v11
	v_fma_f32 v230, v162, v226, 0
	v_mul_lo_u32 v226, v228, v221
	s_nop 0
	v_mad_u64_u32 v[226:227], s[20:21], v229, v220, v[226:227]
	v_cvt_f32_i32_e32 v226, v226
	v_fmac_f32_e32 v230, v163, v226
	v_mov_b32_e32 v226, 0
	v_dot4c_i32_i8_e32 v226, v150, v12
	v_mov_b32_e32 v12, 0
	v_dot4c_i32_i8_e32 v12, v156, v8
	;; [unrolled: 2-line block ×3, first 2 shown]
	v_dot4c_i32_i8_e32 v8, v145, v5
	v_mov_b32_e32 v5, 0
	v_dot4c_i32_i8_e32 v5, v134, v0
	v_dot4c_i32_i8_e32 v8, v142, v6
	;; [unrolled: 1-line block ×7, first 2 shown]
	v_mul_lo_u32 v4, v8, v222
	v_dot4c_i32_i8_e32 v226, v146, v14
	v_mad_u64_u32 v[0:1], s[20:21], v5, v223, v[4:5]
	v_cvt_f32_i32_e32 v0, v0
	v_dot4c_i32_i8_e32 v12, v157, v9
	v_dot4c_i32_i8_e32 v226, v147, v15
	;; [unrolled: 1-line block ×4, first 2 shown]
	v_fma_f32 v2, v162, v0, 0
	v_mul_lo_u32 v0, v226, v225
	v_mov_b32_e32 v226, 0
	v_mad_u64_u32 v[0:1], s[20:21], v12, v224, v[0:1]
	v_cvt_f32_i32_e32 v0, v0
	v_fmac_f32_e32 v31, v208, v230
	v_fmac_f32_e32 v2, v163, v0
	v_or_b32_e32 v0, s1, v188
	v_lshlrev_b32_e32 v12, 2, v0
	v_lshrrev_b32_e32 v162, 1, v0
	v_fmac_f32_e32 v29, v209, v2
	ds_read_b128 v[0:3], v12 offset:33280
	ds_read_b128 v[4:7], v12 offset:33296
	;; [unrolled: 1-line block ×4, first 2 shown]
	ds_read_b64 v[162:163], v162 offset:43584
	s_add_i32 s1, s0, 8
	s_cmp_lt_u32 s0, 24
	s_mov_b32 s0, s1
	s_waitcnt lgkmcnt(1)
	v_dot4c_i32_i8_e32 v226, v160, v12
	v_dot4c_i32_i8_e32 v226, v161, v13
	;; [unrolled: 1-line block ×3, first 2 shown]
	v_mov_b32_e32 v158, 0
	v_dot4c_i32_i8_e32 v158, v116, v8
	v_dot4c_i32_i8_e32 v158, v117, v9
	;; [unrolled: 1-line block ×3, first 2 shown]
	v_mov_b32_e32 v114, 0
	v_dot4c_i32_i8_e32 v114, v104, v4
	v_dot4c_i32_i8_e32 v114, v105, v5
	v_dot4c_i32_i8_e32 v114, v102, v6
	v_dot4c_i32_i8_e32 v114, v103, v7
	v_mov_b32_e32 v103, 0
	v_dot4c_i32_i8_e32 v103, v100, v0
	v_dot4c_i32_i8_e32 v103, v101, v1
	v_dot4c_i32_i8_e32 v103, v98, v2
	v_mul_lo_u32 v102, v114, v210
	v_dot4c_i32_i8_e32 v103, v99, v3
	v_dot4c_i32_i8_e32 v226, v159, v15
	;; [unrolled: 1-line block ×3, first 2 shown]
	v_mov_b32_e32 v101, 0
	v_mad_u64_u32 v[98:99], s[20:21], v103, v211, v[102:103]
	v_cvt_f32_i32_e32 v98, v98
	v_dot4c_i32_i8_e32 v101, v136, v8
	v_dot4c_i32_i8_e32 v101, v137, v9
	;; [unrolled: 1-line block ×3, first 2 shown]
	s_waitcnt lgkmcnt(0)
	v_fma_f32 v100, v162, v98, 0
	v_mul_lo_u32 v98, v226, v213
	v_mad_u64_u32 v[98:99], s[20:21], v158, v212, v[98:99]
	v_cvt_f32_i32_e32 v98, v98
	v_mov_b32_e32 v99, 0
	v_dot4c_i32_i8_e32 v99, v108, v0
	v_dot4c_i32_i8_e32 v99, v109, v1
	v_fmac_f32_e32 v100, v163, v98
	v_mov_b32_e32 v98, 0
	v_dot4c_i32_i8_e32 v98, v112, v4
	v_dot4c_i32_i8_e32 v98, v113, v5
	;; [unrolled: 1-line block ×6, first 2 shown]
	v_fmac_f32_e32 v27, v206, v100
	v_mul_lo_u32 v98, v98, v214
	v_mov_b32_e32 v100, 0
	v_mad_u64_u32 v[98:99], s[20:21], v99, v215, v[98:99]
	v_dot4c_i32_i8_e32 v100, v120, v12
	v_cvt_f32_i32_e32 v98, v98
	v_dot4c_i32_i8_e32 v100, v121, v13
	v_dot4c_i32_i8_e32 v100, v118, v14
	;; [unrolled: 1-line block ×4, first 2 shown]
	v_fma_f32 v102, v162, v98, 0
	s_nop 0
	v_mul_lo_u32 v98, v100, v217
	v_mad_u64_u32 v[98:99], s[20:21], v101, v216, v[98:99]
	v_cvt_f32_i32_e32 v98, v98
	v_mov_b32_e32 v99, 0
	v_dot4c_i32_i8_e32 v99, v124, v0
	v_dot4c_i32_i8_e32 v99, v125, v1
	v_fmac_f32_e32 v102, v163, v98
	v_mov_b32_e32 v98, 0
	v_dot4c_i32_i8_e32 v98, v128, v4
	v_dot4c_i32_i8_e32 v98, v129, v5
	;; [unrolled: 1-line block ×6, first 2 shown]
	v_mov_b32_e32 v100, 0
	v_mul_lo_u32 v98, v98, v218
	v_dot4c_i32_i8_e32 v100, v140, v12
	v_mad_u64_u32 v[98:99], s[20:21], v99, v219, v[98:99]
	v_mov_b32_e32 v101, 0
	v_cvt_f32_i32_e32 v98, v98
	v_dot4c_i32_i8_e32 v100, v141, v13
	v_dot4c_i32_i8_e32 v101, v152, v8
	;; [unrolled: 1-line block ×6, first 2 shown]
	v_fmac_f32_e32 v25, v207, v102
	v_dot4c_i32_i8_e32 v101, v149, v11
	v_fma_f32 v102, v162, v98, 0
	v_mul_lo_u32 v98, v100, v221
	s_nop 0
	v_mad_u64_u32 v[98:99], s[20:21], v101, v220, v[98:99]
	v_cvt_f32_i32_e32 v98, v98
	v_fmac_f32_e32 v102, v163, v98
	v_mov_b32_e32 v98, 0
	v_dot4c_i32_i8_e32 v98, v150, v12
	v_mov_b32_e32 v12, 0
	v_dot4c_i32_i8_e32 v12, v156, v8
	;; [unrolled: 2-line block ×3, first 2 shown]
	v_dot4c_i32_i8_e32 v8, v145, v5
	v_mov_b32_e32 v5, 0
	v_dot4c_i32_i8_e32 v5, v134, v0
	v_dot4c_i32_i8_e32 v8, v142, v6
	;; [unrolled: 1-line block ×7, first 2 shown]
	v_mul_lo_u32 v4, v8, v222
	v_dot4c_i32_i8_e32 v98, v146, v14
	v_mad_u64_u32 v[0:1], s[20:21], v5, v223, v[4:5]
	v_cvt_f32_i32_e32 v0, v0
	v_dot4c_i32_i8_e32 v12, v157, v9
	v_dot4c_i32_i8_e32 v98, v147, v15
	;; [unrolled: 1-line block ×4, first 2 shown]
	v_fma_f32 v2, v162, v0, 0
	v_mul_lo_u32 v0, v98, v225
	v_fmac_f32_e32 v23, v208, v102
	v_mad_u64_u32 v[0:1], s[20:21], v12, v224, v[0:1]
	v_cvt_f32_i32_e32 v0, v0
	v_fmac_f32_e32 v2, v163, v0
	v_fmac_f32_e32 v17, v209, v2
	s_cbranch_scc1 .LBB136_8
; %bb.9:                                ;   in Loop: Header=BB136_5 Depth=1
	s_add_i32 s9, s9, 1
	s_cmp_eq_u32 s9, s4
	s_barrier
	s_cbranch_scc0 .LBB136_5
; %bb.10:
	v_mov_b32_e32 v1, v51
.LBB136_11:
	v_cmp_gt_u32_e32 vcc, s10, v69
	s_and_saveexec_b64 s[0:1], vcc
	s_cbranch_execz .LBB136_62
; %bb.12:
	v_add_u32_e32 v0, s6, v47
	v_mul_lo_u32 v5, v69, s14
	v_cmp_gt_u32_e32 vcc, s14, v0
	s_and_saveexec_b64 s[0:1], vcc
	s_cbranch_execz .LBB136_14
; %bb.13:
	v_add_u32_e32 v2, v0, v5
	v_mov_b32_e32 v3, 0
	s_waitcnt lgkmcnt(0)
	v_lshl_add_u64 v[2:3], v[2:3], 2, s[12:13]
	global_store_dword v[2:3], v167, off
.LBB136_14:
	s_or_b64 exec, exec, s[0:1]
	v_add_u32_e32 v2, 32, v0
	v_cmp_gt_u32_e64 s[0:1], s14, v2
	s_and_saveexec_b64 s[2:3], s[0:1]
	s_cbranch_execz .LBB136_16
; %bb.15:
	v_add_u32_e32 v6, v2, v5
	v_mov_b32_e32 v7, 0
	s_waitcnt lgkmcnt(0)
	v_lshl_add_u64 v[6:7], v[6:7], 2, s[12:13]
	global_store_dword v[6:7], v97, off
.LBB136_16:
	s_or_b64 exec, exec, s[2:3]
	v_add_u32_e32 v3, 64, v0
	v_cmp_gt_u32_e64 s[2:3], s14, v3
	s_and_saveexec_b64 s[4:5], s[2:3]
	;; [unrolled: 12-line block ×3, first 2 shown]
	s_cbranch_execz .LBB136_20
; %bb.19:
	v_add_u32_e32 v6, v4, v5
	v_mov_b32_e32 v7, 0
	s_waitcnt lgkmcnt(0)
	v_lshl_add_u64 v[6:7], v[6:7], 2, s[12:13]
	global_store_dword v[6:7], v91, off
.LBB136_20:
	s_or_b64 exec, exec, s[6:7]
	v_add3_u32 v5, v1, s15, 8
	v_cmp_gt_u32_e64 s[6:7], s10, v5
	s_and_b64 exec, exec, s[6:7]
	s_cbranch_execz .LBB136_62
; %bb.21:
	v_mul_lo_u32 v5, v5, s14
	s_and_saveexec_b64 s[6:7], vcc
	s_cbranch_execnz .LBB136_63
; %bb.22:
	s_or_b64 exec, exec, s[6:7]
	s_and_saveexec_b64 s[6:7], s[0:1]
	s_cbranch_execnz .LBB136_64
.LBB136_23:
	s_or_b64 exec, exec, s[6:7]
	s_and_saveexec_b64 s[6:7], s[2:3]
	s_cbranch_execnz .LBB136_65
.LBB136_24:
	s_or_b64 exec, exec, s[6:7]
	s_and_saveexec_b64 s[6:7], s[4:5]
	s_cbranch_execz .LBB136_26
.LBB136_25:
	v_add_u32_e32 v6, v5, v4
	v_mov_b32_e32 v7, 0
	s_waitcnt lgkmcnt(0)
	v_lshl_add_u64 v[6:7], v[6:7], 2, s[12:13]
	global_store_dword v[6:7], v77, off
.LBB136_26:
	s_or_b64 exec, exec, s[6:7]
	v_add3_u32 v5, v1, s15, 16
	v_cmp_gt_u32_e64 s[6:7], s10, v5
	s_and_b64 exec, exec, s[6:7]
	s_cbranch_execz .LBB136_62
; %bb.27:
	v_mul_lo_u32 v5, v5, s14
	s_and_saveexec_b64 s[6:7], vcc
	s_cbranch_execnz .LBB136_66
; %bb.28:
	s_or_b64 exec, exec, s[6:7]
	s_and_saveexec_b64 s[6:7], s[0:1]
	s_cbranch_execnz .LBB136_67
.LBB136_29:
	s_or_b64 exec, exec, s[6:7]
	s_and_saveexec_b64 s[6:7], s[2:3]
	s_cbranch_execnz .LBB136_68
.LBB136_30:
	s_or_b64 exec, exec, s[6:7]
	s_and_saveexec_b64 s[6:7], s[4:5]
	s_cbranch_execz .LBB136_32
.LBB136_31:
	v_add_u32_e32 v6, v5, v4
	v_mov_b32_e32 v7, 0
	s_waitcnt lgkmcnt(0)
	v_lshl_add_u64 v[6:7], v[6:7], 2, s[12:13]
	global_store_dword v[6:7], v65, off
.LBB136_32:
	s_or_b64 exec, exec, s[6:7]
	v_add3_u32 v5, v1, s15, 24
	v_cmp_gt_u32_e64 s[6:7], s10, v5
	s_and_b64 exec, exec, s[6:7]
	s_cbranch_execz .LBB136_62
; %bb.33:
	v_mul_lo_u32 v5, v5, s14
	s_and_saveexec_b64 s[6:7], vcc
	s_cbranch_execnz .LBB136_69
; %bb.34:
	s_or_b64 exec, exec, s[6:7]
	s_and_saveexec_b64 s[6:7], s[0:1]
	s_cbranch_execnz .LBB136_70
.LBB136_35:
	s_or_b64 exec, exec, s[6:7]
	s_and_saveexec_b64 s[6:7], s[2:3]
	s_cbranch_execnz .LBB136_71
.LBB136_36:
	s_or_b64 exec, exec, s[6:7]
	s_and_saveexec_b64 s[6:7], s[4:5]
	s_cbranch_execz .LBB136_38
.LBB136_37:
	v_add_u32_e32 v6, v5, v4
	v_mov_b32_e32 v7, 0
	s_waitcnt lgkmcnt(0)
	v_lshl_add_u64 v[6:7], v[6:7], 2, s[12:13]
	global_store_dword v[6:7], v57, off
.LBB136_38:
	s_or_b64 exec, exec, s[6:7]
	v_add3_u32 v5, v1, s15, 32
	v_cmp_gt_u32_e64 s[6:7], s10, v5
	s_and_b64 exec, exec, s[6:7]
	s_cbranch_execz .LBB136_62
; %bb.39:
	v_mul_lo_u32 v5, v5, s14
	s_and_saveexec_b64 s[6:7], vcc
	s_cbranch_execnz .LBB136_72
; %bb.40:
	s_or_b64 exec, exec, s[6:7]
	s_and_saveexec_b64 s[6:7], s[0:1]
	s_cbranch_execnz .LBB136_73
.LBB136_41:
	s_or_b64 exec, exec, s[6:7]
	s_and_saveexec_b64 s[6:7], s[2:3]
	s_cbranch_execnz .LBB136_74
.LBB136_42:
	s_or_b64 exec, exec, s[6:7]
	s_and_saveexec_b64 s[6:7], s[4:5]
	s_cbranch_execz .LBB136_44
.LBB136_43:
	v_add_u32_e32 v6, v5, v4
	v_mov_b32_e32 v7, 0
	s_waitcnt lgkmcnt(0)
	v_lshl_add_u64 v[6:7], v[6:7], 2, s[12:13]
	global_store_dword v[6:7], v45, off
.LBB136_44:
	s_or_b64 exec, exec, s[6:7]
	v_add3_u32 v5, v1, s15, 40
	v_cmp_gt_u32_e64 s[6:7], s10, v5
	s_and_b64 exec, exec, s[6:7]
	s_cbranch_execz .LBB136_62
; %bb.45:
	v_mul_lo_u32 v5, v5, s14
	s_and_saveexec_b64 s[6:7], vcc
	s_cbranch_execnz .LBB136_75
; %bb.46:
	s_or_b64 exec, exec, s[6:7]
	s_and_saveexec_b64 s[6:7], s[0:1]
	s_cbranch_execnz .LBB136_76
.LBB136_47:
	s_or_b64 exec, exec, s[6:7]
	s_and_saveexec_b64 s[6:7], s[2:3]
	s_cbranch_execnz .LBB136_77
.LBB136_48:
	s_or_b64 exec, exec, s[6:7]
	s_and_saveexec_b64 s[6:7], s[4:5]
	s_cbranch_execz .LBB136_50
.LBB136_49:
	v_add_u32_e32 v6, v5, v4
	v_mov_b32_e32 v7, 0
	s_waitcnt lgkmcnt(0)
	v_lshl_add_u64 v[6:7], v[6:7], 2, s[12:13]
	global_store_dword v[6:7], v37, off
.LBB136_50:
	s_or_b64 exec, exec, s[6:7]
	v_add3_u32 v5, v1, s15, 48
	v_cmp_gt_u32_e64 s[6:7], s10, v5
	s_and_b64 exec, exec, s[6:7]
	s_cbranch_execz .LBB136_62
; %bb.51:
	v_mul_lo_u32 v5, v5, s14
	s_and_saveexec_b64 s[6:7], vcc
	s_cbranch_execnz .LBB136_78
; %bb.52:
	s_or_b64 exec, exec, s[6:7]
	s_and_saveexec_b64 s[6:7], s[0:1]
	s_cbranch_execnz .LBB136_79
.LBB136_53:
	s_or_b64 exec, exec, s[6:7]
	s_and_saveexec_b64 s[6:7], s[2:3]
	s_cbranch_execnz .LBB136_80
.LBB136_54:
	s_or_b64 exec, exec, s[6:7]
	s_and_saveexec_b64 s[6:7], s[4:5]
	s_cbranch_execz .LBB136_56
.LBB136_55:
	v_add_u32_e32 v6, v5, v4
	v_mov_b32_e32 v7, 0
	s_waitcnt lgkmcnt(0)
	v_lshl_add_u64 v[6:7], v[6:7], 2, s[12:13]
	global_store_dword v[6:7], v29, off
.LBB136_56:
	s_or_b64 exec, exec, s[6:7]
	v_add3_u32 v1, v1, s15, 56
	v_cmp_gt_u32_e64 s[6:7], s10, v1
	s_and_b64 exec, exec, s[6:7]
	s_cbranch_execz .LBB136_62
; %bb.57:
	v_mul_lo_u32 v1, v1, s14
	s_and_saveexec_b64 s[6:7], vcc
	s_cbranch_execnz .LBB136_81
; %bb.58:
	s_or_b64 exec, exec, s[6:7]
	s_and_saveexec_b64 s[6:7], s[0:1]
	s_cbranch_execnz .LBB136_82
.LBB136_59:
	s_or_b64 exec, exec, s[6:7]
	s_and_saveexec_b64 s[0:1], s[2:3]
	s_cbranch_execnz .LBB136_83
.LBB136_60:
	s_or_b64 exec, exec, s[0:1]
	s_and_b64 exec, exec, s[4:5]
	s_cbranch_execz .LBB136_62
.LBB136_61:
	v_add_u32_e32 v0, v1, v4
	v_mov_b32_e32 v1, 0
	s_waitcnt lgkmcnt(0)
	v_lshl_add_u64 v[0:1], v[0:1], 2, s[12:13]
	global_store_dword v[0:1], v17, off
.LBB136_62:
	s_endpgm
.LBB136_63:
	v_add_u32_e32 v6, v5, v0
	v_mov_b32_e32 v7, 0
	s_waitcnt lgkmcnt(0)
	v_lshl_add_u64 v[6:7], v[6:7], 2, s[12:13]
	global_store_dword v[6:7], v83, off
	s_or_b64 exec, exec, s[6:7]
	s_and_saveexec_b64 s[6:7], s[0:1]
	s_cbranch_execz .LBB136_23
.LBB136_64:
	v_add_u32_e32 v6, v5, v2
	v_mov_b32_e32 v7, 0
	s_waitcnt lgkmcnt(0)
	v_lshl_add_u64 v[6:7], v[6:7], 2, s[12:13]
	global_store_dword v[6:7], v81, off
	s_or_b64 exec, exec, s[6:7]
	s_and_saveexec_b64 s[6:7], s[2:3]
	s_cbranch_execz .LBB136_24
.LBB136_65:
	v_add_u32_e32 v6, v5, v3
	v_mov_b32_e32 v7, 0
	s_waitcnt lgkmcnt(0)
	v_lshl_add_u64 v[6:7], v[6:7], 2, s[12:13]
	global_store_dword v[6:7], v79, off
	s_or_b64 exec, exec, s[6:7]
	s_and_saveexec_b64 s[6:7], s[4:5]
	s_cbranch_execnz .LBB136_25
	s_branch .LBB136_26
.LBB136_66:
	v_add_u32_e32 v6, v5, v0
	v_mov_b32_e32 v7, 0
	s_waitcnt lgkmcnt(0)
	v_lshl_add_u64 v[6:7], v[6:7], 2, s[12:13]
	global_store_dword v[6:7], v73, off
	s_or_b64 exec, exec, s[6:7]
	s_and_saveexec_b64 s[6:7], s[0:1]
	s_cbranch_execz .LBB136_29
.LBB136_67:
	v_add_u32_e32 v6, v5, v2
	v_mov_b32_e32 v7, 0
	s_waitcnt lgkmcnt(0)
	v_lshl_add_u64 v[6:7], v[6:7], 2, s[12:13]
	global_store_dword v[6:7], v71, off
	s_or_b64 exec, exec, s[6:7]
	s_and_saveexec_b64 s[6:7], s[2:3]
	s_cbranch_execz .LBB136_30
.LBB136_68:
	v_add_u32_e32 v6, v5, v3
	v_mov_b32_e32 v7, 0
	s_waitcnt lgkmcnt(0)
	v_lshl_add_u64 v[6:7], v[6:7], 2, s[12:13]
	global_store_dword v[6:7], v67, off
	s_or_b64 exec, exec, s[6:7]
	s_and_saveexec_b64 s[6:7], s[4:5]
	s_cbranch_execnz .LBB136_31
	s_branch .LBB136_32
.LBB136_69:
	v_add_u32_e32 v6, v5, v0
	v_mov_b32_e32 v7, 0
	s_waitcnt lgkmcnt(0)
	v_lshl_add_u64 v[6:7], v[6:7], 2, s[12:13]
	global_store_dword v[6:7], v63, off
	s_or_b64 exec, exec, s[6:7]
	s_and_saveexec_b64 s[6:7], s[0:1]
	s_cbranch_execz .LBB136_35
.LBB136_70:
	v_add_u32_e32 v6, v5, v2
	v_mov_b32_e32 v7, 0
	s_waitcnt lgkmcnt(0)
	v_lshl_add_u64 v[6:7], v[6:7], 2, s[12:13]
	global_store_dword v[6:7], v61, off
	s_or_b64 exec, exec, s[6:7]
	s_and_saveexec_b64 s[6:7], s[2:3]
	s_cbranch_execz .LBB136_36
.LBB136_71:
	v_add_u32_e32 v6, v5, v3
	v_mov_b32_e32 v7, 0
	s_waitcnt lgkmcnt(0)
	v_lshl_add_u64 v[6:7], v[6:7], 2, s[12:13]
	global_store_dword v[6:7], v59, off
	s_or_b64 exec, exec, s[6:7]
	s_and_saveexec_b64 s[6:7], s[4:5]
	s_cbranch_execnz .LBB136_37
	s_branch .LBB136_38
.LBB136_72:
	v_add_u32_e32 v6, v5, v0
	v_mov_b32_e32 v7, 0
	s_waitcnt lgkmcnt(0)
	v_lshl_add_u64 v[6:7], v[6:7], 2, s[12:13]
	global_store_dword v[6:7], v55, off
	s_or_b64 exec, exec, s[6:7]
	s_and_saveexec_b64 s[6:7], s[0:1]
	s_cbranch_execz .LBB136_41
.LBB136_73:
	v_add_u32_e32 v6, v5, v2
	v_mov_b32_e32 v7, 0
	s_waitcnt lgkmcnt(0)
	v_lshl_add_u64 v[6:7], v[6:7], 2, s[12:13]
	global_store_dword v[6:7], v53, off
	s_or_b64 exec, exec, s[6:7]
	s_and_saveexec_b64 s[6:7], s[2:3]
	s_cbranch_execz .LBB136_42
.LBB136_74:
	v_add_u32_e32 v6, v5, v3
	v_mov_b32_e32 v7, 0
	s_waitcnt lgkmcnt(0)
	v_lshl_add_u64 v[6:7], v[6:7], 2, s[12:13]
	global_store_dword v[6:7], v49, off
	s_or_b64 exec, exec, s[6:7]
	s_and_saveexec_b64 s[6:7], s[4:5]
	s_cbranch_execnz .LBB136_43
	s_branch .LBB136_44
.LBB136_75:
	v_add_u32_e32 v6, v5, v0
	v_mov_b32_e32 v7, 0
	s_waitcnt lgkmcnt(0)
	v_lshl_add_u64 v[6:7], v[6:7], 2, s[12:13]
	global_store_dword v[6:7], v43, off
	s_or_b64 exec, exec, s[6:7]
	s_and_saveexec_b64 s[6:7], s[0:1]
	s_cbranch_execz .LBB136_47
.LBB136_76:
	v_add_u32_e32 v6, v5, v2
	v_mov_b32_e32 v7, 0
	s_waitcnt lgkmcnt(0)
	v_lshl_add_u64 v[6:7], v[6:7], 2, s[12:13]
	global_store_dword v[6:7], v41, off
	s_or_b64 exec, exec, s[6:7]
	s_and_saveexec_b64 s[6:7], s[2:3]
	s_cbranch_execz .LBB136_48
.LBB136_77:
	v_add_u32_e32 v6, v5, v3
	v_mov_b32_e32 v7, 0
	s_waitcnt lgkmcnt(0)
	v_lshl_add_u64 v[6:7], v[6:7], 2, s[12:13]
	global_store_dword v[6:7], v39, off
	s_or_b64 exec, exec, s[6:7]
	s_and_saveexec_b64 s[6:7], s[4:5]
	s_cbranch_execnz .LBB136_49
	s_branch .LBB136_50
.LBB136_78:
	v_add_u32_e32 v6, v5, v0
	v_mov_b32_e32 v7, 0
	s_waitcnt lgkmcnt(0)
	v_lshl_add_u64 v[6:7], v[6:7], 2, s[12:13]
	global_store_dword v[6:7], v35, off
	s_or_b64 exec, exec, s[6:7]
	s_and_saveexec_b64 s[6:7], s[0:1]
	s_cbranch_execz .LBB136_53
.LBB136_79:
	v_add_u32_e32 v6, v5, v2
	v_mov_b32_e32 v7, 0
	s_waitcnt lgkmcnt(0)
	v_lshl_add_u64 v[6:7], v[6:7], 2, s[12:13]
	global_store_dword v[6:7], v33, off
	s_or_b64 exec, exec, s[6:7]
	s_and_saveexec_b64 s[6:7], s[2:3]
	s_cbranch_execz .LBB136_54
.LBB136_80:
	v_add_u32_e32 v6, v5, v3
	v_mov_b32_e32 v7, 0
	s_waitcnt lgkmcnt(0)
	v_lshl_add_u64 v[6:7], v[6:7], 2, s[12:13]
	global_store_dword v[6:7], v31, off
	s_or_b64 exec, exec, s[6:7]
	s_and_saveexec_b64 s[6:7], s[4:5]
	s_cbranch_execnz .LBB136_55
	s_branch .LBB136_56
.LBB136_81:
	v_add_u32_e32 v6, v1, v0
	v_mov_b32_e32 v7, 0
	s_waitcnt lgkmcnt(0)
	v_lshl_add_u64 v[6:7], v[6:7], 2, s[12:13]
	global_store_dword v[6:7], v27, off
	s_or_b64 exec, exec, s[6:7]
	s_and_saveexec_b64 s[6:7], s[0:1]
	s_cbranch_execz .LBB136_59
.LBB136_82:
	v_add_u32_e32 v6, v1, v2
	v_mov_b32_e32 v7, 0
	s_waitcnt lgkmcnt(0)
	v_lshl_add_u64 v[6:7], v[6:7], 2, s[12:13]
	global_store_dword v[6:7], v25, off
	s_or_b64 exec, exec, s[6:7]
	s_and_saveexec_b64 s[0:1], s[2:3]
	s_cbranch_execz .LBB136_60
.LBB136_83:
	v_add_u32_e32 v2, v1, v3
	v_mov_b32_e32 v3, 0
	s_waitcnt lgkmcnt(0)
	v_lshl_add_u64 v[2:3], v[2:3], 2, s[12:13]
	global_store_dword v[2:3], v23, off
	s_or_b64 exec, exec, s[0:1]
	s_and_b64 exec, exec, s[4:5]
	s_cbranch_execnz .LBB136_61
	s_branch .LBB136_62
	.section	.rodata,"a",@progbits
	.p2align	6, 0x0
	.amdhsa_kernel _ZL12mul_mat_q6_KIfLb1EEvPKvS1_PT_iiiii
		.amdhsa_group_segment_fixed_size 45136
		.amdhsa_private_segment_fixed_size 0
		.amdhsa_kernarg_size 44
		.amdhsa_user_sgpr_count 2
		.amdhsa_user_sgpr_dispatch_ptr 0
		.amdhsa_user_sgpr_queue_ptr 0
		.amdhsa_user_sgpr_kernarg_segment_ptr 1
		.amdhsa_user_sgpr_dispatch_id 0
		.amdhsa_user_sgpr_kernarg_preload_length 0
		.amdhsa_user_sgpr_kernarg_preload_offset 0
		.amdhsa_user_sgpr_private_segment_size 0
		.amdhsa_uses_dynamic_stack 0
		.amdhsa_enable_private_segment 0
		.amdhsa_system_sgpr_workgroup_id_x 1
		.amdhsa_system_sgpr_workgroup_id_y 1
		.amdhsa_system_sgpr_workgroup_id_z 0
		.amdhsa_system_sgpr_workgroup_info 0
		.amdhsa_system_vgpr_workitem_id 1
		.amdhsa_next_free_vgpr 232
		.amdhsa_next_free_sgpr 26
		.amdhsa_accum_offset 232
		.amdhsa_reserve_vcc 1
		.amdhsa_float_round_mode_32 0
		.amdhsa_float_round_mode_16_64 0
		.amdhsa_float_denorm_mode_32 3
		.amdhsa_float_denorm_mode_16_64 3
		.amdhsa_dx10_clamp 1
		.amdhsa_ieee_mode 1
		.amdhsa_fp16_overflow 0
		.amdhsa_tg_split 0
		.amdhsa_exception_fp_ieee_invalid_op 0
		.amdhsa_exception_fp_denorm_src 0
		.amdhsa_exception_fp_ieee_div_zero 0
		.amdhsa_exception_fp_ieee_overflow 0
		.amdhsa_exception_fp_ieee_underflow 0
		.amdhsa_exception_fp_ieee_inexact 0
		.amdhsa_exception_int_div_zero 0
	.end_amdhsa_kernel
	.section	.text._ZL12mul_mat_q6_KIfLb1EEvPKvS1_PT_iiiii,"axG",@progbits,_ZL12mul_mat_q6_KIfLb1EEvPKvS1_PT_iiiii,comdat
.Lfunc_end136:
	.size	_ZL12mul_mat_q6_KIfLb1EEvPKvS1_PT_iiiii, .Lfunc_end136-_ZL12mul_mat_q6_KIfLb1EEvPKvS1_PT_iiiii
                                        ; -- End function
	.section	.AMDGPU.csdata,"",@progbits
; Kernel info:
; codeLenInByte = 19584
; NumSgprs: 32
; NumVgprs: 232
; NumAgprs: 0
; TotalNumVgprs: 232
; ScratchSize: 0
; MemoryBound: 0
; FloatMode: 240
; IeeeMode: 1
; LDSByteSize: 45136 bytes/workgroup (compile time only)
; SGPRBlocks: 3
; VGPRBlocks: 28
; NumSGPRsForWavesPerEU: 32
; NumVGPRsForWavesPerEU: 232
; AccumOffset: 232
; Occupancy: 1
; WaveLimiterHint : 0
; COMPUTE_PGM_RSRC2:SCRATCH_EN: 0
; COMPUTE_PGM_RSRC2:USER_SGPR: 2
; COMPUTE_PGM_RSRC2:TRAP_HANDLER: 0
; COMPUTE_PGM_RSRC2:TGID_X_EN: 1
; COMPUTE_PGM_RSRC2:TGID_Y_EN: 1
; COMPUTE_PGM_RSRC2:TGID_Z_EN: 0
; COMPUTE_PGM_RSRC2:TIDIG_COMP_CNT: 1
; COMPUTE_PGM_RSRC3_GFX90A:ACCUM_OFFSET: 57
; COMPUTE_PGM_RSRC3_GFX90A:TG_SPLIT: 0
	.section	.text._ZL12mul_mat_q4_0IN3c104HalfELb0EEvPKvS3_PT_iiiii,"axG",@progbits,_ZL12mul_mat_q4_0IN3c104HalfELb0EEvPKvS3_PT_iiiii,comdat
	.globl	_ZL12mul_mat_q4_0IN3c104HalfELb0EEvPKvS3_PT_iiiii ; -- Begin function _ZL12mul_mat_q4_0IN3c104HalfELb0EEvPKvS3_PT_iiiii
	.p2align	8
	.type	_ZL12mul_mat_q4_0IN3c104HalfELb0EEvPKvS3_PT_iiiii,@function
_ZL12mul_mat_q4_0IN3c104HalfELb0EEvPKvS3_PT_iiiii: ; @_ZL12mul_mat_q4_0IN3c104HalfELb0EEvPKvS3_PT_iiiii
; %bb.0:
	s_load_dword s15, s[0:1], 0x18
	s_load_dwordx4 s[8:11], s[0:1], 0x20
	s_waitcnt lgkmcnt(0)
	s_lshl_b32 s11, s3, 6
	v_bfe_u32 v41, v0, 10, 10
	s_cmp_gt_i32 s15, 31
	s_cbranch_scc1 .LBB137_2
; %bb.1:
	v_bfe_u32 v1, v0, 10, 10
	s_mov_b32 s4, 0
	v_and_b32_e32 v37, 0x3ff, v0
	v_add_u32_e32 v43, s11, v1
	s_mov_b32 s5, s4
	s_mov_b64 s[6:7], 0
	s_branch .LBB137_3
.LBB137_2:
	s_mov_b64 s[6:7], -1
                                        ; implicit-def: $sgpr4_sgpr5
                                        ; implicit-def: $vgpr1
                                        ; implicit-def: $vgpr37
                                        ; implicit-def: $vgpr43
.LBB137_3:
	s_load_dwordx2 s[12:13], s[0:1], 0x10
	s_lshl_b32 s14, s2, 7
	s_andn2_b64 vcc, exec, s[6:7]
	v_mov_b64_e32 v[8:9], s[4:5]
	v_mov_b64_e32 v[16:17], s[4:5]
	;; [unrolled: 1-line block ×16, first 2 shown]
	s_cbranch_vccnz .LBB137_13
; %bb.4:
	s_ashr_i32 s4, s15, 31
	s_load_dwordx4 s[0:3], s[0:1], 0x0
	s_lshr_b32 s4, s4, 27
	s_ashr_i32 s6, s9, 31
	s_add_i32 s4, s15, s4
	s_lshr_b32 s6, s6, 27
	s_ashr_i32 s5, s4, 5
	s_add_i32 s6, s9, s6
	s_ashr_i32 s9, s6, 5
	s_mul_i32 s6, s5, s14
	s_mul_hi_i32 s7, s6, 18
	s_mul_i32 s6, s6, 18
	s_waitcnt lgkmcnt(0)
	s_add_u32 s6, s0, s6
	s_addc_u32 s7, s1, s7
	v_mul_lo_u32 v40, s5, v41
	s_lshl_b32 s15, s5, 3
	v_add_u32_e32 v42, s15, v40
	v_add_u32_e32 v46, s15, v42
	;; [unrolled: 1-line block ×11, first 2 shown]
	v_and_b32_e32 v37, 0x3ff, v0
	v_add_u32_e32 v68, s15, v66
	v_add_u32_e32 v70, s15, v68
	v_lshrrev_b32_e32 v81, 3, v37
	v_add_u32_e32 v72, s15, v70
	v_and_b32_e32 v76, 7, v37
	v_lshl_add_u32 v0, v41, 2, v81
	v_add_u32_e32 v74, s15, v72
	v_and_b32_e32 v1, 0x7fc, v0
	v_lshlrev_b32_e32 v3, 2, v76
	s_movk_i32 s15, 0x6200
	v_add3_u32 v4, v1, v3, s15
	v_add_u32_e32 v1, 32, v0
	v_mul_lo_u32 v78, s5, v0
	v_lshlrev_b32_e32 v5, 5, v0
	v_and_b32_e32 v6, 0xffc, v1
	v_lshlrev_b32_e32 v7, 5, v1
	v_add_u32_e32 v1, 64, v0
	v_add_u32_e32 v0, 0x60, v0
	v_mov_b32_e32 v39, 0
	v_lshlrev_b32_e32 v2, 2, v37
	s_movk_i32 s1, 0x84
	v_and_b32_e32 v8, 0xffc, v1
	v_lshlrev_b32_e32 v9, 5, v1
	v_and_b32_e32 v1, 0xffc, v0
	v_lshrrev_b32_e32 v36, 2, v37
	v_and_b32_e32 v38, 12, v2
	v_mad_u32_u24 v47, v41, s1, v2
	s_andn2_b32 s4, s4, 31
	v_add3_u32 v6, v6, v3, s15
	v_add3_u32 v8, v8, v3, s15
	;; [unrolled: 1-line block ×3, first 2 shown]
	v_and_b32_e32 v2, 28, v2
	v_mov_b32_e32 v3, v39
	v_add_u32_e32 v80, s4, v78
	v_lshl_add_u64 v[86:87], s[2:3], 0, v[2:3]
	v_lshl_add_u32 v2, v41, 3, v36
	v_add_u32_e32 v82, s4, v80
	v_and_b32_e32 v3, 63, v2
	v_add_u32_e32 v84, s4, v82
	s_add_i32 s4, s8, -1
	v_or_b32_e32 v13, s11, v3
	v_and_b32_e32 v2, 3, v37
	v_min_i32_e32 v13, s4, v13
	v_mad_u64_u32 v[88:89], s[16:17], v13, s9, v[2:3]
	v_lshlrev_b32_e32 v2, 2, v2
	v_add_u32_e32 v43, s11, v41
	v_lshl_or_b32 v2, v3, 4, v2
	v_lshlrev_b32_e32 v11, 5, v0
	v_cvt_f64_i32_e32 v[0:1], s4
	v_add_u32_e32 v83, 0x7280, v2
	v_cvt_f64_u32_e32 v[2:3], v43
	v_min_f64 v[2:3], v[2:3], v[0:1]
	v_cvt_i32_f64_e32 v2, v[2:3]
	v_mul_lo_u32 v85, s9, v2
	v_add_u32_e32 v2, 8, v43
	v_cvt_f64_u32_e32 v[2:3], v2
	v_min_f64 v[2:3], v[2:3], v[0:1]
	v_cvt_i32_f64_e32 v2, v[2:3]
	v_mul_lo_u32 v91, s9, v2
	;; [unrolled: 5-line block ×7, first 2 shown]
	v_add_u32_e32 v2, 56, v43
	v_cvt_f64_u32_e32 v[2:3], v2
	v_min_f64 v[0:1], v[2:3], v[0:1]
	v_and_b32_e32 v12, 31, v37
	v_lshlrev_b32_e32 v13, 7, v41
	v_cvt_i32_f64_e32 v0, v[0:1]
	v_lshl_or_b32 v12, v12, 2, v13
	v_mul_lo_u32 v108, s9, v0
	v_add_u32_e32 v0, 32, v37
	v_add_u32_e32 v1, 64, v37
	;; [unrolled: 1-line block ×3, first 2 shown]
	s_mov_b32 s0, 0
	v_add_u32_e32 v89, 0x4200, v12
	v_add_u32_e32 v93, 0x4600, v12
	;; [unrolled: 1-line block ×8, first 2 shown]
	v_lshlrev_b32_e32 v3, 5, v37
	v_lshrrev_b32_e32 v111, 3, v0
	v_and_b32_e32 v2, 0x1fc, v2
	v_and_b32_e32 v1, 0x1fc, v1
	v_and_b32_e32 v0, 0x1fc, v0
	v_and_b32_e32 v12, 0xfc, v37
	v_add_u32_e32 v2, v3, v2
	v_add_u32_e32 v1, v3, v1
	;; [unrolled: 1-line block ×4, first 2 shown]
	v_mov_b32_e32 v12, 0x7280
	v_mad_u32_u24 v122, v37, s1, 64
	s_mov_b32 s1, s0
	v_add_u32_e32 v49, 0x420, v47
	v_add_u32_e32 v51, 0x840, v47
	;; [unrolled: 1-line block ×15, first 2 shown]
	v_mul_u32_u24_e32 v110, 0x84, v37
	v_add_u32_e32 v112, 0x6e00, v2
	v_add_u32_e32 v113, 0x6a00, v1
	;; [unrolled: 1-line block ×5, first 2 shown]
	v_lshl_add_u32 v117, v41, 4, v12
	v_add_u32_e32 v118, 0x6e10, v2
	v_add_u32_e32 v119, 0x6a10, v1
	;; [unrolled: 1-line block ×4, first 2 shown]
	v_mov_b64_e32 v[54:55], s[0:1]
	v_add_u32_e32 v123, v4, v5
	v_add_u32_e32 v124, v6, v7
	;; [unrolled: 1-line block ×4, first 2 shown]
	s_mov_b32 s4, 0x41000000
	v_mov_b64_e32 v[30:31], s[0:1]
	v_mov_b64_e32 v[22:23], s[0:1]
	;; [unrolled: 1-line block ×15, first 2 shown]
	s_branch .LBB137_6
.LBB137_5:                              ;   in Loop: Header=BB137_6 Depth=1
	s_add_i32 s0, s0, 8
	s_cmp_ge_i32 s0, s5
	s_cbranch_scc1 .LBB137_12
.LBB137_6:                              ; =>This Loop Header: Depth=1
                                        ;     Child Loop BB137_7 Depth 2
                                        ;     Child Loop BB137_10 Depth 2
	s_mul_i32 s9, s0, 18
	s_mul_hi_u32 s1, s0, 18
	s_add_u32 s16, s6, s9
	s_addc_u32 s17, s7, s1
	v_mad_u64_u32 v[0:1], s[18:19], v36, 18, s[16:17]
	v_lshl_add_u64 v[0:1], v[0:1], 0, v[38:39]
	v_lshl_add_u64 v[0:1], v[0:1], 0, 2
	v_mad_u64_u32 v[2:3], s[18:19], v40, 18, v[0:1]
	v_mad_u64_u32 v[4:5], s[18:19], v42, 18, v[0:1]
	;; [unrolled: 1-line block ×8, first 2 shown]
	global_load_dword v90, v[2:3], off
	global_load_dword v92, v[4:5], off
	;; [unrolled: 1-line block ×7, first 2 shown]
                                        ; kill: killed $vgpr132_vgpr133
                                        ; kill: killed $vgpr130_vgpr131
	s_nop 0
	global_load_dword v134, v[134:135], off
	v_mad_u64_u32 v[2:3], s[18:19], v60, 18, v[0:1]
	v_mad_u64_u32 v[4:5], s[18:19], v62, 18, v[0:1]
	;; [unrolled: 1-line block ×8, first 2 shown]
	global_load_dword v135, v[2:3], off
	global_load_dword v139, v[4:5], off
	;; [unrolled: 1-line block ×8, first 2 shown]
	v_mad_u64_u32 v[0:1], s[16:17], v76, 18, s[16:17]
	v_mad_u64_u32 v[2:3], s[16:17], v78, 18, v[0:1]
	;; [unrolled: 1-line block ×5, first 2 shown]
	v_add_u32_e32 v132, s0, v81
	global_load_ushort v146, v[2:3], off
	global_load_ushort v147, v[4:5], off
	;; [unrolled: 1-line block ×4, first 2 shown]
	v_add_u32_e32 v0, v132, v85
	v_add_u32_e32 v2, v132, v91
	;; [unrolled: 1-line block ×5, first 2 shown]
	v_mad_i64_i32 v[0:1], s[16:17], v0, 36, v[86:87]
	v_mad_i64_i32 v[2:3], s[16:17], v2, 36, v[86:87]
	v_mad_i64_i32 v[4:5], s[16:17], v4, 36, v[86:87]
	v_mad_i64_i32 v[6:7], s[16:17], v6, 36, v[86:87]
	v_mad_i64_i32 v[98:99], s[16:17], v98, 36, v[86:87]
	v_add_u32_e32 v128, v132, v104
	v_add_u32_e32 v130, v132, v106
	;; [unrolled: 1-line block ×3, first 2 shown]
	v_mad_i64_i32 v[128:129], s[16:17], v128, 36, v[86:87]
	v_mad_i64_i32 v[130:131], s[16:17], v130, 36, v[86:87]
	;; [unrolled: 1-line block ×3, first 2 shown]
	global_load_dword v150, v[0:1], off offset:4
	s_nop 0
	global_load_dword v2, v[2:3], off offset:4
	s_nop 0
	;; [unrolled: 2-line block ×3, first 2 shown]
	global_load_dword v4, v[6:7], off offset:4
	global_load_dword v5, v[98:99], off offset:4
	s_nop 0
	global_load_dword v6, v[128:129], off offset:4
	global_load_dword v7, v[130:131], off offset:4
	;; [unrolled: 1-line block ×3, first 2 shown]
	v_add_u32_e32 v127, s0, v88
	v_mad_u64_u32 v[0:1], s[16:17], v127, 36, s[2:3]
	global_load_dword v0, v[0:1], off
	s_mov_b32 s1, -4
	v_mov_b32_e32 v128, v117
	v_mov_b32_e32 v129, v116
	;; [unrolled: 1-line block ×4, first 2 shown]
	s_waitcnt vmcnt(28)
	ds_write_b32 v47, v90
	s_waitcnt vmcnt(27)
	ds_write_b32 v49, v92
	;; [unrolled: 2-line block ×16, first 2 shown]
	v_mov_b32_e32 v132, v114
	v_mov_b32_e32 v133, v113
	;; [unrolled: 1-line block ×3, first 2 shown]
	s_waitcnt vmcnt(12)
	v_cvt_f32_f16_e32 v1, v146
	s_waitcnt vmcnt(11)
	v_cvt_f32_f16_e32 v90, v147
	;; [unrolled: 2-line block ×4, first 2 shown]
	ds_write_b32 v123, v1
	ds_write_b32 v124, v90
	;; [unrolled: 1-line block ×4, first 2 shown]
	s_waitcnt vmcnt(8)
	ds_write_b32 v89, v150
	s_waitcnt vmcnt(7)
	ds_write_b32 v93, v2
	;; [unrolled: 2-line block ×9, first 2 shown]
	s_waitcnt lgkmcnt(0)
	s_barrier
.LBB137_7:                              ;   Parent Loop BB137_6 Depth=1
                                        ; =>  This Inner Loop Header: Depth=2
	ds_read_b128 v[0:3], v129
	ds_read_b128 v[4:7], v129 offset:16
	ds_read2_b32 v[98:99], v128 offset1:32
	ds_read_b32 v90, v131
	ds_read2_b32 v[136:137], v130 offset1:1
	ds_read2_b32 v[144:145], v130 offset0:2 offset1:3
	v_add_u32_e32 v94, 0x1080, v130
	v_add_u32_e32 v96, 0x2100, v130
	v_mov_b32_e32 v172, 0
	s_waitcnt lgkmcnt(1)
	v_lshrrev_b32_e32 v92, 4, v136
	v_and_b32_e32 v135, 0xf0f0f0f, v136
	v_and_b32_e32 v136, 0xf0f0f0f, v92
	v_lshrrev_b32_e32 v92, 4, v137
	v_and_b32_e32 v140, 0xf0f0f0f, v92
	s_waitcnt lgkmcnt(0)
	v_lshrrev_b32_e32 v92, 4, v144
	v_and_b32_e32 v142, 0xf0f0f0f, v92
	v_lshrrev_b32_e32 v92, 4, v145
	v_and_b32_e32 v143, 0xf0f0f0f, v145
	v_and_b32_e32 v145, 0xf0f0f0f, v92
	ds_read_b32 v92, v132
	ds_read2_b32 v[146:147], v94 offset1:1
	v_and_b32_e32 v138, 0xf0f0f0f, v137
	v_and_b32_e32 v141, 0xf0f0f0f, v144
	v_mov_b32_e32 v174, 0
	v_mov_b32_e32 v175, 0
	s_waitcnt lgkmcnt(0)
	v_lshrrev_b32_e32 v94, 4, v146
	v_and_b32_e32 v139, 0xf0f0f0f, v94
	v_lshrrev_b32_e32 v94, 4, v147
	v_and_b32_e32 v137, 0xf0f0f0f, v146
	v_and_b32_e32 v146, 0xf0f0f0f, v94
	v_add_u32_e32 v94, 0x1088, v130
	ds_read2_b32 v[152:153], v94 offset1:1
	v_and_b32_e32 v144, 0xf0f0f0f, v147
	v_dot4c_i32_i8_e32 v172, v135, v0
	v_dot4c_i32_i8_e32 v174, v137, v0
	;; [unrolled: 1-line block ×3, first 2 shown]
	s_waitcnt lgkmcnt(0)
	v_lshrrev_b32_e32 v94, 4, v152
	v_and_b32_e32 v150, 0xf0f0f0f, v94
	v_lshrrev_b32_e32 v94, 4, v153
	v_and_b32_e32 v149, 0xf0f0f0f, v152
	v_and_b32_e32 v152, 0xf0f0f0f, v94
	ds_read_b32 v94, v133
	ds_read2_b32 v[154:155], v96 offset1:1
	v_and_b32_e32 v151, 0xf0f0f0f, v153
	v_dot4c_i32_i8_e32 v174, v139, v4
	v_dot4c_i32_i8_e32 v172, v138, v1
	;; [unrolled: 1-line block ×3, first 2 shown]
	s_waitcnt lgkmcnt(0)
	v_lshrrev_b32_e32 v96, 4, v154
	v_and_b32_e32 v148, 0xf0f0f0f, v96
	v_lshrrev_b32_e32 v96, 4, v155
	v_and_b32_e32 v147, 0xf0f0f0f, v154
	v_and_b32_e32 v154, 0xf0f0f0f, v96
	v_add_u32_e32 v96, 0x2108, v130
	ds_read2_b32 v[160:161], v96 offset1:1
	v_and_b32_e32 v153, 0xf0f0f0f, v155
	v_add_u32_e32 v155, 0x3180, v130
	v_dot4c_i32_i8_e32 v175, v147, v0
	v_dot4c_i32_i8_e32 v175, v148, v4
	s_waitcnt lgkmcnt(0)
	v_lshrrev_b32_e32 v96, 4, v160
	v_and_b32_e32 v158, 0xf0f0f0f, v96
	v_lshrrev_b32_e32 v96, 4, v161
	v_and_b32_e32 v157, 0xf0f0f0f, v160
	v_and_b32_e32 v160, 0xf0f0f0f, v96
	ds_read_b32 v96, v134
	ds_read2_b32 v[162:163], v155 offset1:1
	v_and_b32_e32 v159, 0xf0f0f0f, v161
	v_mov_b32_e32 v161, 0
	v_dot4c_i32_i8_e32 v175, v153, v1
	v_dot4c_i32_i8_e32 v172, v140, v5
	s_waitcnt lgkmcnt(0)
	v_and_b32_e32 v155, 0xf0f0f0f, v162
	v_lshrrev_b32_e32 v156, 4, v162
	v_and_b32_e32 v156, 0xf0f0f0f, v156
	v_dot4c_i32_i8_e32 v161, v155, v0
	v_dot4c_i32_i8_e32 v161, v156, v4
	v_and_b32_e32 v0, 0xf0f0f0f, v163
	v_dot4c_i32_i8_e32 v161, v0, v1
	v_add_u32_e32 v1, 0x3188, v130
	v_lshrrev_b32_e32 v4, 4, v163
	ds_read2_b32 v[162:163], v1 offset1:1
	v_and_b32_e32 v4, 0xf0f0f0f, v4
	v_dot4c_i32_i8_e32 v174, v146, v5
	v_dot4c_i32_i8_e32 v175, v154, v5
	;; [unrolled: 1-line block ×3, first 2 shown]
	s_waitcnt lgkmcnt(0)
	v_and_b32_e32 v1, 0xf0f0f0f, v162
	v_lshrrev_b32_e32 v5, 4, v162
	v_dot4c_i32_i8_e32 v172, v141, v2
	v_dot4c_i32_i8_e32 v174, v149, v2
	;; [unrolled: 1-line block ×3, first 2 shown]
	v_and_b32_e32 v5, 0xf0f0f0f, v5
	v_dot4c_i32_i8_e32 v161, v1, v2
	v_dot4c_i32_i8_e32 v172, v142, v6
	v_dot4c_i32_i8_e32 v174, v150, v6
	v_dot4c_i32_i8_e32 v175, v158, v6
	v_dot4c_i32_i8_e32 v161, v5, v6
	v_and_b32_e32 v2, 0xf0f0f0f, v163
	v_lshrrev_b32_e32 v6, 4, v163
	ds_read_b128 v[162:165], v129 offset:1024
	ds_read_b128 v[166:169], v129 offset:1040
	v_dot4c_i32_i8_e32 v172, v143, v3
	v_dot4c_i32_i8_e32 v174, v151, v3
	;; [unrolled: 1-line block ×4, first 2 shown]
	v_mov_b32_e32 v3, 0
	s_waitcnt lgkmcnt(1)
	v_dot4c_i32_i8_e32 v3, v135, v162
	s_waitcnt lgkmcnt(0)
	v_dot4c_i32_i8_e32 v3, v136, v166
	v_dot4c_i32_i8_e32 v3, v138, v163
	;; [unrolled: 1-line block ×8, first 2 shown]
	v_cvt_f32_f16_e32 v171, v99
	v_cvt_f32_f16_e32 v170, v98
	v_cvt_f32_i32_e32 v173, v3
	v_mov_b32_e32 v3, 0
	v_dot4c_i32_i8_e32 v3, v137, v162
	v_dot4c_i32_i8_e32 v3, v139, v166
	v_cvt_f32_f16_sdwa v99, v99 dst_sel:DWORD dst_unused:UNUSED_PAD src0_sel:WORD_1
	v_cvt_f32_f16_sdwa v98, v98 dst_sel:DWORD dst_unused:UNUSED_PAD src0_sel:WORD_1
	v_dot4c_i32_i8_e32 v3, v144, v163
	v_cvt_f32_i32_e32 v172, v172
	v_dot4c_i32_i8_e32 v3, v146, v167
	v_dot4c_i32_i8_e32 v3, v149, v164
	;; [unrolled: 1-line block ×3, first 2 shown]
	v_pk_mul_f32 v[98:99], v[98:99], s[4:5] op_sel_hi:[1,0]
	v_dot4c_i32_i8_e32 v3, v151, v165
	v_pk_fma_f32 v[172:173], v[170:171], v[172:173], v[98:99] neg_lo:[0,0,1] neg_hi:[0,0,1]
	v_dot4c_i32_i8_e32 v3, v152, v169
	v_pk_fma_f32 v[54:55], v[90:91], v[172:173], v[54:55] op_sel_hi:[0,1,1]
	v_dot4c_i32_i8_e32 v174, v152, v7
	v_and_b32_e32 v6, 0xf0f0f0f, v6
	v_cvt_f32_i32_e32 v173, v3
	v_mov_b32_e32 v3, 0
	v_dot4c_i32_i8_e32 v3, v147, v162
	v_dot4c_i32_i8_e32 v3, v148, v166
	;; [unrolled: 1-line block ×3, first 2 shown]
	v_cvt_f32_i32_e32 v172, v174
	v_dot4c_i32_i8_e32 v3, v154, v167
	v_dot4c_i32_i8_e32 v3, v157, v164
	v_dot4c_i32_i8_e32 v3, v158, v168
	v_dot4c_i32_i8_e32 v3, v159, v165
	v_pk_fma_f32 v[172:173], v[170:171], v[172:173], v[98:99] neg_lo:[0,0,1] neg_hi:[0,0,1]
	v_dot4c_i32_i8_e32 v3, v160, v169
	v_pk_fma_f32 v[44:45], v[92:93], v[172:173], v[44:45] op_sel_hi:[0,1,1]
	v_dot4c_i32_i8_e32 v175, v160, v7
	v_dot4c_i32_i8_e32 v161, v6, v7
	v_cvt_f32_i32_e32 v173, v3
	v_mov_b32_e32 v3, 0
	v_dot4c_i32_i8_e32 v3, v155, v162
	v_dot4c_i32_i8_e32 v3, v156, v166
	;; [unrolled: 1-line block ×8, first 2 shown]
	v_cvt_f32_i32_e32 v172, v175
	v_cvt_f32_i32_e32 v162, v161
	v_mov_b32_e32 v7, 0
	v_cvt_f32_i32_e32 v163, v3
	v_pk_fma_f32 v[172:173], v[170:171], v[172:173], v[98:99] neg_lo:[0,0,1] neg_hi:[0,0,1]
	v_mov_b32_e32 v3, 0
	v_mov_b32_e32 v161, 0
	v_pk_fma_f32 v[98:99], v[170:171], v[162:163], v[98:99] neg_lo:[0,0,1] neg_hi:[0,0,1]
	v_mov_b32_e32 v174, 0
	v_pk_fma_f32 v[32:33], v[96:97], v[98:99], v[32:33] op_sel_hi:[0,1,1]
	ds_read_b128 v[162:165], v129 offset:2048
	ds_read_b128 v[166:169], v129 offset:2064
	ds_read2_b32 v[98:99], v128 offset0:64 offset1:96
	v_pk_fma_f32 v[34:35], v[94:95], v[172:173], v[34:35] op_sel_hi:[0,1,1]
	v_mov_b32_e32 v172, 0
	s_waitcnt lgkmcnt(2)
	v_dot4c_i32_i8_e32 v3, v135, v162
	v_dot4c_i32_i8_e32 v7, v137, v162
	;; [unrolled: 1-line block ×4, first 2 shown]
	s_waitcnt lgkmcnt(1)
	v_dot4c_i32_i8_e32 v3, v136, v166
	v_dot4c_i32_i8_e32 v7, v139, v166
	;; [unrolled: 1-line block ×28, first 2 shown]
	ds_read_b128 v[162:165], v129 offset:3072
	ds_read_b128 v[166:169], v129 offset:3088
	s_waitcnt lgkmcnt(2)
	v_cvt_f32_f16_e32 v171, v99
	v_cvt_f32_f16_e32 v170, v98
	v_cvt_f32_f16_sdwa v99, v99 dst_sel:DWORD dst_unused:UNUSED_PAD src0_sel:WORD_1
	s_waitcnt lgkmcnt(1)
	v_dot4c_i32_i8_e32 v172, v135, v162
	s_waitcnt lgkmcnt(0)
	v_dot4c_i32_i8_e32 v172, v136, v166
	v_dot4c_i32_i8_e32 v172, v138, v163
	;; [unrolled: 1-line block ×7, first 2 shown]
	v_cvt_f32_f16_sdwa v98, v98 dst_sel:DWORD dst_unused:UNUSED_PAD src0_sel:WORD_1
	s_add_i32 s1, s1, 4
	v_add_u32_e32 v134, 4, v134
	v_cvt_f32_i32_e32 v173, v172
	v_cvt_f32_i32_e32 v172, v3
	v_mov_b32_e32 v3, 0
	v_dot4c_i32_i8_e32 v3, v137, v162
	v_dot4c_i32_i8_e32 v3, v139, v166
	;; [unrolled: 1-line block ×6, first 2 shown]
	v_pk_mul_f32 v[98:99], v[98:99], s[4:5] op_sel_hi:[1,0]
	v_dot4c_i32_i8_e32 v3, v151, v165
	v_pk_fma_f32 v[172:173], v[172:173], v[170:171], v[98:99] neg_lo:[0,0,1] neg_hi:[0,0,1]
	v_dot4c_i32_i8_e32 v3, v152, v169
	v_pk_fma_f32 v[30:31], v[90:91], v[172:173], v[30:31] op_sel_hi:[0,1,1]
	v_cvt_f32_i32_e32 v172, v7
	v_mov_b32_e32 v7, 0
	v_cvt_f32_i32_e32 v173, v3
	v_mov_b32_e32 v3, 0
	v_dot4c_i32_i8_e32 v3, v147, v162
	v_dot4c_i32_i8_e32 v3, v148, v166
	;; [unrolled: 1-line block ×7, first 2 shown]
	v_pk_fma_f32 v[172:173], v[172:173], v[170:171], v[98:99] neg_lo:[0,0,1] neg_hi:[0,0,1]
	v_dot4c_i32_i8_e32 v3, v160, v169
	v_pk_fma_f32 v[28:29], v[92:93], v[172:173], v[28:29] op_sel_hi:[0,1,1]
	v_cvt_f32_i32_e32 v172, v161
	v_mov_b32_e32 v161, 0
	v_cvt_f32_i32_e32 v173, v3
	v_mov_b32_e32 v3, 0
	v_dot4c_i32_i8_e32 v3, v155, v162
	v_dot4c_i32_i8_e32 v3, v156, v166
	v_dot4c_i32_i8_e32 v3, v0, v163
	v_dot4c_i32_i8_e32 v3, v4, v167
	v_dot4c_i32_i8_e32 v3, v1, v164
	v_dot4c_i32_i8_e32 v3, v5, v168
	v_dot4c_i32_i8_e32 v3, v2, v165
	v_dot4c_i32_i8_e32 v3, v6, v169
	v_cvt_f32_i32_e32 v162, v174
	v_pk_fma_f32 v[172:173], v[172:173], v[170:171], v[98:99] neg_lo:[0,0,1] neg_hi:[0,0,1]
	v_mov_b32_e32 v174, 0
	v_cvt_f32_i32_e32 v163, v3
	v_mov_b32_e32 v3, 0
	v_pk_fma_f32 v[26:27], v[94:95], v[172:173], v[26:27] op_sel_hi:[0,1,1]
	v_mov_b32_e32 v172, 0
	v_pk_fma_f32 v[98:99], v[162:163], v[170:171], v[98:99] neg_lo:[0,0,1] neg_hi:[0,0,1]
	v_add_u32_e32 v133, 4, v133
	v_pk_fma_f32 v[24:25], v[96:97], v[98:99], v[24:25] op_sel_hi:[0,1,1]
	ds_read_b128 v[162:165], v129 offset:4096
	ds_read_b128 v[166:169], v129 offset:4112
	ds_read2_b32 v[98:99], v128 offset0:128 offset1:160
	v_add_u32_e32 v132, 4, v132
	v_add_u32_e32 v131, 4, v131
	s_waitcnt lgkmcnt(2)
	v_dot4c_i32_i8_e32 v3, v135, v162
	v_dot4c_i32_i8_e32 v7, v137, v162
	v_dot4c_i32_i8_e32 v161, v147, v162
	v_dot4c_i32_i8_e32 v174, v155, v162
	s_waitcnt lgkmcnt(1)
	v_dot4c_i32_i8_e32 v3, v136, v166
	v_dot4c_i32_i8_e32 v7, v139, v166
	;; [unrolled: 1-line block ×28, first 2 shown]
	ds_read_b128 v[162:165], v129 offset:5120
	ds_read_b128 v[166:169], v129 offset:5136
	s_waitcnt lgkmcnt(2)
	v_cvt_f32_f16_e32 v171, v99
	v_cvt_f32_f16_e32 v170, v98
	v_cvt_f32_f16_sdwa v99, v99 dst_sel:DWORD dst_unused:UNUSED_PAD src0_sel:WORD_1
	s_waitcnt lgkmcnt(1)
	v_dot4c_i32_i8_e32 v172, v135, v162
	s_waitcnt lgkmcnt(0)
	v_dot4c_i32_i8_e32 v172, v136, v166
	v_dot4c_i32_i8_e32 v172, v138, v163
	;; [unrolled: 1-line block ×7, first 2 shown]
	v_cvt_f32_f16_sdwa v98, v98 dst_sel:DWORD dst_unused:UNUSED_PAD src0_sel:WORD_1
	v_add_u32_e32 v130, 16, v130
	s_cmp_lt_u32 s1, 12
	v_cvt_f32_i32_e32 v173, v172
	v_cvt_f32_i32_e32 v172, v3
	v_mov_b32_e32 v3, 0
	v_dot4c_i32_i8_e32 v3, v137, v162
	v_dot4c_i32_i8_e32 v3, v139, v166
	;; [unrolled: 1-line block ×6, first 2 shown]
	v_pk_mul_f32 v[98:99], v[98:99], s[4:5] op_sel_hi:[1,0]
	v_dot4c_i32_i8_e32 v3, v151, v165
	v_pk_fma_f32 v[172:173], v[172:173], v[170:171], v[98:99] neg_lo:[0,0,1] neg_hi:[0,0,1]
	v_dot4c_i32_i8_e32 v3, v152, v169
	v_pk_fma_f32 v[22:23], v[90:91], v[172:173], v[22:23] op_sel_hi:[0,1,1]
	v_cvt_f32_i32_e32 v172, v7
	v_mov_b32_e32 v7, 0
	v_cvt_f32_i32_e32 v173, v3
	v_mov_b32_e32 v3, 0
	v_dot4c_i32_i8_e32 v3, v147, v162
	v_dot4c_i32_i8_e32 v3, v148, v166
	;; [unrolled: 1-line block ×7, first 2 shown]
	v_pk_fma_f32 v[172:173], v[172:173], v[170:171], v[98:99] neg_lo:[0,0,1] neg_hi:[0,0,1]
	v_dot4c_i32_i8_e32 v3, v160, v169
	v_pk_fma_f32 v[20:21], v[92:93], v[172:173], v[20:21] op_sel_hi:[0,1,1]
	v_cvt_f32_i32_e32 v172, v161
	v_mov_b32_e32 v161, 0
	v_cvt_f32_i32_e32 v173, v3
	v_mov_b32_e32 v3, 0
	v_dot4c_i32_i8_e32 v3, v155, v162
	v_dot4c_i32_i8_e32 v3, v156, v166
	;; [unrolled: 1-line block ×8, first 2 shown]
	v_cvt_f32_i32_e32 v162, v174
	v_pk_fma_f32 v[172:173], v[172:173], v[170:171], v[98:99] neg_lo:[0,0,1] neg_hi:[0,0,1]
	s_nop 0
	v_cvt_f32_i32_e32 v163, v3
	v_mov_b32_e32 v3, 0
	v_pk_fma_f32 v[18:19], v[94:95], v[172:173], v[18:19] op_sel_hi:[0,1,1]
	v_pk_fma_f32 v[98:99], v[162:163], v[170:171], v[98:99] neg_lo:[0,0,1] neg_hi:[0,0,1]
	s_nop 0
	v_pk_fma_f32 v[16:17], v[96:97], v[98:99], v[16:17] op_sel_hi:[0,1,1]
	ds_read_b128 v[162:165], v129 offset:6144
	ds_read_b128 v[166:169], v129 offset:6160
	ds_read2_b32 v[98:99], v128 offset0:192 offset1:224
	v_mov_b32_e32 v170, 0
	v_mov_b32_e32 v171, 0
	s_waitcnt lgkmcnt(2)
	v_dot4c_i32_i8_e32 v3, v135, v162
	v_dot4c_i32_i8_e32 v7, v137, v162
	v_dot4c_i32_i8_e32 v161, v147, v162
	v_dot4c_i32_i8_e32 v170, v155, v162
	s_waitcnt lgkmcnt(1)
	v_dot4c_i32_i8_e32 v3, v136, v166
	v_dot4c_i32_i8_e32 v7, v139, v166
	v_dot4c_i32_i8_e32 v161, v148, v166
	v_dot4c_i32_i8_e32 v170, v156, v166
	v_dot4c_i32_i8_e32 v3, v138, v163
	v_dot4c_i32_i8_e32 v7, v144, v163
	v_dot4c_i32_i8_e32 v161, v153, v163
	v_dot4c_i32_i8_e32 v170, v0, v163
	v_dot4c_i32_i8_e32 v3, v140, v167
	v_dot4c_i32_i8_e32 v7, v146, v167
	v_dot4c_i32_i8_e32 v161, v154, v167
	v_dot4c_i32_i8_e32 v170, v4, v167
	v_dot4c_i32_i8_e32 v3, v141, v164
	v_dot4c_i32_i8_e32 v7, v149, v164
	v_dot4c_i32_i8_e32 v161, v157, v164
	v_dot4c_i32_i8_e32 v170, v1, v164
	v_dot4c_i32_i8_e32 v3, v142, v168
	v_dot4c_i32_i8_e32 v7, v150, v168
	v_dot4c_i32_i8_e32 v161, v158, v168
	v_dot4c_i32_i8_e32 v170, v5, v168
	v_dot4c_i32_i8_e32 v3, v143, v165
	v_dot4c_i32_i8_e32 v7, v151, v165
	v_dot4c_i32_i8_e32 v161, v159, v165
	v_dot4c_i32_i8_e32 v170, v2, v165
	v_dot4c_i32_i8_e32 v3, v145, v169
	v_dot4c_i32_i8_e32 v7, v152, v169
	v_dot4c_i32_i8_e32 v161, v160, v169
	v_dot4c_i32_i8_e32 v170, v6, v169
	ds_read_b128 v[162:165], v129 offset:7168
	ds_read_b128 v[166:169], v129 offset:7184
	v_add_u32_e32 v129, 32, v129
	v_add_u32_e32 v128, 4, v128
	s_waitcnt lgkmcnt(1)
	v_dot4c_i32_i8_e32 v171, v135, v162
	s_waitcnt lgkmcnt(0)
	v_dot4c_i32_i8_e32 v171, v136, v166
	v_dot4c_i32_i8_e32 v171, v138, v163
	;; [unrolled: 1-line block ×5, first 2 shown]
	v_cvt_f32_i32_e32 v142, v3
	v_mov_b32_e32 v3, 0
	v_dot4c_i32_i8_e32 v3, v137, v162
	v_dot4c_i32_i8_e32 v3, v139, v166
	;; [unrolled: 1-line block ×8, first 2 shown]
	v_cvt_f32_f16_e32 v141, v99
	v_cvt_f32_f16_e32 v140, v98
	v_cvt_f32_f16_sdwa v99, v99 dst_sel:DWORD dst_unused:UNUSED_PAD src0_sel:WORD_1
	v_cvt_f32_i32_e32 v137, v3
	v_mov_b32_e32 v3, 0
	v_dot4c_i32_i8_e32 v3, v147, v162
	v_dot4c_i32_i8_e32 v3, v148, v166
	v_cvt_f32_f16_sdwa v98, v98 dst_sel:DWORD dst_unused:UNUSED_PAD src0_sel:WORD_1
	v_dot4c_i32_i8_e32 v3, v153, v163
	v_cvt_f32_i32_e32 v136, v7
	v_dot4c_i32_i8_e32 v3, v154, v167
	v_dot4c_i32_i8_e32 v3, v157, v164
	;; [unrolled: 1-line block ×3, first 2 shown]
	v_pk_mul_f32 v[98:99], v[98:99], s[4:5] op_sel_hi:[1,0]
	v_dot4c_i32_i8_e32 v3, v159, v165
	v_pk_fma_f32 v[136:137], v[136:137], v[140:141], v[98:99] neg_lo:[0,0,1] neg_hi:[0,0,1]
	v_dot4c_i32_i8_e32 v3, v160, v169
	v_pk_fma_f32 v[12:13], v[92:93], v[136:137], v[12:13] op_sel_hi:[0,1,1]
	v_dot4c_i32_i8_e32 v171, v143, v165
	v_dot4c_i32_i8_e32 v171, v145, v169
	v_cvt_f32_i32_e32 v137, v3
	v_mov_b32_e32 v3, 0
	v_dot4c_i32_i8_e32 v3, v155, v162
	v_dot4c_i32_i8_e32 v3, v156, v166
	;; [unrolled: 1-line block ×8, first 2 shown]
	v_cvt_f32_i32_e32 v143, v171
	v_cvt_f32_i32_e32 v136, v161
	;; [unrolled: 1-line block ×4, first 2 shown]
	v_pk_fma_f32 v[142:143], v[142:143], v[140:141], v[98:99] neg_lo:[0,0,1] neg_hi:[0,0,1]
	v_pk_fma_f32 v[136:137], v[136:137], v[140:141], v[98:99] neg_lo:[0,0,1] neg_hi:[0,0,1]
	v_pk_fma_f32 v[14:15], v[90:91], v[142:143], v[14:15] op_sel_hi:[0,1,1]
	v_pk_fma_f32 v[0:1], v[0:1], v[140:141], v[98:99] neg_lo:[0,0,1] neg_hi:[0,0,1]
	v_pk_fma_f32 v[10:11], v[94:95], v[136:137], v[10:11] op_sel_hi:[0,1,1]
	v_pk_fma_f32 v[8:9], v[96:97], v[0:1], v[8:9] op_sel_hi:[0,1,1]
	s_cbranch_scc1 .LBB137_7
; %bb.8:                                ;   in Loop: Header=BB137_6 Depth=1
	s_or_b32 s1, s0, 4
	s_cmp_ge_i32 s1, s5
	s_barrier
	s_cbranch_scc1 .LBB137_5
; %bb.9:                                ;   in Loop: Header=BB137_6 Depth=1
	v_add_u32_e32 v90, s0, v111
	v_add_u32_e32 v92, v90, v102
	;; [unrolled: 1-line block ×6, first 2 shown]
	v_mad_i64_i32 v[98:99], s[16:17], v92, 36, v[86:87]
	v_add_u32_e32 v92, v90, v104
	v_mad_i64_i32 v[0:1], s[16:17], v0, 36, v[86:87]
	v_mad_i64_i32 v[2:3], s[16:17], v2, 36, v[86:87]
	;; [unrolled: 1-line block ×5, first 2 shown]
	v_add_u32_e32 v92, v90, v106
	v_add_u32_e32 v90, v90, v108
	v_mad_i64_i32 v[130:131], s[16:17], v92, 36, v[86:87]
	v_mad_i64_i32 v[132:133], s[16:17], v90, 36, v[86:87]
	global_load_dword v90, v[0:1], off offset:4
	s_nop 0
	global_load_dword v2, v[2:3], off offset:4
	s_nop 0
	;; [unrolled: 2-line block ×3, first 2 shown]
	global_load_dword v4, v[6:7], off offset:4
	global_load_dword v5, v[98:99], off offset:4
	s_nop 0
	global_load_dword v6, v[128:129], off offset:4
                                        ; kill: killed $vgpr128_vgpr129
                                        ; kill: killed $vgpr98_vgpr99
	global_load_dword v7, v[130:131], off offset:4
	global_load_dword v92, v[132:133], off offset:4
	v_add_u32_e32 v0, 4, v127
	v_mad_u64_u32 v[0:1], s[16:17], v0, 36, s[2:3]
	global_load_dword v0, v[0:1], off
	s_mov_b32 s1, 12
	v_mov_b32_e32 v127, v117
	v_mov_b32_e32 v128, v116
	;; [unrolled: 1-line block ×7, first 2 shown]
	s_waitcnt vmcnt(8)
	ds_write_b32 v89, v90
	s_waitcnt vmcnt(7)
	ds_write_b32 v93, v2
	;; [unrolled: 2-line block ×9, first 2 shown]
	s_waitcnt lgkmcnt(0)
	s_barrier
.LBB137_10:                             ;   Parent Loop BB137_6 Depth=1
                                        ; =>  This Inner Loop Header: Depth=2
	ds_read_b128 v[0:3], v128
	ds_read_b128 v[4:7], v128 offset:16
	ds_read2_b32 v[98:99], v127 offset1:32
	ds_read_b32 v90, v130
	ds_read2_b32 v[138:139], v129 offset1:1
	ds_read2_b32 v[142:143], v129 offset0:2 offset1:3
	v_add_u32_e32 v94, 0x1080, v129
	v_add_u32_e32 v96, 0x2100, v129
	v_mov_b32_e32 v170, 0
	s_waitcnt lgkmcnt(1)
	v_lshrrev_b32_e32 v92, 4, v138
	v_and_b32_e32 v135, 0xf0f0f0f, v92
	v_lshrrev_b32_e32 v92, 4, v139
	v_and_b32_e32 v137, 0xf0f0f0f, v139
	v_and_b32_e32 v139, 0xf0f0f0f, v92
	s_waitcnt lgkmcnt(0)
	v_lshrrev_b32_e32 v92, 4, v142
	v_and_b32_e32 v141, 0xf0f0f0f, v92
	v_lshrrev_b32_e32 v92, 4, v143
	v_and_b32_e32 v144, 0xf0f0f0f, v92
	ds_read_b32 v92, v131
	ds_read2_b32 v[146:147], v94 offset1:1
	v_and_b32_e32 v134, 0xf0f0f0f, v138
	v_and_b32_e32 v140, 0xf0f0f0f, v142
	;; [unrolled: 1-line block ×3, first 2 shown]
	v_mov_b32_e32 v172, 0
	s_waitcnt lgkmcnt(0)
	v_lshrrev_b32_e32 v94, 4, v146
	v_and_b32_e32 v138, 0xf0f0f0f, v94
	v_lshrrev_b32_e32 v94, 4, v147
	v_and_b32_e32 v145, 0xf0f0f0f, v94
	v_add_u32_e32 v94, 0x1088, v129
	v_and_b32_e32 v136, 0xf0f0f0f, v146
	v_and_b32_e32 v143, 0xf0f0f0f, v147
	ds_read2_b32 v[146:147], v94 offset1:1
	v_mov_b32_e32 v173, 0
	v_mov_b32_e32 v174, 0
	v_dot4c_i32_i8_e32 v170, v134, v0
	v_dot4c_i32_i8_e32 v172, v136, v0
	s_waitcnt lgkmcnt(0)
	v_lshrrev_b32_e32 v94, 4, v146
	v_and_b32_e32 v149, 0xf0f0f0f, v94
	v_lshrrev_b32_e32 v94, 4, v147
	v_and_b32_e32 v151, 0xf0f0f0f, v94
	ds_read_b32 v94, v132
	ds_read2_b32 v[152:153], v96 offset1:1
	v_and_b32_e32 v150, 0xf0f0f0f, v147
	v_and_b32_e32 v148, 0xf0f0f0f, v146
	v_dot4c_i32_i8_e32 v170, v135, v4
	v_dot4c_i32_i8_e32 v172, v138, v4
	s_waitcnt lgkmcnt(0)
	v_lshrrev_b32_e32 v96, 4, v152
	v_and_b32_e32 v147, 0xf0f0f0f, v96
	v_lshrrev_b32_e32 v96, 4, v153
	v_and_b32_e32 v146, 0xf0f0f0f, v152
	v_and_b32_e32 v152, 0xf0f0f0f, v153
	;; [unrolled: 1-line block ×3, first 2 shown]
	v_add_u32_e32 v96, 0x2108, v129
	ds_read2_b32 v[154:155], v96 offset1:1
	v_dot4c_i32_i8_e32 v173, v146, v0
	v_dot4c_i32_i8_e32 v173, v147, v4
	;; [unrolled: 1-line block ×4, first 2 shown]
	s_waitcnt lgkmcnt(0)
	v_lshrrev_b32_e32 v96, 4, v154
	v_and_b32_e32 v157, 0xf0f0f0f, v96
	v_lshrrev_b32_e32 v96, 4, v155
	v_and_b32_e32 v156, 0xf0f0f0f, v154
	v_and_b32_e32 v159, 0xf0f0f0f, v96
	v_add_u32_e32 v154, 0x3180, v129
	ds_read_b32 v96, v133
	ds_read2_b32 v[160:161], v154 offset1:1
	v_and_b32_e32 v158, 0xf0f0f0f, v155
	v_dot4c_i32_i8_e32 v173, v152, v1
	v_dot4c_i32_i8_e32 v170, v139, v5
	;; [unrolled: 1-line block ×3, first 2 shown]
	s_waitcnt lgkmcnt(0)
	v_and_b32_e32 v154, 0xf0f0f0f, v160
	v_lshrrev_b32_e32 v155, 4, v160
	v_and_b32_e32 v155, 0xf0f0f0f, v155
	v_dot4c_i32_i8_e32 v174, v154, v0
	v_dot4c_i32_i8_e32 v174, v155, v4
	v_and_b32_e32 v0, 0xf0f0f0f, v161
	v_dot4c_i32_i8_e32 v174, v0, v1
	v_add_u32_e32 v1, 0x3188, v129
	v_lshrrev_b32_e32 v4, 4, v161
	ds_read2_b32 v[160:161], v1 offset1:1
	v_and_b32_e32 v4, 0xf0f0f0f, v4
	v_dot4c_i32_i8_e32 v173, v153, v5
	v_dot4c_i32_i8_e32 v174, v4, v5
	;; [unrolled: 1-line block ×3, first 2 shown]
	s_waitcnt lgkmcnt(0)
	v_and_b32_e32 v1, 0xf0f0f0f, v160
	v_lshrrev_b32_e32 v5, 4, v160
	v_dot4c_i32_i8_e32 v172, v148, v2
	v_dot4c_i32_i8_e32 v173, v156, v2
	v_and_b32_e32 v5, 0xf0f0f0f, v5
	v_dot4c_i32_i8_e32 v174, v1, v2
	v_dot4c_i32_i8_e32 v170, v141, v6
	;; [unrolled: 1-line block ×5, first 2 shown]
	v_and_b32_e32 v2, 0xf0f0f0f, v161
	v_lshrrev_b32_e32 v6, 4, v161
	ds_read_b128 v[160:163], v128 offset:1024
	ds_read_b128 v[164:167], v128 offset:1040
	v_dot4c_i32_i8_e32 v170, v142, v3
	v_dot4c_i32_i8_e32 v172, v150, v3
	;; [unrolled: 1-line block ×4, first 2 shown]
	v_mov_b32_e32 v3, 0
	s_waitcnt lgkmcnt(1)
	v_dot4c_i32_i8_e32 v3, v134, v160
	s_waitcnt lgkmcnt(0)
	v_dot4c_i32_i8_e32 v3, v135, v164
	v_dot4c_i32_i8_e32 v3, v137, v161
	;; [unrolled: 1-line block ×8, first 2 shown]
	v_cvt_f32_f16_e32 v169, v99
	v_cvt_f32_f16_e32 v168, v98
	v_cvt_f32_i32_e32 v171, v3
	v_mov_b32_e32 v3, 0
	v_dot4c_i32_i8_e32 v3, v136, v160
	v_dot4c_i32_i8_e32 v3, v138, v164
	v_cvt_f32_f16_sdwa v99, v99 dst_sel:DWORD dst_unused:UNUSED_PAD src0_sel:WORD_1
	v_cvt_f32_f16_sdwa v98, v98 dst_sel:DWORD dst_unused:UNUSED_PAD src0_sel:WORD_1
	v_dot4c_i32_i8_e32 v3, v143, v161
	v_cvt_f32_i32_e32 v170, v170
	v_dot4c_i32_i8_e32 v3, v145, v165
	v_dot4c_i32_i8_e32 v3, v148, v162
	;; [unrolled: 1-line block ×3, first 2 shown]
	v_pk_mul_f32 v[98:99], v[98:99], s[4:5] op_sel_hi:[1,0]
	v_dot4c_i32_i8_e32 v3, v150, v163
	v_pk_fma_f32 v[170:171], v[168:169], v[170:171], v[98:99] neg_lo:[0,0,1] neg_hi:[0,0,1]
	v_dot4c_i32_i8_e32 v3, v151, v167
	v_pk_fma_f32 v[54:55], v[90:91], v[170:171], v[54:55] op_sel_hi:[0,1,1]
	v_dot4c_i32_i8_e32 v172, v151, v7
	v_and_b32_e32 v6, 0xf0f0f0f, v6
	v_cvt_f32_i32_e32 v171, v3
	v_mov_b32_e32 v3, 0
	v_dot4c_i32_i8_e32 v3, v146, v160
	v_dot4c_i32_i8_e32 v3, v147, v164
	;; [unrolled: 1-line block ×3, first 2 shown]
	v_cvt_f32_i32_e32 v170, v172
	v_dot4c_i32_i8_e32 v3, v153, v165
	v_dot4c_i32_i8_e32 v3, v156, v162
	;; [unrolled: 1-line block ×4, first 2 shown]
	v_pk_fma_f32 v[170:171], v[168:169], v[170:171], v[98:99] neg_lo:[0,0,1] neg_hi:[0,0,1]
	v_dot4c_i32_i8_e32 v3, v159, v167
	v_pk_fma_f32 v[44:45], v[92:93], v[170:171], v[44:45] op_sel_hi:[0,1,1]
	v_dot4c_i32_i8_e32 v173, v159, v7
	v_dot4c_i32_i8_e32 v174, v6, v7
	v_cvt_f32_i32_e32 v171, v3
	v_mov_b32_e32 v3, 0
	v_dot4c_i32_i8_e32 v3, v154, v160
	v_dot4c_i32_i8_e32 v3, v155, v164
	;; [unrolled: 1-line block ×8, first 2 shown]
	v_cvt_f32_i32_e32 v170, v173
	v_cvt_f32_i32_e32 v160, v174
	v_mov_b32_e32 v7, 0
	v_cvt_f32_i32_e32 v161, v3
	v_pk_fma_f32 v[170:171], v[168:169], v[170:171], v[98:99] neg_lo:[0,0,1] neg_hi:[0,0,1]
	v_mov_b32_e32 v3, 0
	v_mov_b32_e32 v172, 0
	v_pk_fma_f32 v[98:99], v[168:169], v[160:161], v[98:99] neg_lo:[0,0,1] neg_hi:[0,0,1]
	v_mov_b32_e32 v173, 0
	v_pk_fma_f32 v[32:33], v[96:97], v[98:99], v[32:33] op_sel_hi:[0,1,1]
	ds_read_b128 v[160:163], v128 offset:2048
	ds_read_b128 v[164:167], v128 offset:2064
	ds_read2_b32 v[98:99], v127 offset0:64 offset1:96
	v_pk_fma_f32 v[34:35], v[94:95], v[170:171], v[34:35] op_sel_hi:[0,1,1]
	v_mov_b32_e32 v170, 0
	s_waitcnt lgkmcnt(2)
	v_dot4c_i32_i8_e32 v3, v134, v160
	v_dot4c_i32_i8_e32 v7, v136, v160
	;; [unrolled: 1-line block ×4, first 2 shown]
	s_waitcnt lgkmcnt(1)
	v_dot4c_i32_i8_e32 v3, v135, v164
	v_dot4c_i32_i8_e32 v7, v138, v164
	;; [unrolled: 1-line block ×28, first 2 shown]
	ds_read_b128 v[160:163], v128 offset:3072
	ds_read_b128 v[164:167], v128 offset:3088
	s_waitcnt lgkmcnt(2)
	v_cvt_f32_f16_e32 v169, v99
	v_cvt_f32_f16_e32 v168, v98
	v_cvt_f32_f16_sdwa v99, v99 dst_sel:DWORD dst_unused:UNUSED_PAD src0_sel:WORD_1
	s_waitcnt lgkmcnt(1)
	v_dot4c_i32_i8_e32 v170, v134, v160
	s_waitcnt lgkmcnt(0)
	v_dot4c_i32_i8_e32 v170, v135, v164
	v_dot4c_i32_i8_e32 v170, v137, v161
	;; [unrolled: 1-line block ×7, first 2 shown]
	v_cvt_f32_f16_sdwa v98, v98 dst_sel:DWORD dst_unused:UNUSED_PAD src0_sel:WORD_1
	s_add_i32 s1, s1, 4
	v_add_u32_e32 v133, 4, v133
	v_cvt_f32_i32_e32 v171, v170
	v_cvt_f32_i32_e32 v170, v3
	v_mov_b32_e32 v3, 0
	v_dot4c_i32_i8_e32 v3, v136, v160
	v_dot4c_i32_i8_e32 v3, v138, v164
	;; [unrolled: 1-line block ×6, first 2 shown]
	v_pk_mul_f32 v[98:99], v[98:99], s[4:5] op_sel_hi:[1,0]
	v_dot4c_i32_i8_e32 v3, v150, v163
	v_pk_fma_f32 v[170:171], v[170:171], v[168:169], v[98:99] neg_lo:[0,0,1] neg_hi:[0,0,1]
	v_dot4c_i32_i8_e32 v3, v151, v167
	v_pk_fma_f32 v[30:31], v[90:91], v[170:171], v[30:31] op_sel_hi:[0,1,1]
	v_cvt_f32_i32_e32 v170, v7
	v_mov_b32_e32 v7, 0
	v_cvt_f32_i32_e32 v171, v3
	v_mov_b32_e32 v3, 0
	v_dot4c_i32_i8_e32 v3, v146, v160
	v_dot4c_i32_i8_e32 v3, v147, v164
	v_dot4c_i32_i8_e32 v3, v152, v161
	v_dot4c_i32_i8_e32 v3, v153, v165
	v_dot4c_i32_i8_e32 v3, v156, v162
	v_dot4c_i32_i8_e32 v3, v157, v166
	v_dot4c_i32_i8_e32 v3, v158, v163
	v_pk_fma_f32 v[170:171], v[170:171], v[168:169], v[98:99] neg_lo:[0,0,1] neg_hi:[0,0,1]
	v_dot4c_i32_i8_e32 v3, v159, v167
	v_pk_fma_f32 v[28:29], v[92:93], v[170:171], v[28:29] op_sel_hi:[0,1,1]
	v_cvt_f32_i32_e32 v170, v172
	v_mov_b32_e32 v172, 0
	v_cvt_f32_i32_e32 v171, v3
	v_mov_b32_e32 v3, 0
	v_dot4c_i32_i8_e32 v3, v154, v160
	v_dot4c_i32_i8_e32 v3, v155, v164
	;; [unrolled: 1-line block ×8, first 2 shown]
	v_cvt_f32_i32_e32 v160, v173
	v_pk_fma_f32 v[170:171], v[170:171], v[168:169], v[98:99] neg_lo:[0,0,1] neg_hi:[0,0,1]
	v_mov_b32_e32 v173, 0
	v_cvt_f32_i32_e32 v161, v3
	v_mov_b32_e32 v3, 0
	v_pk_fma_f32 v[26:27], v[94:95], v[170:171], v[26:27] op_sel_hi:[0,1,1]
	v_mov_b32_e32 v170, 0
	v_pk_fma_f32 v[98:99], v[160:161], v[168:169], v[98:99] neg_lo:[0,0,1] neg_hi:[0,0,1]
	v_add_u32_e32 v132, 4, v132
	v_pk_fma_f32 v[24:25], v[96:97], v[98:99], v[24:25] op_sel_hi:[0,1,1]
	ds_read_b128 v[160:163], v128 offset:4096
	ds_read_b128 v[164:167], v128 offset:4112
	ds_read2_b32 v[98:99], v127 offset0:128 offset1:160
	v_add_u32_e32 v131, 4, v131
	v_add_u32_e32 v130, 4, v130
	s_waitcnt lgkmcnt(2)
	v_dot4c_i32_i8_e32 v3, v134, v160
	v_dot4c_i32_i8_e32 v7, v136, v160
	;; [unrolled: 1-line block ×4, first 2 shown]
	s_waitcnt lgkmcnt(1)
	v_dot4c_i32_i8_e32 v3, v135, v164
	v_dot4c_i32_i8_e32 v7, v138, v164
	;; [unrolled: 1-line block ×28, first 2 shown]
	ds_read_b128 v[160:163], v128 offset:5120
	ds_read_b128 v[164:167], v128 offset:5136
	s_waitcnt lgkmcnt(2)
	v_cvt_f32_f16_e32 v169, v99
	v_cvt_f32_f16_e32 v168, v98
	v_cvt_f32_f16_sdwa v99, v99 dst_sel:DWORD dst_unused:UNUSED_PAD src0_sel:WORD_1
	s_waitcnt lgkmcnt(1)
	v_dot4c_i32_i8_e32 v170, v134, v160
	s_waitcnt lgkmcnt(0)
	v_dot4c_i32_i8_e32 v170, v135, v164
	v_dot4c_i32_i8_e32 v170, v137, v161
	;; [unrolled: 1-line block ×7, first 2 shown]
	v_cvt_f32_f16_sdwa v98, v98 dst_sel:DWORD dst_unused:UNUSED_PAD src0_sel:WORD_1
	v_add_u32_e32 v129, 16, v129
	s_cmp_lt_u32 s1, 28
	v_cvt_f32_i32_e32 v171, v170
	v_cvt_f32_i32_e32 v170, v3
	v_mov_b32_e32 v3, 0
	v_dot4c_i32_i8_e32 v3, v136, v160
	v_dot4c_i32_i8_e32 v3, v138, v164
	;; [unrolled: 1-line block ×6, first 2 shown]
	v_pk_mul_f32 v[98:99], v[98:99], s[4:5] op_sel_hi:[1,0]
	v_dot4c_i32_i8_e32 v3, v150, v163
	v_pk_fma_f32 v[170:171], v[170:171], v[168:169], v[98:99] neg_lo:[0,0,1] neg_hi:[0,0,1]
	v_dot4c_i32_i8_e32 v3, v151, v167
	v_pk_fma_f32 v[22:23], v[90:91], v[170:171], v[22:23] op_sel_hi:[0,1,1]
	v_cvt_f32_i32_e32 v170, v7
	v_mov_b32_e32 v7, 0
	v_cvt_f32_i32_e32 v171, v3
	v_mov_b32_e32 v3, 0
	v_dot4c_i32_i8_e32 v3, v146, v160
	v_dot4c_i32_i8_e32 v3, v147, v164
	;; [unrolled: 1-line block ×7, first 2 shown]
	v_pk_fma_f32 v[170:171], v[170:171], v[168:169], v[98:99] neg_lo:[0,0,1] neg_hi:[0,0,1]
	v_dot4c_i32_i8_e32 v3, v159, v167
	v_pk_fma_f32 v[20:21], v[92:93], v[170:171], v[20:21] op_sel_hi:[0,1,1]
	v_cvt_f32_i32_e32 v170, v172
	s_nop 0
	v_cvt_f32_i32_e32 v171, v3
	v_mov_b32_e32 v3, 0
	v_dot4c_i32_i8_e32 v3, v154, v160
	v_dot4c_i32_i8_e32 v3, v155, v164
	;; [unrolled: 1-line block ×8, first 2 shown]
	v_cvt_f32_i32_e32 v160, v173
	v_pk_fma_f32 v[170:171], v[170:171], v[168:169], v[98:99] neg_lo:[0,0,1] neg_hi:[0,0,1]
	s_nop 0
	v_cvt_f32_i32_e32 v161, v3
	v_mov_b32_e32 v3, 0
	v_pk_fma_f32 v[18:19], v[94:95], v[170:171], v[18:19] op_sel_hi:[0,1,1]
	v_mov_b32_e32 v170, 0
	v_pk_fma_f32 v[98:99], v[160:161], v[168:169], v[98:99] neg_lo:[0,0,1] neg_hi:[0,0,1]
	v_mov_b32_e32 v168, 0
	v_pk_fma_f32 v[16:17], v[96:97], v[98:99], v[16:17] op_sel_hi:[0,1,1]
	ds_read_b128 v[160:163], v128 offset:6144
	ds_read_b128 v[164:167], v128 offset:6160
	ds_read2_b32 v[98:99], v127 offset0:192 offset1:224
	v_mov_b32_e32 v169, 0
	v_add_u32_e32 v127, 4, v127
	s_waitcnt lgkmcnt(2)
	v_dot4c_i32_i8_e32 v3, v134, v160
	v_dot4c_i32_i8_e32 v7, v136, v160
	;; [unrolled: 1-line block ×4, first 2 shown]
	s_waitcnt lgkmcnt(1)
	v_dot4c_i32_i8_e32 v3, v135, v164
	v_dot4c_i32_i8_e32 v7, v138, v164
	;; [unrolled: 1-line block ×28, first 2 shown]
	ds_read_b128 v[160:163], v128 offset:7168
	ds_read_b128 v[164:167], v128 offset:7184
	v_add_u32_e32 v128, 32, v128
	s_waitcnt lgkmcnt(1)
	v_dot4c_i32_i8_e32 v170, v134, v160
	s_waitcnt lgkmcnt(0)
	v_dot4c_i32_i8_e32 v170, v135, v164
	v_dot4c_i32_i8_e32 v170, v137, v161
	;; [unrolled: 1-line block ×4, first 2 shown]
	v_cvt_f32_i32_e32 v140, v3
	v_mov_b32_e32 v3, 0
	v_dot4c_i32_i8_e32 v3, v136, v160
	v_dot4c_i32_i8_e32 v3, v138, v164
	;; [unrolled: 1-line block ×8, first 2 shown]
	v_cvt_f32_f16_e32 v135, v99
	v_cvt_f32_f16_e32 v134, v98
	v_cvt_f32_f16_sdwa v99, v99 dst_sel:DWORD dst_unused:UNUSED_PAD src0_sel:WORD_1
	v_cvt_f32_i32_e32 v137, v3
	v_mov_b32_e32 v3, 0
	v_dot4c_i32_i8_e32 v3, v146, v160
	v_dot4c_i32_i8_e32 v3, v147, v164
	v_cvt_f32_f16_sdwa v98, v98 dst_sel:DWORD dst_unused:UNUSED_PAD src0_sel:WORD_1
	v_dot4c_i32_i8_e32 v3, v152, v161
	v_cvt_f32_i32_e32 v136, v7
	v_dot4c_i32_i8_e32 v3, v153, v165
	v_dot4c_i32_i8_e32 v3, v156, v162
	;; [unrolled: 1-line block ×3, first 2 shown]
	v_pk_mul_f32 v[98:99], v[98:99], s[4:5] op_sel_hi:[1,0]
	v_dot4c_i32_i8_e32 v3, v158, v163
	v_pk_fma_f32 v[136:137], v[136:137], v[134:135], v[98:99] neg_lo:[0,0,1] neg_hi:[0,0,1]
	v_dot4c_i32_i8_e32 v3, v159, v167
	v_pk_fma_f32 v[12:13], v[92:93], v[136:137], v[12:13] op_sel_hi:[0,1,1]
	v_dot4c_i32_i8_e32 v170, v141, v166
	v_dot4c_i32_i8_e32 v170, v142, v163
	v_cvt_f32_i32_e32 v137, v3
	v_mov_b32_e32 v3, 0
	v_dot4c_i32_i8_e32 v3, v154, v160
	v_dot4c_i32_i8_e32 v3, v155, v164
	;; [unrolled: 1-line block ×9, first 2 shown]
	v_cvt_f32_i32_e32 v136, v168
	v_cvt_f32_i32_e32 v0, v169
	;; [unrolled: 1-line block ×4, first 2 shown]
	v_pk_fma_f32 v[136:137], v[136:137], v[134:135], v[98:99] neg_lo:[0,0,1] neg_hi:[0,0,1]
	v_pk_fma_f32 v[140:141], v[140:141], v[134:135], v[98:99] neg_lo:[0,0,1] neg_hi:[0,0,1]
	;; [unrolled: 1-line block ×3, first 2 shown]
	v_pk_fma_f32 v[14:15], v[90:91], v[140:141], v[14:15] op_sel_hi:[0,1,1]
	v_pk_fma_f32 v[10:11], v[94:95], v[136:137], v[10:11] op_sel_hi:[0,1,1]
	;; [unrolled: 1-line block ×3, first 2 shown]
	s_cbranch_scc1 .LBB137_10
; %bb.11:                               ;   in Loop: Header=BB137_6 Depth=1
	s_barrier
	s_branch .LBB137_5
.LBB137_12:
	v_mov_b32_e32 v1, v41
.LBB137_13:
	v_cmp_gt_u32_e32 vcc, s8, v43
	s_and_saveexec_b64 s[0:1], vcc
	s_cbranch_execz .LBB137_64
; %bb.14:
	v_add_u32_e32 v0, s14, v37
	v_mul_lo_u32 v5, v43, s10
	v_cmp_gt_u32_e32 vcc, s10, v0
	s_and_saveexec_b64 s[0:1], vcc
	s_cbranch_execz .LBB137_16
; %bb.15:
	v_cvt_f16_f32_e32 v4, v54
	v_add_u32_e32 v2, v0, v5
	v_mov_b32_e32 v3, 0
	s_waitcnt lgkmcnt(0)
	v_lshl_add_u64 v[2:3], v[2:3], 1, s[12:13]
	global_store_short v[2:3], v4, off
.LBB137_16:
	s_or_b64 exec, exec, s[0:1]
	v_add_u32_e32 v2, 32, v0
	v_cmp_gt_u32_e64 s[0:1], s10, v2
	s_and_saveexec_b64 s[2:3], s[0:1]
	s_cbranch_execz .LBB137_18
; %bb.17:
	v_cvt_f16_f32_e32 v3, v44
	v_add_u32_e32 v6, v2, v5
	v_mov_b32_e32 v7, 0
	s_waitcnt lgkmcnt(0)
	v_lshl_add_u64 v[6:7], v[6:7], 1, s[12:13]
	global_store_short v[6:7], v3, off
.LBB137_18:
	s_or_b64 exec, exec, s[2:3]
	v_add_u32_e32 v3, 64, v0
	v_cmp_gt_u32_e64 s[2:3], s10, v3
	s_and_saveexec_b64 s[4:5], s[2:3]
	;; [unrolled: 13-line block ×3, first 2 shown]
	s_cbranch_execz .LBB137_22
; %bb.21:
	v_cvt_f16_f32_e32 v32, v32
	v_add_u32_e32 v6, v4, v5
	v_mov_b32_e32 v7, 0
	s_waitcnt lgkmcnt(0)
	v_lshl_add_u64 v[6:7], v[6:7], 1, s[12:13]
	global_store_short v[6:7], v32, off
.LBB137_22:
	s_or_b64 exec, exec, s[6:7]
	v_add3_u32 v5, v1, s11, 8
	v_cmp_gt_u32_e64 s[6:7], s8, v5
	s_and_b64 exec, exec, s[6:7]
	s_cbranch_execz .LBB137_64
; %bb.23:
	v_mul_lo_u32 v5, v5, s10
	s_and_saveexec_b64 s[6:7], vcc
	s_cbranch_execnz .LBB137_65
; %bb.24:
	s_or_b64 exec, exec, s[6:7]
	s_and_saveexec_b64 s[6:7], s[0:1]
	s_cbranch_execnz .LBB137_66
.LBB137_25:
	s_or_b64 exec, exec, s[6:7]
	s_and_saveexec_b64 s[6:7], s[2:3]
	s_cbranch_execnz .LBB137_67
.LBB137_26:
	s_or_b64 exec, exec, s[6:7]
	s_and_saveexec_b64 s[6:7], s[4:5]
	s_cbranch_execz .LBB137_28
.LBB137_27:
	v_cvt_f16_f32_e32 v32, v33
	v_add_u32_e32 v6, v5, v4
	v_mov_b32_e32 v7, 0
	s_waitcnt lgkmcnt(0)
	v_lshl_add_u64 v[6:7], v[6:7], 1, s[12:13]
	global_store_short v[6:7], v32, off
.LBB137_28:
	s_or_b64 exec, exec, s[6:7]
	v_add3_u32 v5, v1, s11, 16
	v_cmp_gt_u32_e64 s[6:7], s8, v5
	s_and_b64 exec, exec, s[6:7]
	s_cbranch_execz .LBB137_64
; %bb.29:
	v_mul_lo_u32 v5, v5, s10
	s_and_saveexec_b64 s[6:7], vcc
	s_cbranch_execnz .LBB137_68
; %bb.30:
	s_or_b64 exec, exec, s[6:7]
	s_and_saveexec_b64 s[6:7], s[0:1]
	s_cbranch_execnz .LBB137_69
.LBB137_31:
	s_or_b64 exec, exec, s[6:7]
	s_and_saveexec_b64 s[6:7], s[2:3]
	s_cbranch_execnz .LBB137_70
.LBB137_32:
	s_or_b64 exec, exec, s[6:7]
	s_and_saveexec_b64 s[6:7], s[4:5]
	s_cbranch_execz .LBB137_34
.LBB137_33:
	v_cvt_f16_f32_e32 v24, v24
	v_add_u32_e32 v6, v5, v4
	v_mov_b32_e32 v7, 0
	s_waitcnt lgkmcnt(0)
	v_lshl_add_u64 v[6:7], v[6:7], 1, s[12:13]
	global_store_short v[6:7], v24, off
.LBB137_34:
	s_or_b64 exec, exec, s[6:7]
	v_add3_u32 v5, v1, s11, 24
	v_cmp_gt_u32_e64 s[6:7], s8, v5
	s_and_b64 exec, exec, s[6:7]
	s_cbranch_execz .LBB137_64
; %bb.35:
	v_mul_lo_u32 v5, v5, s10
	s_and_saveexec_b64 s[6:7], vcc
	s_cbranch_execnz .LBB137_71
; %bb.36:
	s_or_b64 exec, exec, s[6:7]
	s_and_saveexec_b64 s[6:7], s[0:1]
	s_cbranch_execnz .LBB137_72
.LBB137_37:
	s_or_b64 exec, exec, s[6:7]
	s_and_saveexec_b64 s[6:7], s[2:3]
	s_cbranch_execnz .LBB137_73
.LBB137_38:
	s_or_b64 exec, exec, s[6:7]
	s_and_saveexec_b64 s[6:7], s[4:5]
	s_cbranch_execz .LBB137_40
.LBB137_39:
	v_cvt_f16_f32_e32 v24, v25
	v_add_u32_e32 v6, v5, v4
	v_mov_b32_e32 v7, 0
	s_waitcnt lgkmcnt(0)
	v_lshl_add_u64 v[6:7], v[6:7], 1, s[12:13]
	global_store_short v[6:7], v24, off
.LBB137_40:
	s_or_b64 exec, exec, s[6:7]
	v_add3_u32 v5, v1, s11, 32
	v_cmp_gt_u32_e64 s[6:7], s8, v5
	s_and_b64 exec, exec, s[6:7]
	s_cbranch_execz .LBB137_64
; %bb.41:
	v_mul_lo_u32 v5, v5, s10
	s_and_saveexec_b64 s[6:7], vcc
	s_cbranch_execnz .LBB137_74
; %bb.42:
	s_or_b64 exec, exec, s[6:7]
	s_and_saveexec_b64 s[6:7], s[0:1]
	s_cbranch_execnz .LBB137_75
.LBB137_43:
	s_or_b64 exec, exec, s[6:7]
	s_and_saveexec_b64 s[6:7], s[2:3]
	s_cbranch_execnz .LBB137_76
.LBB137_44:
	s_or_b64 exec, exec, s[6:7]
	s_and_saveexec_b64 s[6:7], s[4:5]
	s_cbranch_execz .LBB137_46
.LBB137_45:
	v_cvt_f16_f32_e32 v16, v16
	v_add_u32_e32 v6, v5, v4
	v_mov_b32_e32 v7, 0
	s_waitcnt lgkmcnt(0)
	v_lshl_add_u64 v[6:7], v[6:7], 1, s[12:13]
	global_store_short v[6:7], v16, off
.LBB137_46:
	s_or_b64 exec, exec, s[6:7]
	v_add3_u32 v5, v1, s11, 40
	v_cmp_gt_u32_e64 s[6:7], s8, v5
	s_and_b64 exec, exec, s[6:7]
	s_cbranch_execz .LBB137_64
; %bb.47:
	v_mul_lo_u32 v5, v5, s10
	s_and_saveexec_b64 s[6:7], vcc
	s_cbranch_execnz .LBB137_77
; %bb.48:
	s_or_b64 exec, exec, s[6:7]
	s_and_saveexec_b64 s[6:7], s[0:1]
	s_cbranch_execnz .LBB137_78
.LBB137_49:
	s_or_b64 exec, exec, s[6:7]
	s_and_saveexec_b64 s[6:7], s[2:3]
	s_cbranch_execnz .LBB137_79
.LBB137_50:
	s_or_b64 exec, exec, s[6:7]
	s_and_saveexec_b64 s[6:7], s[4:5]
	s_cbranch_execz .LBB137_52
.LBB137_51:
	v_cvt_f16_f32_e32 v16, v17
	v_add_u32_e32 v6, v5, v4
	v_mov_b32_e32 v7, 0
	s_waitcnt lgkmcnt(0)
	v_lshl_add_u64 v[6:7], v[6:7], 1, s[12:13]
	global_store_short v[6:7], v16, off
.LBB137_52:
	s_or_b64 exec, exec, s[6:7]
	v_add3_u32 v5, v1, s11, 48
	v_cmp_gt_u32_e64 s[6:7], s8, v5
	s_and_b64 exec, exec, s[6:7]
	s_cbranch_execz .LBB137_64
; %bb.53:
	v_mul_lo_u32 v5, v5, s10
	s_and_saveexec_b64 s[6:7], vcc
	s_cbranch_execnz .LBB137_80
; %bb.54:
	s_or_b64 exec, exec, s[6:7]
	s_and_saveexec_b64 s[6:7], s[0:1]
	s_cbranch_execnz .LBB137_81
.LBB137_55:
	s_or_b64 exec, exec, s[6:7]
	s_and_saveexec_b64 s[6:7], s[2:3]
	s_cbranch_execnz .LBB137_82
.LBB137_56:
	s_or_b64 exec, exec, s[6:7]
	s_and_saveexec_b64 s[6:7], s[4:5]
	s_cbranch_execz .LBB137_58
.LBB137_57:
	v_cvt_f16_f32_e32 v8, v8
	v_add_u32_e32 v6, v5, v4
	v_mov_b32_e32 v7, 0
	s_waitcnt lgkmcnt(0)
	v_lshl_add_u64 v[6:7], v[6:7], 1, s[12:13]
	global_store_short v[6:7], v8, off
.LBB137_58:
	s_or_b64 exec, exec, s[6:7]
	v_add3_u32 v1, v1, s11, 56
	v_cmp_gt_u32_e64 s[6:7], s8, v1
	s_and_b64 exec, exec, s[6:7]
	s_cbranch_execz .LBB137_64
; %bb.59:
	v_mul_lo_u32 v1, v1, s10
	s_and_saveexec_b64 s[6:7], vcc
	s_cbranch_execnz .LBB137_83
; %bb.60:
	s_or_b64 exec, exec, s[6:7]
	s_and_saveexec_b64 s[6:7], s[0:1]
	s_cbranch_execnz .LBB137_84
.LBB137_61:
	s_or_b64 exec, exec, s[6:7]
	s_and_saveexec_b64 s[0:1], s[2:3]
	s_cbranch_execnz .LBB137_85
.LBB137_62:
	s_or_b64 exec, exec, s[0:1]
	s_and_b64 exec, exec, s[4:5]
	s_cbranch_execz .LBB137_64
.LBB137_63:
	v_cvt_f16_f32_e32 v2, v9
	v_add_u32_e32 v0, v1, v4
	v_mov_b32_e32 v1, 0
	s_waitcnt lgkmcnt(0)
	v_lshl_add_u64 v[0:1], v[0:1], 1, s[12:13]
	global_store_short v[0:1], v2, off
.LBB137_64:
	s_endpgm
.LBB137_65:
	v_cvt_f16_f32_e32 v32, v55
	v_add_u32_e32 v6, v5, v0
	v_mov_b32_e32 v7, 0
	s_waitcnt lgkmcnt(0)
	v_lshl_add_u64 v[6:7], v[6:7], 1, s[12:13]
	global_store_short v[6:7], v32, off
	s_or_b64 exec, exec, s[6:7]
	s_and_saveexec_b64 s[6:7], s[0:1]
	s_cbranch_execz .LBB137_25
.LBB137_66:
	v_cvt_f16_f32_e32 v32, v45
	v_add_u32_e32 v6, v5, v2
	v_mov_b32_e32 v7, 0
	s_waitcnt lgkmcnt(0)
	v_lshl_add_u64 v[6:7], v[6:7], 1, s[12:13]
	global_store_short v[6:7], v32, off
	s_or_b64 exec, exec, s[6:7]
	s_and_saveexec_b64 s[6:7], s[2:3]
	s_cbranch_execz .LBB137_26
.LBB137_67:
	v_cvt_f16_f32_e32 v32, v35
	v_add_u32_e32 v6, v5, v3
	v_mov_b32_e32 v7, 0
	s_waitcnt lgkmcnt(0)
	v_lshl_add_u64 v[6:7], v[6:7], 1, s[12:13]
	global_store_short v[6:7], v32, off
	s_or_b64 exec, exec, s[6:7]
	s_and_saveexec_b64 s[6:7], s[4:5]
	s_cbranch_execnz .LBB137_27
	s_branch .LBB137_28
.LBB137_68:
	v_cvt_f16_f32_e32 v30, v30
	v_add_u32_e32 v6, v5, v0
	v_mov_b32_e32 v7, 0
	s_waitcnt lgkmcnt(0)
	v_lshl_add_u64 v[6:7], v[6:7], 1, s[12:13]
	global_store_short v[6:7], v30, off
	s_or_b64 exec, exec, s[6:7]
	s_and_saveexec_b64 s[6:7], s[0:1]
	s_cbranch_execz .LBB137_31
.LBB137_69:
	v_cvt_f16_f32_e32 v28, v28
	v_add_u32_e32 v6, v5, v2
	v_mov_b32_e32 v7, 0
	s_waitcnt lgkmcnt(0)
	v_lshl_add_u64 v[6:7], v[6:7], 1, s[12:13]
	global_store_short v[6:7], v28, off
	s_or_b64 exec, exec, s[6:7]
	s_and_saveexec_b64 s[6:7], s[2:3]
	s_cbranch_execz .LBB137_32
.LBB137_70:
	v_cvt_f16_f32_e32 v26, v26
	v_add_u32_e32 v6, v5, v3
	v_mov_b32_e32 v7, 0
	s_waitcnt lgkmcnt(0)
	v_lshl_add_u64 v[6:7], v[6:7], 1, s[12:13]
	global_store_short v[6:7], v26, off
	s_or_b64 exec, exec, s[6:7]
	s_and_saveexec_b64 s[6:7], s[4:5]
	s_cbranch_execnz .LBB137_33
	s_branch .LBB137_34
.LBB137_71:
	v_cvt_f16_f32_e32 v24, v31
	v_add_u32_e32 v6, v5, v0
	v_mov_b32_e32 v7, 0
	s_waitcnt lgkmcnt(0)
	v_lshl_add_u64 v[6:7], v[6:7], 1, s[12:13]
	global_store_short v[6:7], v24, off
	s_or_b64 exec, exec, s[6:7]
	s_and_saveexec_b64 s[6:7], s[0:1]
	s_cbranch_execz .LBB137_37
.LBB137_72:
	v_cvt_f16_f32_e32 v24, v29
	v_add_u32_e32 v6, v5, v2
	v_mov_b32_e32 v7, 0
	s_waitcnt lgkmcnt(0)
	v_lshl_add_u64 v[6:7], v[6:7], 1, s[12:13]
	global_store_short v[6:7], v24, off
	s_or_b64 exec, exec, s[6:7]
	s_and_saveexec_b64 s[6:7], s[2:3]
	s_cbranch_execz .LBB137_38
.LBB137_73:
	v_cvt_f16_f32_e32 v24, v27
	v_add_u32_e32 v6, v5, v3
	v_mov_b32_e32 v7, 0
	s_waitcnt lgkmcnt(0)
	v_lshl_add_u64 v[6:7], v[6:7], 1, s[12:13]
	global_store_short v[6:7], v24, off
	s_or_b64 exec, exec, s[6:7]
	s_and_saveexec_b64 s[6:7], s[4:5]
	s_cbranch_execnz .LBB137_39
	s_branch .LBB137_40
.LBB137_74:
	v_cvt_f16_f32_e32 v22, v22
	v_add_u32_e32 v6, v5, v0
	v_mov_b32_e32 v7, 0
	s_waitcnt lgkmcnt(0)
	v_lshl_add_u64 v[6:7], v[6:7], 1, s[12:13]
	global_store_short v[6:7], v22, off
	s_or_b64 exec, exec, s[6:7]
	s_and_saveexec_b64 s[6:7], s[0:1]
	s_cbranch_execz .LBB137_43
.LBB137_75:
	v_cvt_f16_f32_e32 v20, v20
	v_add_u32_e32 v6, v5, v2
	v_mov_b32_e32 v7, 0
	s_waitcnt lgkmcnt(0)
	v_lshl_add_u64 v[6:7], v[6:7], 1, s[12:13]
	global_store_short v[6:7], v20, off
	s_or_b64 exec, exec, s[6:7]
	s_and_saveexec_b64 s[6:7], s[2:3]
	s_cbranch_execz .LBB137_44
.LBB137_76:
	v_cvt_f16_f32_e32 v18, v18
	v_add_u32_e32 v6, v5, v3
	v_mov_b32_e32 v7, 0
	s_waitcnt lgkmcnt(0)
	v_lshl_add_u64 v[6:7], v[6:7], 1, s[12:13]
	global_store_short v[6:7], v18, off
	s_or_b64 exec, exec, s[6:7]
	s_and_saveexec_b64 s[6:7], s[4:5]
	s_cbranch_execnz .LBB137_45
	s_branch .LBB137_46
.LBB137_77:
	v_cvt_f16_f32_e32 v16, v23
	v_add_u32_e32 v6, v5, v0
	v_mov_b32_e32 v7, 0
	s_waitcnt lgkmcnt(0)
	v_lshl_add_u64 v[6:7], v[6:7], 1, s[12:13]
	global_store_short v[6:7], v16, off
	s_or_b64 exec, exec, s[6:7]
	s_and_saveexec_b64 s[6:7], s[0:1]
	s_cbranch_execz .LBB137_49
.LBB137_78:
	v_cvt_f16_f32_e32 v16, v21
	v_add_u32_e32 v6, v5, v2
	v_mov_b32_e32 v7, 0
	s_waitcnt lgkmcnt(0)
	v_lshl_add_u64 v[6:7], v[6:7], 1, s[12:13]
	global_store_short v[6:7], v16, off
	s_or_b64 exec, exec, s[6:7]
	s_and_saveexec_b64 s[6:7], s[2:3]
	s_cbranch_execz .LBB137_50
.LBB137_79:
	v_cvt_f16_f32_e32 v16, v19
	v_add_u32_e32 v6, v5, v3
	v_mov_b32_e32 v7, 0
	s_waitcnt lgkmcnt(0)
	v_lshl_add_u64 v[6:7], v[6:7], 1, s[12:13]
	global_store_short v[6:7], v16, off
	s_or_b64 exec, exec, s[6:7]
	s_and_saveexec_b64 s[6:7], s[4:5]
	s_cbranch_execnz .LBB137_51
	s_branch .LBB137_52
.LBB137_80:
	v_cvt_f16_f32_e32 v14, v14
	v_add_u32_e32 v6, v5, v0
	v_mov_b32_e32 v7, 0
	s_waitcnt lgkmcnt(0)
	v_lshl_add_u64 v[6:7], v[6:7], 1, s[12:13]
	global_store_short v[6:7], v14, off
	s_or_b64 exec, exec, s[6:7]
	s_and_saveexec_b64 s[6:7], s[0:1]
	s_cbranch_execz .LBB137_55
.LBB137_81:
	v_cvt_f16_f32_e32 v12, v12
	v_add_u32_e32 v6, v5, v2
	v_mov_b32_e32 v7, 0
	s_waitcnt lgkmcnt(0)
	v_lshl_add_u64 v[6:7], v[6:7], 1, s[12:13]
	global_store_short v[6:7], v12, off
	s_or_b64 exec, exec, s[6:7]
	s_and_saveexec_b64 s[6:7], s[2:3]
	s_cbranch_execz .LBB137_56
.LBB137_82:
	v_cvt_f16_f32_e32 v10, v10
	v_add_u32_e32 v6, v5, v3
	v_mov_b32_e32 v7, 0
	s_waitcnt lgkmcnt(0)
	v_lshl_add_u64 v[6:7], v[6:7], 1, s[12:13]
	global_store_short v[6:7], v10, off
	s_or_b64 exec, exec, s[6:7]
	s_and_saveexec_b64 s[6:7], s[4:5]
	s_cbranch_execnz .LBB137_57
	s_branch .LBB137_58
.LBB137_83:
	v_cvt_f16_f32_e32 v5, v15
	v_add_u32_e32 v6, v1, v0
	v_mov_b32_e32 v7, 0
	s_waitcnt lgkmcnt(0)
	v_lshl_add_u64 v[6:7], v[6:7], 1, s[12:13]
	global_store_short v[6:7], v5, off
	s_or_b64 exec, exec, s[6:7]
	s_and_saveexec_b64 s[6:7], s[0:1]
	s_cbranch_execz .LBB137_61
.LBB137_84:
	v_cvt_f16_f32_e32 v0, v13
	v_add_u32_e32 v6, v1, v2
	v_mov_b32_e32 v7, 0
	s_waitcnt lgkmcnt(0)
	v_lshl_add_u64 v[6:7], v[6:7], 1, s[12:13]
	global_store_short v[6:7], v0, off
	s_or_b64 exec, exec, s[6:7]
	s_and_saveexec_b64 s[0:1], s[2:3]
	s_cbranch_execz .LBB137_62
.LBB137_85:
	v_cvt_f16_f32_e32 v0, v11
	v_add_u32_e32 v2, v1, v3
	v_mov_b32_e32 v3, 0
	s_waitcnt lgkmcnt(0)
	v_lshl_add_u64 v[2:3], v[2:3], 1, s[12:13]
	global_store_short v[2:3], v0, off
	s_or_b64 exec, exec, s[0:1]
	s_and_b64 exec, exec, s[4:5]
	s_cbranch_execnz .LBB137_63
	s_branch .LBB137_64
	.section	.rodata,"a",@progbits
	.p2align	6, 0x0
	.amdhsa_kernel _ZL12mul_mat_q4_0IN3c104HalfELb0EEvPKvS3_PT_iiiii
		.amdhsa_group_segment_fixed_size 30336
		.amdhsa_private_segment_fixed_size 0
		.amdhsa_kernarg_size 44
		.amdhsa_user_sgpr_count 2
		.amdhsa_user_sgpr_dispatch_ptr 0
		.amdhsa_user_sgpr_queue_ptr 0
		.amdhsa_user_sgpr_kernarg_segment_ptr 1
		.amdhsa_user_sgpr_dispatch_id 0
		.amdhsa_user_sgpr_kernarg_preload_length 0
		.amdhsa_user_sgpr_kernarg_preload_offset 0
		.amdhsa_user_sgpr_private_segment_size 0
		.amdhsa_uses_dynamic_stack 0
		.amdhsa_enable_private_segment 0
		.amdhsa_system_sgpr_workgroup_id_x 1
		.amdhsa_system_sgpr_workgroup_id_y 1
		.amdhsa_system_sgpr_workgroup_id_z 0
		.amdhsa_system_sgpr_workgroup_info 0
		.amdhsa_system_vgpr_workitem_id 1
		.amdhsa_next_free_vgpr 176
		.amdhsa_next_free_sgpr 20
		.amdhsa_accum_offset 176
		.amdhsa_reserve_vcc 1
		.amdhsa_float_round_mode_32 0
		.amdhsa_float_round_mode_16_64 0
		.amdhsa_float_denorm_mode_32 3
		.amdhsa_float_denorm_mode_16_64 3
		.amdhsa_dx10_clamp 1
		.amdhsa_ieee_mode 1
		.amdhsa_fp16_overflow 0
		.amdhsa_tg_split 0
		.amdhsa_exception_fp_ieee_invalid_op 0
		.amdhsa_exception_fp_denorm_src 0
		.amdhsa_exception_fp_ieee_div_zero 0
		.amdhsa_exception_fp_ieee_overflow 0
		.amdhsa_exception_fp_ieee_underflow 0
		.amdhsa_exception_fp_ieee_inexact 0
		.amdhsa_exception_int_div_zero 0
	.end_amdhsa_kernel
	.section	.text._ZL12mul_mat_q4_0IN3c104HalfELb0EEvPKvS3_PT_iiiii,"axG",@progbits,_ZL12mul_mat_q4_0IN3c104HalfELb0EEvPKvS3_PT_iiiii,comdat
.Lfunc_end137:
	.size	_ZL12mul_mat_q4_0IN3c104HalfELb0EEvPKvS3_PT_iiiii, .Lfunc_end137-_ZL12mul_mat_q4_0IN3c104HalfELb0EEvPKvS3_PT_iiiii
                                        ; -- End function
	.section	.AMDGPU.csdata,"",@progbits
; Kernel info:
; codeLenInByte = 9464
; NumSgprs: 26
; NumVgprs: 176
; NumAgprs: 0
; TotalNumVgprs: 176
; ScratchSize: 0
; MemoryBound: 0
; FloatMode: 240
; IeeeMode: 1
; LDSByteSize: 30336 bytes/workgroup (compile time only)
; SGPRBlocks: 3
; VGPRBlocks: 21
; NumSGPRsForWavesPerEU: 26
; NumVGPRsForWavesPerEU: 176
; AccumOffset: 176
; Occupancy: 2
; WaveLimiterHint : 0
; COMPUTE_PGM_RSRC2:SCRATCH_EN: 0
; COMPUTE_PGM_RSRC2:USER_SGPR: 2
; COMPUTE_PGM_RSRC2:TRAP_HANDLER: 0
; COMPUTE_PGM_RSRC2:TGID_X_EN: 1
; COMPUTE_PGM_RSRC2:TGID_Y_EN: 1
; COMPUTE_PGM_RSRC2:TGID_Z_EN: 0
; COMPUTE_PGM_RSRC2:TIDIG_COMP_CNT: 1
; COMPUTE_PGM_RSRC3_GFX90A:ACCUM_OFFSET: 43
; COMPUTE_PGM_RSRC3_GFX90A:TG_SPLIT: 0
	.section	.text._ZL12mul_mat_q4_0IN3c104HalfELb1EEvPKvS3_PT_iiiii,"axG",@progbits,_ZL12mul_mat_q4_0IN3c104HalfELb1EEvPKvS3_PT_iiiii,comdat
	.globl	_ZL12mul_mat_q4_0IN3c104HalfELb1EEvPKvS3_PT_iiiii ; -- Begin function _ZL12mul_mat_q4_0IN3c104HalfELb1EEvPKvS3_PT_iiiii
	.p2align	8
	.type	_ZL12mul_mat_q4_0IN3c104HalfELb1EEvPKvS3_PT_iiiii,@function
_ZL12mul_mat_q4_0IN3c104HalfELb1EEvPKvS3_PT_iiiii: ; @_ZL12mul_mat_q4_0IN3c104HalfELb1EEvPKvS3_PT_iiiii
; %bb.0:
	s_load_dwordx4 s[8:11], s[0:1], 0x18
	s_load_dword s14, s[0:1], 0x28
	s_lshl_b32 s15, s3, 6
	v_bfe_u32 v37, v0, 10, 10
	s_waitcnt lgkmcnt(0)
	s_cmp_gt_i32 s8, 31
	s_cbranch_scc1 .LBB138_2
; %bb.1:
	v_bfe_u32 v1, v0, 10, 10
	s_mov_b32 s4, 0
	v_and_b32_e32 v33, 0x3ff, v0
	v_add_u32_e32 v39, s15, v1
	s_mov_b32 s5, s4
	s_mov_b64 s[6:7], 0
	s_branch .LBB138_3
.LBB138_2:
	s_mov_b64 s[6:7], -1
                                        ; implicit-def: $sgpr4_sgpr5
                                        ; implicit-def: $vgpr1
                                        ; implicit-def: $vgpr33
                                        ; implicit-def: $vgpr39
.LBB138_3:
	s_load_dwordx2 s[12:13], s[0:1], 0x10
	s_lshl_b32 s16, s2, 7
	s_andn2_b64 vcc, exec, s[6:7]
	v_mov_b64_e32 v[8:9], s[4:5]
	v_mov_b64_e32 v[16:17], s[4:5]
	;; [unrolled: 1-line block ×16, first 2 shown]
	s_cbranch_vccnz .LBB138_13
; %bb.4:
	s_ashr_i32 s4, s8, 31
	s_lshr_b32 s4, s4, 27
	s_load_dwordx4 s[0:3], s[0:1], 0x0
	s_add_i32 s4, s8, s4
	s_ashr_i32 s5, s4, 5
	s_ashr_i32 s4, s11, 31
	s_lshr_b32 s4, s4, 27
	s_add_i32 s4, s11, s4
	s_mul_i32 s6, s5, s16
	s_ashr_i32 s4, s4, 5
	s_mul_hi_i32 s7, s6, 18
	s_mul_i32 s6, s6, 18
	s_waitcnt lgkmcnt(0)
	s_add_u32 s6, s0, s6
	s_addc_u32 s7, s1, s7
	s_not_b32 s0, s16
	s_add_i32 s11, s0, s9
	v_and_b32_e32 v33, 0x3ff, v0
	v_lshlrev_b32_e32 v0, 2, v33
	v_min_i32_e32 v1, s11, v37
	s_movk_i32 s1, 0x84
	v_add_u32_e32 v4, 8, v37
	v_mul_lo_u32 v36, v1, s5
	v_mad_u64_u32 v[38:39], s[8:9], v1, s1, v[0:1]
	v_min_i32_e32 v1, s11, v4
	v_add_u32_e32 v5, 16, v37
	v_mul_lo_u32 v40, v1, s5
	v_mad_u64_u32 v[42:43], s[8:9], v1, s1, v[0:1]
	v_min_i32_e32 v1, s11, v5
	;; [unrolled: 4-line block ×7, first 2 shown]
	v_mul_lo_u32 v66, v1, s5
	v_mad_u64_u32 v[68:69], s[8:9], v1, s1, v[0:1]
	v_add_u32_e32 v1, 64, v37
	v_min_i32_e32 v1, s11, v1
	v_mul_lo_u32 v70, v1, s5
	v_mad_u64_u32 v[74:75], s[8:9], v1, s1, v[0:1]
	v_add_u32_e32 v1, 0x48, v37
	v_min_i32_e32 v1, s11, v1
	;; [unrolled: 4-line block ×8, first 2 shown]
	v_lshrrev_b32_e32 v41, 3, v33
	v_mul_lo_u32 v104, v1, s5
	v_mad_u64_u32 v[106:107], s[8:9], v1, s1, v[0:1]
	v_lshl_add_u32 v1, v37, 2, v41
	v_min_i32_e32 v2, s11, v1
	v_ashrrev_i32_e32 v3, 31, v2
	v_lshrrev_b32_e32 v3, 30, v3
	v_and_b32_e32 v108, 7, v33
	v_mul_lo_u32 v110, v2, s5
	v_add_u32_e32 v3, v2, v3
	v_lshlrev_b32_e32 v13, 5, v2
	v_add_u32_e32 v2, 32, v1
	v_and_b32_e32 v3, -4, v3
	v_lshlrev_b32_e32 v11, 2, v108
	s_movk_i32 s8, 0x6200
	v_min_i32_e32 v2, s11, v2
	v_add3_u32 v12, v3, v11, s8
	v_ashrrev_i32_e32 v3, 31, v2
	v_lshrrev_b32_e32 v3, 30, v3
	v_mul_lo_u32 v112, v2, s5
	v_add_u32_e32 v3, v2, v3
	v_lshlrev_b32_e32 v15, 5, v2
	v_add_u32_e32 v2, 64, v1
	v_and_b32_e32 v3, -4, v3
	v_min_i32_e32 v2, s11, v2
	v_add3_u32 v14, v3, v11, s8
	v_ashrrev_i32_e32 v3, 31, v2
	v_add_u32_e32 v1, 0x60, v1
	v_lshrrev_b32_e32 v3, 30, v3
	v_min_i32_e32 v1, s11, v1
	v_mul_lo_u32 v114, v2, s5
	v_add_u32_e32 v3, v2, v3
	v_lshlrev_b32_e32 v17, 5, v2
	v_ashrrev_i32_e32 v2, 31, v1
	v_mov_b32_e32 v35, 0
	v_lshrrev_b32_e32 v2, 30, v2
	v_lshrrev_b32_e32 v32, 2, v33
	v_and_b32_e32 v34, 12, v0
	v_mul_lo_u32 v116, v1, s5
	v_add_u32_e32 v2, v1, v2
	v_lshlrev_b32_e32 v18, 5, v1
	v_and_b32_e32 v0, 28, v0
	v_mov_b32_e32 v1, v35
	v_lshl_add_u64 v[118:119], s[2:3], 0, v[0:1]
	v_lshl_add_u32 v0, v37, 3, v32
	v_and_b32_e32 v3, -4, v3
	v_and_b32_e32 v2, -4, v2
	v_and_b32_e32 v1, 63, v0
	v_add3_u32 v16, v3, v11, s8
	v_add3_u32 v11, v2, v11, s8
	s_add_i32 s8, s10, -1
	v_or_b32_e32 v20, s15, v1
	v_and_b32_e32 v0, 3, v33
	v_min_i32_e32 v20, s8, v20
	v_cvt_f64_i32_e32 v[2:3], s8
	v_mad_u64_u32 v[120:121], s[8:9], v20, s4, v[0:1]
	v_lshlrev_b32_e32 v0, 2, v0
	v_add_u32_e32 v39, s15, v37
	v_lshl_or_b32 v0, v1, 4, v0
	v_add_u32_e32 v43, 0x7280, v0
	v_cvt_f64_u32_e32 v[0:1], v39
	v_and_b32_e32 v19, 31, v33
	v_min_f64 v[0:1], v[0:1], v[2:3]
	v_cvt_i32_f64_e32 v0, v[0:1]
	v_lshlrev_b32_e32 v19, 2, v19
	v_lshlrev_b32_e32 v20, 7, v37
	v_mul_lo_u32 v45, s4, v0
	v_or_b32_e32 v0, v20, v19
	v_add_u32_e32 v47, 0x4200, v0
	v_add_u32_e32 v0, 8, v39
	v_cvt_f64_u32_e32 v[0:1], v0
	v_min_f64 v[0:1], v[0:1], v[2:3]
	v_cvt_i32_f64_e32 v0, v[0:1]
	v_mul_lo_u32 v49, s4, v0
	v_lshl_or_b32 v0, v4, 7, v19
	v_add_u32_e32 v51, 0x4200, v0
	v_add_u32_e32 v0, 16, v39
	v_cvt_f64_u32_e32 v[0:1], v0
	v_min_f64 v[0:1], v[0:1], v[2:3]
	v_cvt_i32_f64_e32 v0, v[0:1]
	v_mul_lo_u32 v53, s4, v0
	v_lshl_or_b32 v0, v5, 7, v19
	;; [unrolled: 7-line block ×7, first 2 shown]
	v_add_u32_e32 v79, 0x4200, v0
	v_add_u32_e32 v0, 32, v33
	;; [unrolled: 1-line block ×4, first 2 shown]
	s_mov_b32 s0, 0
	v_lshlrev_b32_e32 v3, 5, v33
	v_lshrrev_b32_e32 v83, 3, v0
	v_and_b32_e32 v2, 0x1fc, v2
	v_and_b32_e32 v1, 0x1fc, v1
	;; [unrolled: 1-line block ×4, first 2 shown]
	v_add_u32_e32 v2, v3, v2
	v_add_u32_e32 v1, v3, v1
	;; [unrolled: 1-line block ×4, first 2 shown]
	v_mov_b32_e32 v4, 0x7280
	v_mad_u32_u24 v109, v33, s1, 64
	s_mov_b32 s1, s0
	v_mul_u32_u24_e32 v81, 0x84, v33
	v_add_u32_e32 v85, 0x6e00, v2
	v_add_u32_e32 v87, 0x6a00, v1
	;; [unrolled: 1-line block ×5, first 2 shown]
	v_lshl_add_u32 v97, v37, 4, v4
	v_add_u32_e32 v101, 0x6e10, v2
	v_add_u32_e32 v103, 0x6a10, v1
	v_add_u32_e32 v105, 0x6610, v0
	v_add_u32_e32 v107, 0x6210, v3
	v_mov_b64_e32 v[98:99], s[0:1]
	v_add_u32_e32 v111, v12, v13
	v_add_u32_e32 v113, v14, v15
	;; [unrolled: 1-line block ×4, first 2 shown]
	s_mov_b32 s4, 0x41000000
	v_mov_b64_e32 v[30:31], s[0:1]
	v_mov_b64_e32 v[22:23], s[0:1]
	;; [unrolled: 1-line block ×15, first 2 shown]
	s_branch .LBB138_6
.LBB138_5:                              ;   in Loop: Header=BB138_6 Depth=1
	s_add_i32 s0, s0, 8
	s_cmp_ge_i32 s0, s5
	s_cbranch_scc1 .LBB138_12
.LBB138_6:                              ; =>This Loop Header: Depth=1
                                        ;     Child Loop BB138_7 Depth 2
                                        ;     Child Loop BB138_10 Depth 2
	s_mul_i32 s8, s0, 18
	s_mul_hi_u32 s1, s0, 18
	s_add_u32 s8, s6, s8
	s_addc_u32 s9, s7, s1
	v_mad_u64_u32 v[0:1], s[18:19], v32, 18, s[8:9]
	v_lshl_add_u64 v[0:1], v[0:1], 0, v[34:35]
	v_lshl_add_u64 v[0:1], v[0:1], 0, 2
	v_mad_i64_i32 v[2:3], s[18:19], v36, 18, v[0:1]
	v_mad_i64_i32 v[4:5], s[18:19], v40, 18, v[0:1]
	;; [unrolled: 1-line block ×8, first 2 shown]
	global_load_dword v132, v[2:3], off
	global_load_dword v133, v[4:5], off
	;; [unrolled: 1-line block ×7, first 2 shown]
                                        ; kill: killed $vgpr128_vgpr129
                                        ; kill: killed $vgpr126_vgpr127
	s_nop 0
	global_load_dword v130, v[130:131], off
	v_mad_i64_i32 v[2:3], s[18:19], v70, 18, v[0:1]
	v_mad_i64_i32 v[4:5], s[18:19], v76, 18, v[0:1]
	;; [unrolled: 1-line block ×8, first 2 shown]
	global_load_dword v131, v[2:3], off
	global_load_dword v139, v[4:5], off
	;; [unrolled: 1-line block ×8, first 2 shown]
	v_mad_u64_u32 v[0:1], s[8:9], v108, 18, s[8:9]
	v_mad_i64_i32 v[2:3], s[8:9], v110, 18, v[0:1]
	v_mad_i64_i32 v[4:5], s[8:9], v112, 18, v[0:1]
	;; [unrolled: 1-line block ×4, first 2 shown]
	v_add_u32_e32 v128, s0, v41
	global_load_ushort v146, v[2:3], off
	global_load_ushort v147, v[4:5], off
	;; [unrolled: 1-line block ×4, first 2 shown]
	v_add_u32_e32 v0, v128, v45
	v_add_u32_e32 v2, v128, v49
	;; [unrolled: 1-line block ×5, first 2 shown]
	v_mad_i64_i32 v[0:1], s[8:9], v0, 36, v[118:119]
	v_mad_i64_i32 v[2:3], s[8:9], v2, 36, v[118:119]
	;; [unrolled: 1-line block ×5, first 2 shown]
	v_add_u32_e32 v124, v128, v67
	v_add_u32_e32 v126, v128, v71
	;; [unrolled: 1-line block ×3, first 2 shown]
	v_mad_i64_i32 v[124:125], s[8:9], v124, 36, v[118:119]
	v_mad_i64_i32 v[126:127], s[8:9], v126, 36, v[118:119]
	;; [unrolled: 1-line block ×3, first 2 shown]
	global_load_dword v150, v[0:1], off offset:4
	s_nop 0
	global_load_dword v2, v[2:3], off offset:4
	s_nop 0
	;; [unrolled: 2-line block ×3, first 2 shown]
	global_load_dword v4, v[6:7], off offset:4
	global_load_dword v5, v[122:123], off offset:4
	s_nop 0
	global_load_dword v6, v[124:125], off offset:4
	global_load_dword v7, v[126:127], off offset:4
	;; [unrolled: 1-line block ×3, first 2 shown]
	v_add_u32_e32 v121, s0, v120
	v_mad_u64_u32 v[0:1], s[8:9], v121, 36, s[2:3]
	global_load_dword v0, v[0:1], off
	s_mov_b32 s1, -4
	v_mov_b32_e32 v127, v81
	v_mov_b32_e32 v129, v93
	s_waitcnt vmcnt(28)
	ds_write_b32 v38, v132
	s_waitcnt vmcnt(27)
	ds_write_b32 v42, v133
	;; [unrolled: 2-line block ×16, first 2 shown]
	v_mov_b32_e32 v132, v91
	v_mov_b32_e32 v133, v87
	;; [unrolled: 1-line block ×3, first 2 shown]
	s_waitcnt vmcnt(12)
	v_cvt_f32_f16_e32 v1, v146
	s_waitcnt vmcnt(11)
	v_cvt_f32_f16_e32 v123, v147
	s_waitcnt vmcnt(10)
	v_cvt_f32_f16_e32 v124, v148
	s_waitcnt vmcnt(9)
	v_cvt_f32_f16_e32 v125, v149
	ds_write_b32 v111, v1
	ds_write_b32 v113, v123
	;; [unrolled: 1-line block ×4, first 2 shown]
	s_waitcnt vmcnt(8)
	ds_write_b32 v47, v150
	s_waitcnt vmcnt(7)
	ds_write_b32 v51, v2
	;; [unrolled: 2-line block ×9, first 2 shown]
	v_mov_b32_e32 v123, v97
	v_mov_b32_e32 v125, v95
	s_waitcnt lgkmcnt(0)
	s_barrier
.LBB138_7:                              ;   Parent Loop BB138_6 Depth=1
                                        ; =>  This Inner Loop Header: Depth=2
	ds_read_b128 v[0:3], v125
	ds_read_b128 v[4:7], v125 offset:16
	ds_read2_b32 v[130:131], v123 offset1:32
	ds_read_b32 v122, v129
	ds_read2_b32 v[136:137], v127 offset1:1
	ds_read2_b32 v[144:145], v127 offset0:2 offset1:3
	v_add_u32_e32 v126, 0x1080, v127
	v_add_u32_e32 v128, 0x2100, v127
	v_mov_b32_e32 v172, 0
	s_waitcnt lgkmcnt(1)
	v_lshrrev_b32_e32 v124, 4, v136
	v_and_b32_e32 v135, 0xf0f0f0f, v136
	v_and_b32_e32 v136, 0xf0f0f0f, v124
	v_lshrrev_b32_e32 v124, 4, v137
	v_and_b32_e32 v140, 0xf0f0f0f, v124
	s_waitcnt lgkmcnt(0)
	v_lshrrev_b32_e32 v124, 4, v144
	v_and_b32_e32 v142, 0xf0f0f0f, v124
	v_lshrrev_b32_e32 v124, 4, v145
	v_and_b32_e32 v143, 0xf0f0f0f, v145
	v_and_b32_e32 v145, 0xf0f0f0f, v124
	ds_read_b32 v124, v132
	ds_read2_b32 v[146:147], v126 offset1:1
	v_and_b32_e32 v138, 0xf0f0f0f, v137
	v_and_b32_e32 v141, 0xf0f0f0f, v144
	v_mov_b32_e32 v174, 0
	v_mov_b32_e32 v175, 0
	s_waitcnt lgkmcnt(0)
	v_lshrrev_b32_e32 v126, 4, v146
	v_and_b32_e32 v139, 0xf0f0f0f, v126
	v_lshrrev_b32_e32 v126, 4, v147
	v_and_b32_e32 v137, 0xf0f0f0f, v146
	v_and_b32_e32 v146, 0xf0f0f0f, v126
	v_add_u32_e32 v126, 0x1088, v127
	ds_read2_b32 v[152:153], v126 offset1:1
	v_and_b32_e32 v144, 0xf0f0f0f, v147
	v_dot4c_i32_i8_e32 v172, v135, v0
	v_dot4c_i32_i8_e32 v174, v137, v0
	;; [unrolled: 1-line block ×3, first 2 shown]
	s_waitcnt lgkmcnt(0)
	v_lshrrev_b32_e32 v126, 4, v152
	v_and_b32_e32 v150, 0xf0f0f0f, v126
	v_lshrrev_b32_e32 v126, 4, v153
	v_and_b32_e32 v149, 0xf0f0f0f, v152
	v_and_b32_e32 v152, 0xf0f0f0f, v126
	ds_read_b32 v126, v133
	ds_read2_b32 v[154:155], v128 offset1:1
	v_and_b32_e32 v151, 0xf0f0f0f, v153
	v_dot4c_i32_i8_e32 v174, v139, v4
	v_dot4c_i32_i8_e32 v172, v138, v1
	;; [unrolled: 1-line block ×3, first 2 shown]
	s_waitcnt lgkmcnt(0)
	v_lshrrev_b32_e32 v128, 4, v154
	v_and_b32_e32 v148, 0xf0f0f0f, v128
	v_lshrrev_b32_e32 v128, 4, v155
	v_and_b32_e32 v147, 0xf0f0f0f, v154
	v_and_b32_e32 v154, 0xf0f0f0f, v128
	v_add_u32_e32 v128, 0x2108, v127
	ds_read2_b32 v[160:161], v128 offset1:1
	v_and_b32_e32 v153, 0xf0f0f0f, v155
	v_add_u32_e32 v155, 0x3180, v127
	v_dot4c_i32_i8_e32 v175, v147, v0
	v_dot4c_i32_i8_e32 v175, v148, v4
	s_waitcnt lgkmcnt(0)
	v_lshrrev_b32_e32 v128, 4, v160
	v_and_b32_e32 v158, 0xf0f0f0f, v128
	v_lshrrev_b32_e32 v128, 4, v161
	v_and_b32_e32 v157, 0xf0f0f0f, v160
	v_and_b32_e32 v160, 0xf0f0f0f, v128
	ds_read_b32 v128, v134
	ds_read2_b32 v[162:163], v155 offset1:1
	v_and_b32_e32 v159, 0xf0f0f0f, v161
	v_mov_b32_e32 v161, 0
	v_dot4c_i32_i8_e32 v175, v153, v1
	v_dot4c_i32_i8_e32 v172, v140, v5
	s_waitcnt lgkmcnt(0)
	v_and_b32_e32 v155, 0xf0f0f0f, v162
	v_lshrrev_b32_e32 v156, 4, v162
	v_and_b32_e32 v156, 0xf0f0f0f, v156
	v_dot4c_i32_i8_e32 v161, v155, v0
	v_dot4c_i32_i8_e32 v161, v156, v4
	v_and_b32_e32 v0, 0xf0f0f0f, v163
	v_dot4c_i32_i8_e32 v161, v0, v1
	v_add_u32_e32 v1, 0x3188, v127
	v_lshrrev_b32_e32 v4, 4, v163
	ds_read2_b32 v[162:163], v1 offset1:1
	v_and_b32_e32 v4, 0xf0f0f0f, v4
	v_dot4c_i32_i8_e32 v174, v146, v5
	v_dot4c_i32_i8_e32 v175, v154, v5
	;; [unrolled: 1-line block ×3, first 2 shown]
	s_waitcnt lgkmcnt(0)
	v_and_b32_e32 v1, 0xf0f0f0f, v162
	v_lshrrev_b32_e32 v5, 4, v162
	v_dot4c_i32_i8_e32 v172, v141, v2
	v_dot4c_i32_i8_e32 v174, v149, v2
	;; [unrolled: 1-line block ×3, first 2 shown]
	v_and_b32_e32 v5, 0xf0f0f0f, v5
	v_dot4c_i32_i8_e32 v161, v1, v2
	v_dot4c_i32_i8_e32 v172, v142, v6
	;; [unrolled: 1-line block ×5, first 2 shown]
	v_and_b32_e32 v2, 0xf0f0f0f, v163
	v_lshrrev_b32_e32 v6, 4, v163
	ds_read_b128 v[162:165], v125 offset:1024
	ds_read_b128 v[166:169], v125 offset:1040
	v_dot4c_i32_i8_e32 v172, v143, v3
	v_dot4c_i32_i8_e32 v174, v151, v3
	;; [unrolled: 1-line block ×4, first 2 shown]
	v_mov_b32_e32 v3, 0
	s_waitcnt lgkmcnt(1)
	v_dot4c_i32_i8_e32 v3, v135, v162
	s_waitcnt lgkmcnt(0)
	v_dot4c_i32_i8_e32 v3, v136, v166
	v_dot4c_i32_i8_e32 v3, v138, v163
	;; [unrolled: 1-line block ×8, first 2 shown]
	v_cvt_f32_f16_e32 v171, v131
	v_cvt_f32_f16_e32 v170, v130
	v_cvt_f32_i32_e32 v173, v3
	v_mov_b32_e32 v3, 0
	v_dot4c_i32_i8_e32 v3, v137, v162
	v_dot4c_i32_i8_e32 v3, v139, v166
	v_cvt_f32_f16_sdwa v131, v131 dst_sel:DWORD dst_unused:UNUSED_PAD src0_sel:WORD_1
	v_cvt_f32_f16_sdwa v130, v130 dst_sel:DWORD dst_unused:UNUSED_PAD src0_sel:WORD_1
	v_dot4c_i32_i8_e32 v3, v144, v163
	v_cvt_f32_i32_e32 v172, v172
	v_dot4c_i32_i8_e32 v3, v146, v167
	v_dot4c_i32_i8_e32 v3, v149, v164
	;; [unrolled: 1-line block ×3, first 2 shown]
	v_pk_mul_f32 v[130:131], v[130:131], s[4:5] op_sel_hi:[1,0]
	v_dot4c_i32_i8_e32 v3, v151, v165
	v_pk_fma_f32 v[172:173], v[170:171], v[172:173], v[130:131] neg_lo:[0,0,1] neg_hi:[0,0,1]
	v_dot4c_i32_i8_e32 v3, v152, v169
	v_pk_fma_f32 v[98:99], v[122:123], v[172:173], v[98:99] op_sel_hi:[0,1,1]
	v_dot4c_i32_i8_e32 v174, v152, v7
	v_and_b32_e32 v6, 0xf0f0f0f, v6
	v_cvt_f32_i32_e32 v173, v3
	v_mov_b32_e32 v3, 0
	v_dot4c_i32_i8_e32 v3, v147, v162
	v_dot4c_i32_i8_e32 v3, v148, v166
	;; [unrolled: 1-line block ×3, first 2 shown]
	v_cvt_f32_i32_e32 v172, v174
	v_dot4c_i32_i8_e32 v3, v154, v167
	v_dot4c_i32_i8_e32 v3, v157, v164
	;; [unrolled: 1-line block ×4, first 2 shown]
	v_pk_fma_f32 v[172:173], v[170:171], v[172:173], v[130:131] neg_lo:[0,0,1] neg_hi:[0,0,1]
	v_dot4c_i32_i8_e32 v3, v160, v169
	v_pk_fma_f32 v[88:89], v[124:125], v[172:173], v[88:89] op_sel_hi:[0,1,1]
	v_dot4c_i32_i8_e32 v175, v160, v7
	v_dot4c_i32_i8_e32 v161, v6, v7
	v_cvt_f32_i32_e32 v173, v3
	v_mov_b32_e32 v3, 0
	v_dot4c_i32_i8_e32 v3, v155, v162
	v_dot4c_i32_i8_e32 v3, v156, v166
	;; [unrolled: 1-line block ×8, first 2 shown]
	v_cvt_f32_i32_e32 v172, v175
	v_cvt_f32_i32_e32 v162, v161
	v_mov_b32_e32 v7, 0
	v_cvt_f32_i32_e32 v163, v3
	v_pk_fma_f32 v[172:173], v[170:171], v[172:173], v[130:131] neg_lo:[0,0,1] neg_hi:[0,0,1]
	v_mov_b32_e32 v3, 0
	v_mov_b32_e32 v161, 0
	v_pk_fma_f32 v[130:131], v[170:171], v[162:163], v[130:131] neg_lo:[0,0,1] neg_hi:[0,0,1]
	v_mov_b32_e32 v174, 0
	v_pk_fma_f32 v[56:57], v[128:129], v[130:131], v[56:57] op_sel_hi:[0,1,1]
	ds_read_b128 v[162:165], v125 offset:2048
	ds_read_b128 v[166:169], v125 offset:2064
	ds_read2_b32 v[130:131], v123 offset0:64 offset1:96
	v_pk_fma_f32 v[72:73], v[126:127], v[172:173], v[72:73] op_sel_hi:[0,1,1]
	v_mov_b32_e32 v172, 0
	s_waitcnt lgkmcnt(2)
	v_dot4c_i32_i8_e32 v3, v135, v162
	v_dot4c_i32_i8_e32 v7, v137, v162
	;; [unrolled: 1-line block ×4, first 2 shown]
	s_waitcnt lgkmcnt(1)
	v_dot4c_i32_i8_e32 v3, v136, v166
	v_dot4c_i32_i8_e32 v7, v139, v166
	;; [unrolled: 1-line block ×28, first 2 shown]
	ds_read_b128 v[162:165], v125 offset:3072
	ds_read_b128 v[166:169], v125 offset:3088
	s_waitcnt lgkmcnt(2)
	v_cvt_f32_f16_e32 v171, v131
	v_cvt_f32_f16_e32 v170, v130
	v_cvt_f32_f16_sdwa v131, v131 dst_sel:DWORD dst_unused:UNUSED_PAD src0_sel:WORD_1
	s_waitcnt lgkmcnt(1)
	v_dot4c_i32_i8_e32 v172, v135, v162
	s_waitcnt lgkmcnt(0)
	v_dot4c_i32_i8_e32 v172, v136, v166
	v_dot4c_i32_i8_e32 v172, v138, v163
	;; [unrolled: 1-line block ×7, first 2 shown]
	v_cvt_f32_f16_sdwa v130, v130 dst_sel:DWORD dst_unused:UNUSED_PAD src0_sel:WORD_1
	s_add_i32 s1, s1, 4
	v_add_u32_e32 v134, 4, v134
	v_cvt_f32_i32_e32 v173, v172
	v_cvt_f32_i32_e32 v172, v3
	v_mov_b32_e32 v3, 0
	v_dot4c_i32_i8_e32 v3, v137, v162
	v_dot4c_i32_i8_e32 v3, v139, v166
	;; [unrolled: 1-line block ×6, first 2 shown]
	v_pk_mul_f32 v[130:131], v[130:131], s[4:5] op_sel_hi:[1,0]
	v_dot4c_i32_i8_e32 v3, v151, v165
	v_pk_fma_f32 v[172:173], v[172:173], v[170:171], v[130:131] neg_lo:[0,0,1] neg_hi:[0,0,1]
	v_dot4c_i32_i8_e32 v3, v152, v169
	v_pk_fma_f32 v[30:31], v[122:123], v[172:173], v[30:31] op_sel_hi:[0,1,1]
	v_cvt_f32_i32_e32 v172, v7
	v_mov_b32_e32 v7, 0
	v_cvt_f32_i32_e32 v173, v3
	v_mov_b32_e32 v3, 0
	v_dot4c_i32_i8_e32 v3, v147, v162
	v_dot4c_i32_i8_e32 v3, v148, v166
	;; [unrolled: 1-line block ×7, first 2 shown]
	v_pk_fma_f32 v[172:173], v[172:173], v[170:171], v[130:131] neg_lo:[0,0,1] neg_hi:[0,0,1]
	v_dot4c_i32_i8_e32 v3, v160, v169
	v_pk_fma_f32 v[28:29], v[124:125], v[172:173], v[28:29] op_sel_hi:[0,1,1]
	v_cvt_f32_i32_e32 v172, v161
	v_mov_b32_e32 v161, 0
	v_cvt_f32_i32_e32 v173, v3
	v_mov_b32_e32 v3, 0
	v_dot4c_i32_i8_e32 v3, v155, v162
	v_dot4c_i32_i8_e32 v3, v156, v166
	;; [unrolled: 1-line block ×8, first 2 shown]
	v_cvt_f32_i32_e32 v162, v174
	v_pk_fma_f32 v[172:173], v[172:173], v[170:171], v[130:131] neg_lo:[0,0,1] neg_hi:[0,0,1]
	v_mov_b32_e32 v174, 0
	v_cvt_f32_i32_e32 v163, v3
	v_mov_b32_e32 v3, 0
	v_pk_fma_f32 v[26:27], v[126:127], v[172:173], v[26:27] op_sel_hi:[0,1,1]
	v_mov_b32_e32 v172, 0
	v_pk_fma_f32 v[130:131], v[162:163], v[170:171], v[130:131] neg_lo:[0,0,1] neg_hi:[0,0,1]
	v_add_u32_e32 v133, 4, v133
	v_pk_fma_f32 v[24:25], v[128:129], v[130:131], v[24:25] op_sel_hi:[0,1,1]
	ds_read_b128 v[162:165], v125 offset:4096
	ds_read_b128 v[166:169], v125 offset:4112
	ds_read2_b32 v[130:131], v123 offset0:128 offset1:160
	v_add_u32_e32 v132, 4, v132
	s_cmp_lt_u32 s1, 12
	s_waitcnt lgkmcnt(2)
	v_dot4c_i32_i8_e32 v3, v135, v162
	v_dot4c_i32_i8_e32 v7, v137, v162
	;; [unrolled: 1-line block ×4, first 2 shown]
	s_waitcnt lgkmcnt(1)
	v_dot4c_i32_i8_e32 v3, v136, v166
	v_dot4c_i32_i8_e32 v7, v139, v166
	;; [unrolled: 1-line block ×28, first 2 shown]
	ds_read_b128 v[162:165], v125 offset:5120
	ds_read_b128 v[166:169], v125 offset:5136
	s_waitcnt lgkmcnt(2)
	v_cvt_f32_f16_e32 v171, v131
	v_cvt_f32_f16_e32 v170, v130
	v_cvt_f32_f16_sdwa v131, v131 dst_sel:DWORD dst_unused:UNUSED_PAD src0_sel:WORD_1
	s_waitcnt lgkmcnt(1)
	v_dot4c_i32_i8_e32 v172, v135, v162
	s_waitcnt lgkmcnt(0)
	v_dot4c_i32_i8_e32 v172, v136, v166
	v_dot4c_i32_i8_e32 v172, v138, v163
	;; [unrolled: 1-line block ×7, first 2 shown]
	v_cvt_f32_f16_sdwa v130, v130 dst_sel:DWORD dst_unused:UNUSED_PAD src0_sel:WORD_1
	v_pk_mul_f32 v[130:131], v[130:131], s[4:5] op_sel_hi:[1,0]
	s_nop 0
	v_cvt_f32_i32_e32 v173, v172
	v_cvt_f32_i32_e32 v172, v3
	v_mov_b32_e32 v3, 0
	v_dot4c_i32_i8_e32 v3, v137, v162
	v_dot4c_i32_i8_e32 v3, v139, v166
	;; [unrolled: 1-line block ×7, first 2 shown]
	v_pk_fma_f32 v[172:173], v[172:173], v[170:171], v[130:131] neg_lo:[0,0,1] neg_hi:[0,0,1]
	v_dot4c_i32_i8_e32 v3, v152, v169
	v_pk_fma_f32 v[22:23], v[122:123], v[172:173], v[22:23] op_sel_hi:[0,1,1]
	v_cvt_f32_i32_e32 v172, v7
	v_mov_b32_e32 v7, 0
	v_cvt_f32_i32_e32 v173, v3
	v_mov_b32_e32 v3, 0
	v_dot4c_i32_i8_e32 v3, v147, v162
	v_dot4c_i32_i8_e32 v3, v148, v166
	;; [unrolled: 1-line block ×7, first 2 shown]
	v_pk_fma_f32 v[172:173], v[172:173], v[170:171], v[130:131] neg_lo:[0,0,1] neg_hi:[0,0,1]
	v_dot4c_i32_i8_e32 v3, v160, v169
	v_pk_fma_f32 v[20:21], v[124:125], v[172:173], v[20:21] op_sel_hi:[0,1,1]
	v_cvt_f32_i32_e32 v172, v161
	v_mov_b32_e32 v161, 0
	v_cvt_f32_i32_e32 v173, v3
	v_mov_b32_e32 v3, 0
	v_dot4c_i32_i8_e32 v3, v155, v162
	v_dot4c_i32_i8_e32 v3, v156, v166
	;; [unrolled: 1-line block ×8, first 2 shown]
	v_cvt_f32_i32_e32 v162, v174
	v_pk_fma_f32 v[172:173], v[172:173], v[170:171], v[130:131] neg_lo:[0,0,1] neg_hi:[0,0,1]
	s_nop 0
	v_cvt_f32_i32_e32 v163, v3
	v_mov_b32_e32 v3, 0
	v_pk_fma_f32 v[18:19], v[126:127], v[172:173], v[18:19] op_sel_hi:[0,1,1]
	v_pk_fma_f32 v[130:131], v[162:163], v[170:171], v[130:131] neg_lo:[0,0,1] neg_hi:[0,0,1]
	s_nop 0
	v_pk_fma_f32 v[16:17], v[128:129], v[130:131], v[16:17] op_sel_hi:[0,1,1]
	ds_read_b128 v[162:165], v125 offset:6144
	ds_read_b128 v[166:169], v125 offset:6160
	ds_read2_b32 v[130:131], v123 offset0:192 offset1:224
	v_mov_b32_e32 v170, 0
	v_mov_b32_e32 v171, 0
	s_waitcnt lgkmcnt(2)
	v_dot4c_i32_i8_e32 v3, v135, v162
	v_dot4c_i32_i8_e32 v7, v137, v162
	;; [unrolled: 1-line block ×4, first 2 shown]
	s_waitcnt lgkmcnt(1)
	v_dot4c_i32_i8_e32 v3, v136, v166
	v_dot4c_i32_i8_e32 v7, v139, v166
	;; [unrolled: 1-line block ×28, first 2 shown]
	ds_read_b128 v[162:165], v125 offset:7168
	ds_read_b128 v[166:169], v125 offset:7184
	s_waitcnt lgkmcnt(1)
	v_dot4c_i32_i8_e32 v171, v135, v162
	s_waitcnt lgkmcnt(0)
	v_dot4c_i32_i8_e32 v171, v136, v166
	v_dot4c_i32_i8_e32 v171, v138, v163
	;; [unrolled: 1-line block ×5, first 2 shown]
	v_cvt_f32_i32_e32 v142, v3
	v_mov_b32_e32 v3, 0
	v_dot4c_i32_i8_e32 v3, v137, v162
	v_dot4c_i32_i8_e32 v3, v139, v166
	;; [unrolled: 1-line block ×8, first 2 shown]
	v_cvt_f32_f16_e32 v141, v131
	v_cvt_f32_f16_e32 v140, v130
	v_cvt_f32_f16_sdwa v131, v131 dst_sel:DWORD dst_unused:UNUSED_PAD src0_sel:WORD_1
	v_cvt_f32_i32_e32 v137, v3
	v_mov_b32_e32 v3, 0
	v_dot4c_i32_i8_e32 v3, v147, v162
	v_dot4c_i32_i8_e32 v3, v148, v166
	v_cvt_f32_f16_sdwa v130, v130 dst_sel:DWORD dst_unused:UNUSED_PAD src0_sel:WORD_1
	v_dot4c_i32_i8_e32 v3, v153, v163
	v_cvt_f32_i32_e32 v136, v7
	v_dot4c_i32_i8_e32 v3, v154, v167
	v_dot4c_i32_i8_e32 v3, v157, v164
	;; [unrolled: 1-line block ×3, first 2 shown]
	v_pk_mul_f32 v[130:131], v[130:131], s[4:5] op_sel_hi:[1,0]
	v_dot4c_i32_i8_e32 v3, v159, v165
	v_pk_fma_f32 v[136:137], v[136:137], v[140:141], v[130:131] neg_lo:[0,0,1] neg_hi:[0,0,1]
	v_dot4c_i32_i8_e32 v3, v160, v169
	v_pk_fma_f32 v[12:13], v[124:125], v[136:137], v[12:13] op_sel_hi:[0,1,1]
	v_dot4c_i32_i8_e32 v171, v143, v165
	v_dot4c_i32_i8_e32 v171, v145, v169
	v_cvt_f32_i32_e32 v137, v3
	v_mov_b32_e32 v3, 0
	v_dot4c_i32_i8_e32 v3, v155, v162
	v_dot4c_i32_i8_e32 v3, v156, v166
	;; [unrolled: 1-line block ×8, first 2 shown]
	v_cvt_f32_i32_e32 v143, v171
	v_cvt_f32_i32_e32 v136, v161
	;; [unrolled: 1-line block ×4, first 2 shown]
	v_pk_fma_f32 v[142:143], v[142:143], v[140:141], v[130:131] neg_lo:[0,0,1] neg_hi:[0,0,1]
	v_pk_fma_f32 v[136:137], v[136:137], v[140:141], v[130:131] neg_lo:[0,0,1] neg_hi:[0,0,1]
	v_pk_fma_f32 v[14:15], v[122:123], v[142:143], v[14:15] op_sel_hi:[0,1,1]
	v_pk_fma_f32 v[0:1], v[0:1], v[140:141], v[130:131] neg_lo:[0,0,1] neg_hi:[0,0,1]
	v_pk_fma_f32 v[10:11], v[126:127], v[136:137], v[10:11] op_sel_hi:[0,1,1]
	v_pk_fma_f32 v[8:9], v[128:129], v[0:1], v[8:9] op_sel_hi:[0,1,1]
	v_add_u32_e32 v129, 4, v129
	v_add_u32_e32 v127, 16, v127
	;; [unrolled: 1-line block ×4, first 2 shown]
	s_cbranch_scc1 .LBB138_7
; %bb.8:                                ;   in Loop: Header=BB138_6 Depth=1
	s_or_b32 s1, s0, 4
	s_cmp_ge_i32 s1, s5
	s_barrier
	s_cbranch_scc1 .LBB138_5
; %bb.9:                                ;   in Loop: Header=BB138_6 Depth=1
	v_add_u32_e32 v128, s0, v83
	v_add_u32_e32 v0, v128, v45
	;; [unrolled: 1-line block ×6, first 2 shown]
	v_mad_i64_i32 v[0:1], s[8:9], v0, 36, v[118:119]
	v_mad_i64_i32 v[2:3], s[8:9], v2, 36, v[118:119]
	;; [unrolled: 1-line block ×5, first 2 shown]
	v_add_u32_e32 v124, v128, v67
	v_add_u32_e32 v126, v128, v71
	v_add_u32_e32 v128, v128, v77
	v_mad_i64_i32 v[124:125], s[8:9], v124, 36, v[118:119]
	v_mad_i64_i32 v[126:127], s[8:9], v126, 36, v[118:119]
	;; [unrolled: 1-line block ×3, first 2 shown]
	global_load_dword v130, v[0:1], off offset:4
	s_nop 0
	global_load_dword v2, v[2:3], off offset:4
	s_nop 0
	;; [unrolled: 2-line block ×3, first 2 shown]
	global_load_dword v4, v[6:7], off offset:4
	global_load_dword v5, v[122:123], off offset:4
	s_nop 0
	global_load_dword v6, v[124:125], off offset:4
                                        ; kill: killed $vgpr124_vgpr125
                                        ; kill: killed $vgpr122_vgpr123
	global_load_dword v7, v[126:127], off offset:4
	global_load_dword v122, v[128:129], off offset:4
	v_add_u32_e32 v0, 4, v121
	v_mad_u64_u32 v[0:1], s[8:9], v0, 36, s[2:3]
	global_load_dword v0, v[0:1], off
	s_mov_b32 s1, 12
	v_mov_b32_e32 v121, v97
	v_mov_b32_e32 v123, v95
	;; [unrolled: 1-line block ×7, first 2 shown]
	s_waitcnt vmcnt(8)
	ds_write_b32 v47, v130
	s_waitcnt vmcnt(7)
	ds_write_b32 v51, v2
	;; [unrolled: 2-line block ×9, first 2 shown]
	s_waitcnt lgkmcnt(0)
	s_barrier
.LBB138_10:                             ;   Parent Loop BB138_6 Depth=1
                                        ; =>  This Inner Loop Header: Depth=2
	ds_read_b128 v[0:3], v123
	ds_read_b128 v[4:7], v123 offset:16
	ds_read2_b32 v[130:131], v121 offset1:32
	ds_read_b32 v122, v127
	ds_read2_b32 v[138:139], v125 offset1:1
	ds_read2_b32 v[142:143], v125 offset0:2 offset1:3
	v_add_u32_e32 v126, 0x1080, v125
	v_add_u32_e32 v128, 0x2100, v125
	v_mov_b32_e32 v170, 0
	s_waitcnt lgkmcnt(1)
	v_lshrrev_b32_e32 v124, 4, v138
	v_and_b32_e32 v135, 0xf0f0f0f, v124
	v_lshrrev_b32_e32 v124, 4, v139
	v_and_b32_e32 v137, 0xf0f0f0f, v139
	v_and_b32_e32 v139, 0xf0f0f0f, v124
	s_waitcnt lgkmcnt(0)
	v_lshrrev_b32_e32 v124, 4, v142
	v_and_b32_e32 v141, 0xf0f0f0f, v124
	v_lshrrev_b32_e32 v124, 4, v143
	v_and_b32_e32 v144, 0xf0f0f0f, v124
	ds_read_b32 v124, v129
	ds_read2_b32 v[146:147], v126 offset1:1
	v_and_b32_e32 v134, 0xf0f0f0f, v138
	v_and_b32_e32 v140, 0xf0f0f0f, v142
	;; [unrolled: 1-line block ×3, first 2 shown]
	v_mov_b32_e32 v172, 0
	s_waitcnt lgkmcnt(0)
	v_lshrrev_b32_e32 v126, 4, v146
	v_and_b32_e32 v138, 0xf0f0f0f, v126
	v_lshrrev_b32_e32 v126, 4, v147
	v_and_b32_e32 v145, 0xf0f0f0f, v126
	v_add_u32_e32 v126, 0x1088, v125
	v_and_b32_e32 v136, 0xf0f0f0f, v146
	v_and_b32_e32 v143, 0xf0f0f0f, v147
	ds_read2_b32 v[146:147], v126 offset1:1
	v_mov_b32_e32 v173, 0
	v_mov_b32_e32 v174, 0
	v_dot4c_i32_i8_e32 v170, v134, v0
	v_dot4c_i32_i8_e32 v172, v136, v0
	s_waitcnt lgkmcnt(0)
	v_lshrrev_b32_e32 v126, 4, v146
	v_and_b32_e32 v149, 0xf0f0f0f, v126
	v_lshrrev_b32_e32 v126, 4, v147
	v_and_b32_e32 v151, 0xf0f0f0f, v126
	ds_read_b32 v126, v132
	ds_read2_b32 v[152:153], v128 offset1:1
	v_and_b32_e32 v150, 0xf0f0f0f, v147
	v_and_b32_e32 v148, 0xf0f0f0f, v146
	v_dot4c_i32_i8_e32 v170, v135, v4
	v_dot4c_i32_i8_e32 v172, v138, v4
	s_waitcnt lgkmcnt(0)
	v_lshrrev_b32_e32 v128, 4, v152
	v_and_b32_e32 v147, 0xf0f0f0f, v128
	v_lshrrev_b32_e32 v128, 4, v153
	v_and_b32_e32 v146, 0xf0f0f0f, v152
	v_and_b32_e32 v152, 0xf0f0f0f, v153
	;; [unrolled: 1-line block ×3, first 2 shown]
	v_add_u32_e32 v128, 0x2108, v125
	ds_read2_b32 v[154:155], v128 offset1:1
	v_dot4c_i32_i8_e32 v173, v146, v0
	v_dot4c_i32_i8_e32 v173, v147, v4
	;; [unrolled: 1-line block ×4, first 2 shown]
	s_waitcnt lgkmcnt(0)
	v_lshrrev_b32_e32 v128, 4, v154
	v_and_b32_e32 v157, 0xf0f0f0f, v128
	v_lshrrev_b32_e32 v128, 4, v155
	v_and_b32_e32 v156, 0xf0f0f0f, v154
	v_and_b32_e32 v159, 0xf0f0f0f, v128
	v_add_u32_e32 v154, 0x3180, v125
	ds_read_b32 v128, v133
	ds_read2_b32 v[160:161], v154 offset1:1
	v_and_b32_e32 v158, 0xf0f0f0f, v155
	v_dot4c_i32_i8_e32 v173, v152, v1
	v_dot4c_i32_i8_e32 v170, v139, v5
	;; [unrolled: 1-line block ×3, first 2 shown]
	s_waitcnt lgkmcnt(0)
	v_and_b32_e32 v154, 0xf0f0f0f, v160
	v_lshrrev_b32_e32 v155, 4, v160
	v_and_b32_e32 v155, 0xf0f0f0f, v155
	v_dot4c_i32_i8_e32 v174, v154, v0
	v_dot4c_i32_i8_e32 v174, v155, v4
	v_and_b32_e32 v0, 0xf0f0f0f, v161
	v_dot4c_i32_i8_e32 v174, v0, v1
	v_add_u32_e32 v1, 0x3188, v125
	v_lshrrev_b32_e32 v4, 4, v161
	ds_read2_b32 v[160:161], v1 offset1:1
	v_and_b32_e32 v4, 0xf0f0f0f, v4
	v_dot4c_i32_i8_e32 v173, v153, v5
	v_dot4c_i32_i8_e32 v174, v4, v5
	;; [unrolled: 1-line block ×3, first 2 shown]
	s_waitcnt lgkmcnt(0)
	v_and_b32_e32 v1, 0xf0f0f0f, v160
	v_lshrrev_b32_e32 v5, 4, v160
	v_dot4c_i32_i8_e32 v172, v148, v2
	v_dot4c_i32_i8_e32 v173, v156, v2
	v_and_b32_e32 v5, 0xf0f0f0f, v5
	v_dot4c_i32_i8_e32 v174, v1, v2
	v_dot4c_i32_i8_e32 v170, v141, v6
	;; [unrolled: 1-line block ×5, first 2 shown]
	v_and_b32_e32 v2, 0xf0f0f0f, v161
	v_lshrrev_b32_e32 v6, 4, v161
	ds_read_b128 v[160:163], v123 offset:1024
	ds_read_b128 v[164:167], v123 offset:1040
	v_dot4c_i32_i8_e32 v170, v142, v3
	v_dot4c_i32_i8_e32 v172, v150, v3
	;; [unrolled: 1-line block ×4, first 2 shown]
	v_mov_b32_e32 v3, 0
	s_waitcnt lgkmcnt(1)
	v_dot4c_i32_i8_e32 v3, v134, v160
	s_waitcnt lgkmcnt(0)
	v_dot4c_i32_i8_e32 v3, v135, v164
	v_dot4c_i32_i8_e32 v3, v137, v161
	;; [unrolled: 1-line block ×8, first 2 shown]
	v_cvt_f32_f16_e32 v169, v131
	v_cvt_f32_f16_e32 v168, v130
	v_cvt_f32_i32_e32 v171, v3
	v_mov_b32_e32 v3, 0
	v_dot4c_i32_i8_e32 v3, v136, v160
	v_dot4c_i32_i8_e32 v3, v138, v164
	v_cvt_f32_f16_sdwa v131, v131 dst_sel:DWORD dst_unused:UNUSED_PAD src0_sel:WORD_1
	v_cvt_f32_f16_sdwa v130, v130 dst_sel:DWORD dst_unused:UNUSED_PAD src0_sel:WORD_1
	v_dot4c_i32_i8_e32 v3, v143, v161
	v_cvt_f32_i32_e32 v170, v170
	v_dot4c_i32_i8_e32 v3, v145, v165
	v_dot4c_i32_i8_e32 v3, v148, v162
	;; [unrolled: 1-line block ×3, first 2 shown]
	v_pk_mul_f32 v[130:131], v[130:131], s[4:5] op_sel_hi:[1,0]
	v_dot4c_i32_i8_e32 v3, v150, v163
	v_pk_fma_f32 v[170:171], v[168:169], v[170:171], v[130:131] neg_lo:[0,0,1] neg_hi:[0,0,1]
	v_dot4c_i32_i8_e32 v3, v151, v167
	v_pk_fma_f32 v[98:99], v[122:123], v[170:171], v[98:99] op_sel_hi:[0,1,1]
	v_dot4c_i32_i8_e32 v172, v151, v7
	v_and_b32_e32 v6, 0xf0f0f0f, v6
	v_cvt_f32_i32_e32 v171, v3
	v_mov_b32_e32 v3, 0
	v_dot4c_i32_i8_e32 v3, v146, v160
	v_dot4c_i32_i8_e32 v3, v147, v164
	;; [unrolled: 1-line block ×3, first 2 shown]
	v_cvt_f32_i32_e32 v170, v172
	v_dot4c_i32_i8_e32 v3, v153, v165
	v_dot4c_i32_i8_e32 v3, v156, v162
	;; [unrolled: 1-line block ×4, first 2 shown]
	v_pk_fma_f32 v[170:171], v[168:169], v[170:171], v[130:131] neg_lo:[0,0,1] neg_hi:[0,0,1]
	v_dot4c_i32_i8_e32 v3, v159, v167
	v_pk_fma_f32 v[88:89], v[124:125], v[170:171], v[88:89] op_sel_hi:[0,1,1]
	v_dot4c_i32_i8_e32 v173, v159, v7
	v_dot4c_i32_i8_e32 v174, v6, v7
	v_cvt_f32_i32_e32 v171, v3
	v_mov_b32_e32 v3, 0
	v_dot4c_i32_i8_e32 v3, v154, v160
	v_dot4c_i32_i8_e32 v3, v155, v164
	;; [unrolled: 1-line block ×8, first 2 shown]
	v_cvt_f32_i32_e32 v170, v173
	v_cvt_f32_i32_e32 v160, v174
	v_mov_b32_e32 v7, 0
	v_cvt_f32_i32_e32 v161, v3
	v_pk_fma_f32 v[170:171], v[168:169], v[170:171], v[130:131] neg_lo:[0,0,1] neg_hi:[0,0,1]
	v_mov_b32_e32 v3, 0
	v_mov_b32_e32 v172, 0
	v_pk_fma_f32 v[130:131], v[168:169], v[160:161], v[130:131] neg_lo:[0,0,1] neg_hi:[0,0,1]
	v_mov_b32_e32 v173, 0
	v_pk_fma_f32 v[56:57], v[128:129], v[130:131], v[56:57] op_sel_hi:[0,1,1]
	ds_read_b128 v[160:163], v123 offset:2048
	ds_read_b128 v[164:167], v123 offset:2064
	ds_read2_b32 v[130:131], v121 offset0:64 offset1:96
	v_pk_fma_f32 v[72:73], v[126:127], v[170:171], v[72:73] op_sel_hi:[0,1,1]
	v_mov_b32_e32 v170, 0
	s_waitcnt lgkmcnt(2)
	v_dot4c_i32_i8_e32 v3, v134, v160
	v_dot4c_i32_i8_e32 v7, v136, v160
	;; [unrolled: 1-line block ×4, first 2 shown]
	s_waitcnt lgkmcnt(1)
	v_dot4c_i32_i8_e32 v3, v135, v164
	v_dot4c_i32_i8_e32 v7, v138, v164
	;; [unrolled: 1-line block ×28, first 2 shown]
	ds_read_b128 v[160:163], v123 offset:3072
	ds_read_b128 v[164:167], v123 offset:3088
	s_waitcnt lgkmcnt(2)
	v_cvt_f32_f16_e32 v169, v131
	v_cvt_f32_f16_e32 v168, v130
	v_cvt_f32_f16_sdwa v131, v131 dst_sel:DWORD dst_unused:UNUSED_PAD src0_sel:WORD_1
	s_waitcnt lgkmcnt(1)
	v_dot4c_i32_i8_e32 v170, v134, v160
	s_waitcnt lgkmcnt(0)
	v_dot4c_i32_i8_e32 v170, v135, v164
	v_dot4c_i32_i8_e32 v170, v137, v161
	v_dot4c_i32_i8_e32 v170, v139, v165
	v_dot4c_i32_i8_e32 v170, v140, v162
	v_dot4c_i32_i8_e32 v170, v141, v166
	v_dot4c_i32_i8_e32 v170, v142, v163
	v_dot4c_i32_i8_e32 v170, v144, v167
	v_cvt_f32_f16_sdwa v130, v130 dst_sel:DWORD dst_unused:UNUSED_PAD src0_sel:WORD_1
	s_add_i32 s1, s1, 4
	v_add_u32_e32 v133, 4, v133
	v_cvt_f32_i32_e32 v171, v170
	v_cvt_f32_i32_e32 v170, v3
	v_mov_b32_e32 v3, 0
	v_dot4c_i32_i8_e32 v3, v136, v160
	v_dot4c_i32_i8_e32 v3, v138, v164
	;; [unrolled: 1-line block ×6, first 2 shown]
	v_pk_mul_f32 v[130:131], v[130:131], s[4:5] op_sel_hi:[1,0]
	v_dot4c_i32_i8_e32 v3, v150, v163
	v_pk_fma_f32 v[170:171], v[170:171], v[168:169], v[130:131] neg_lo:[0,0,1] neg_hi:[0,0,1]
	v_dot4c_i32_i8_e32 v3, v151, v167
	v_pk_fma_f32 v[30:31], v[122:123], v[170:171], v[30:31] op_sel_hi:[0,1,1]
	v_cvt_f32_i32_e32 v170, v7
	v_mov_b32_e32 v7, 0
	v_cvt_f32_i32_e32 v171, v3
	v_mov_b32_e32 v3, 0
	v_dot4c_i32_i8_e32 v3, v146, v160
	v_dot4c_i32_i8_e32 v3, v147, v164
	;; [unrolled: 1-line block ×7, first 2 shown]
	v_pk_fma_f32 v[170:171], v[170:171], v[168:169], v[130:131] neg_lo:[0,0,1] neg_hi:[0,0,1]
	v_dot4c_i32_i8_e32 v3, v159, v167
	v_pk_fma_f32 v[28:29], v[124:125], v[170:171], v[28:29] op_sel_hi:[0,1,1]
	v_cvt_f32_i32_e32 v170, v172
	v_mov_b32_e32 v172, 0
	v_cvt_f32_i32_e32 v171, v3
	v_mov_b32_e32 v3, 0
	v_dot4c_i32_i8_e32 v3, v154, v160
	v_dot4c_i32_i8_e32 v3, v155, v164
	v_dot4c_i32_i8_e32 v3, v0, v161
	v_dot4c_i32_i8_e32 v3, v4, v165
	v_dot4c_i32_i8_e32 v3, v1, v162
	v_dot4c_i32_i8_e32 v3, v5, v166
	v_dot4c_i32_i8_e32 v3, v2, v163
	v_dot4c_i32_i8_e32 v3, v6, v167
	v_cvt_f32_i32_e32 v160, v173
	v_pk_fma_f32 v[170:171], v[170:171], v[168:169], v[130:131] neg_lo:[0,0,1] neg_hi:[0,0,1]
	v_mov_b32_e32 v173, 0
	v_cvt_f32_i32_e32 v161, v3
	v_mov_b32_e32 v3, 0
	v_pk_fma_f32 v[26:27], v[126:127], v[170:171], v[26:27] op_sel_hi:[0,1,1]
	v_mov_b32_e32 v170, 0
	v_pk_fma_f32 v[130:131], v[160:161], v[168:169], v[130:131] neg_lo:[0,0,1] neg_hi:[0,0,1]
	v_add_u32_e32 v132, 4, v132
	v_pk_fma_f32 v[24:25], v[128:129], v[130:131], v[24:25] op_sel_hi:[0,1,1]
	ds_read_b128 v[160:163], v123 offset:4096
	ds_read_b128 v[164:167], v123 offset:4112
	ds_read2_b32 v[130:131], v121 offset0:128 offset1:160
	s_cmp_lt_u32 s1, 28
	s_waitcnt lgkmcnt(2)
	v_dot4c_i32_i8_e32 v3, v134, v160
	v_dot4c_i32_i8_e32 v7, v136, v160
	;; [unrolled: 1-line block ×4, first 2 shown]
	s_waitcnt lgkmcnt(1)
	v_dot4c_i32_i8_e32 v3, v135, v164
	v_dot4c_i32_i8_e32 v7, v138, v164
	;; [unrolled: 1-line block ×28, first 2 shown]
	ds_read_b128 v[160:163], v123 offset:5120
	ds_read_b128 v[164:167], v123 offset:5136
	s_waitcnt lgkmcnt(2)
	v_cvt_f32_f16_e32 v169, v131
	v_cvt_f32_f16_e32 v168, v130
	v_cvt_f32_f16_sdwa v131, v131 dst_sel:DWORD dst_unused:UNUSED_PAD src0_sel:WORD_1
	s_waitcnt lgkmcnt(1)
	v_dot4c_i32_i8_e32 v170, v134, v160
	s_waitcnt lgkmcnt(0)
	v_dot4c_i32_i8_e32 v170, v135, v164
	v_dot4c_i32_i8_e32 v170, v137, v161
	;; [unrolled: 1-line block ×7, first 2 shown]
	v_cvt_f32_f16_sdwa v130, v130 dst_sel:DWORD dst_unused:UNUSED_PAD src0_sel:WORD_1
	v_pk_mul_f32 v[130:131], v[130:131], s[4:5] op_sel_hi:[1,0]
	s_nop 0
	v_cvt_f32_i32_e32 v171, v170
	v_cvt_f32_i32_e32 v170, v3
	v_mov_b32_e32 v3, 0
	v_dot4c_i32_i8_e32 v3, v136, v160
	v_dot4c_i32_i8_e32 v3, v138, v164
	;; [unrolled: 1-line block ×7, first 2 shown]
	v_pk_fma_f32 v[170:171], v[170:171], v[168:169], v[130:131] neg_lo:[0,0,1] neg_hi:[0,0,1]
	v_dot4c_i32_i8_e32 v3, v151, v167
	v_pk_fma_f32 v[22:23], v[122:123], v[170:171], v[22:23] op_sel_hi:[0,1,1]
	v_cvt_f32_i32_e32 v170, v7
	v_mov_b32_e32 v7, 0
	v_cvt_f32_i32_e32 v171, v3
	v_mov_b32_e32 v3, 0
	v_dot4c_i32_i8_e32 v3, v146, v160
	v_dot4c_i32_i8_e32 v3, v147, v164
	;; [unrolled: 1-line block ×7, first 2 shown]
	v_pk_fma_f32 v[170:171], v[170:171], v[168:169], v[130:131] neg_lo:[0,0,1] neg_hi:[0,0,1]
	v_dot4c_i32_i8_e32 v3, v159, v167
	v_pk_fma_f32 v[20:21], v[124:125], v[170:171], v[20:21] op_sel_hi:[0,1,1]
	v_cvt_f32_i32_e32 v170, v172
	s_nop 0
	v_cvt_f32_i32_e32 v171, v3
	v_mov_b32_e32 v3, 0
	v_dot4c_i32_i8_e32 v3, v154, v160
	v_dot4c_i32_i8_e32 v3, v155, v164
	;; [unrolled: 1-line block ×8, first 2 shown]
	v_cvt_f32_i32_e32 v160, v173
	v_pk_fma_f32 v[170:171], v[170:171], v[168:169], v[130:131] neg_lo:[0,0,1] neg_hi:[0,0,1]
	s_nop 0
	v_cvt_f32_i32_e32 v161, v3
	v_mov_b32_e32 v3, 0
	v_pk_fma_f32 v[18:19], v[126:127], v[170:171], v[18:19] op_sel_hi:[0,1,1]
	v_mov_b32_e32 v170, 0
	v_pk_fma_f32 v[130:131], v[160:161], v[168:169], v[130:131] neg_lo:[0,0,1] neg_hi:[0,0,1]
	v_mov_b32_e32 v168, 0
	v_pk_fma_f32 v[16:17], v[128:129], v[130:131], v[16:17] op_sel_hi:[0,1,1]
	ds_read_b128 v[160:163], v123 offset:6144
	ds_read_b128 v[164:167], v123 offset:6160
	ds_read2_b32 v[130:131], v121 offset0:192 offset1:224
	v_mov_b32_e32 v169, 0
	v_add_u32_e32 v121, 4, v121
	s_waitcnt lgkmcnt(2)
	v_dot4c_i32_i8_e32 v3, v134, v160
	v_dot4c_i32_i8_e32 v7, v136, v160
	;; [unrolled: 1-line block ×4, first 2 shown]
	s_waitcnt lgkmcnt(1)
	v_dot4c_i32_i8_e32 v3, v135, v164
	v_dot4c_i32_i8_e32 v7, v138, v164
	;; [unrolled: 1-line block ×28, first 2 shown]
	ds_read_b128 v[160:163], v123 offset:7168
	ds_read_b128 v[164:167], v123 offset:7184
	s_waitcnt lgkmcnt(1)
	v_dot4c_i32_i8_e32 v170, v134, v160
	s_waitcnt lgkmcnt(0)
	v_dot4c_i32_i8_e32 v170, v135, v164
	v_dot4c_i32_i8_e32 v170, v137, v161
	;; [unrolled: 1-line block ×4, first 2 shown]
	v_cvt_f32_i32_e32 v140, v3
	v_mov_b32_e32 v3, 0
	v_dot4c_i32_i8_e32 v3, v136, v160
	v_dot4c_i32_i8_e32 v3, v138, v164
	;; [unrolled: 1-line block ×8, first 2 shown]
	v_cvt_f32_f16_e32 v135, v131
	v_cvt_f32_f16_e32 v134, v130
	v_cvt_f32_f16_sdwa v131, v131 dst_sel:DWORD dst_unused:UNUSED_PAD src0_sel:WORD_1
	v_cvt_f32_i32_e32 v137, v3
	v_mov_b32_e32 v3, 0
	v_dot4c_i32_i8_e32 v3, v146, v160
	v_dot4c_i32_i8_e32 v3, v147, v164
	v_cvt_f32_f16_sdwa v130, v130 dst_sel:DWORD dst_unused:UNUSED_PAD src0_sel:WORD_1
	v_dot4c_i32_i8_e32 v3, v152, v161
	v_cvt_f32_i32_e32 v136, v7
	v_dot4c_i32_i8_e32 v3, v153, v165
	v_dot4c_i32_i8_e32 v3, v156, v162
	;; [unrolled: 1-line block ×3, first 2 shown]
	v_pk_mul_f32 v[130:131], v[130:131], s[4:5] op_sel_hi:[1,0]
	v_dot4c_i32_i8_e32 v3, v158, v163
	v_pk_fma_f32 v[136:137], v[136:137], v[134:135], v[130:131] neg_lo:[0,0,1] neg_hi:[0,0,1]
	v_dot4c_i32_i8_e32 v3, v159, v167
	v_pk_fma_f32 v[12:13], v[124:125], v[136:137], v[12:13] op_sel_hi:[0,1,1]
	v_dot4c_i32_i8_e32 v170, v141, v166
	v_dot4c_i32_i8_e32 v170, v142, v163
	v_cvt_f32_i32_e32 v137, v3
	v_mov_b32_e32 v3, 0
	v_dot4c_i32_i8_e32 v3, v154, v160
	v_dot4c_i32_i8_e32 v3, v155, v164
	;; [unrolled: 1-line block ×9, first 2 shown]
	v_cvt_f32_i32_e32 v136, v168
	v_cvt_f32_i32_e32 v0, v169
	;; [unrolled: 1-line block ×4, first 2 shown]
	v_pk_fma_f32 v[136:137], v[136:137], v[134:135], v[130:131] neg_lo:[0,0,1] neg_hi:[0,0,1]
	v_add_u32_e32 v125, 16, v125
	v_pk_fma_f32 v[140:141], v[140:141], v[134:135], v[130:131] neg_lo:[0,0,1] neg_hi:[0,0,1]
	v_pk_fma_f32 v[0:1], v[0:1], v[134:135], v[130:131] neg_lo:[0,0,1] neg_hi:[0,0,1]
	v_pk_fma_f32 v[14:15], v[122:123], v[140:141], v[14:15] op_sel_hi:[0,1,1]
	v_pk_fma_f32 v[10:11], v[126:127], v[136:137], v[10:11] op_sel_hi:[0,1,1]
	v_pk_fma_f32 v[8:9], v[128:129], v[0:1], v[8:9] op_sel_hi:[0,1,1]
	v_add_u32_e32 v129, 4, v129
	v_add_u32_e32 v127, 4, v127
	;; [unrolled: 1-line block ×3, first 2 shown]
	s_cbranch_scc1 .LBB138_10
; %bb.11:                               ;   in Loop: Header=BB138_6 Depth=1
	s_barrier
	s_branch .LBB138_5
.LBB138_12:
	v_mov_b32_e32 v1, v37
.LBB138_13:
	v_cmp_gt_u32_e32 vcc, s10, v39
	s_and_saveexec_b64 s[0:1], vcc
	s_cbranch_execz .LBB138_64
; %bb.14:
	v_add_u32_e32 v0, s16, v33
	v_mul_lo_u32 v5, v39, s14
	v_cmp_gt_u32_e32 vcc, s14, v0
	s_and_saveexec_b64 s[0:1], vcc
	s_cbranch_execz .LBB138_16
; %bb.15:
	v_cvt_f16_f32_e32 v4, v98
	v_add_u32_e32 v2, v0, v5
	v_mov_b32_e32 v3, 0
	s_waitcnt lgkmcnt(0)
	v_lshl_add_u64 v[2:3], v[2:3], 1, s[12:13]
	global_store_short v[2:3], v4, off
.LBB138_16:
	s_or_b64 exec, exec, s[0:1]
	v_add_u32_e32 v2, 32, v0
	v_cmp_gt_u32_e64 s[0:1], s14, v2
	s_and_saveexec_b64 s[2:3], s[0:1]
	s_cbranch_execz .LBB138_18
; %bb.17:
	v_cvt_f16_f32_e32 v3, v88
	v_add_u32_e32 v6, v2, v5
	v_mov_b32_e32 v7, 0
	s_waitcnt lgkmcnt(0)
	v_lshl_add_u64 v[6:7], v[6:7], 1, s[12:13]
	global_store_short v[6:7], v3, off
.LBB138_18:
	s_or_b64 exec, exec, s[2:3]
	v_add_u32_e32 v3, 64, v0
	v_cmp_gt_u32_e64 s[2:3], s14, v3
	s_and_saveexec_b64 s[4:5], s[2:3]
	;; [unrolled: 13-line block ×3, first 2 shown]
	s_cbranch_execz .LBB138_22
; %bb.21:
	v_cvt_f16_f32_e32 v32, v56
	v_add_u32_e32 v6, v4, v5
	v_mov_b32_e32 v7, 0
	s_waitcnt lgkmcnt(0)
	v_lshl_add_u64 v[6:7], v[6:7], 1, s[12:13]
	global_store_short v[6:7], v32, off
.LBB138_22:
	s_or_b64 exec, exec, s[6:7]
	v_add3_u32 v5, v1, s15, 8
	v_cmp_gt_u32_e64 s[6:7], s10, v5
	s_and_b64 exec, exec, s[6:7]
	s_cbranch_execz .LBB138_64
; %bb.23:
	v_mul_lo_u32 v5, v5, s14
	s_and_saveexec_b64 s[6:7], vcc
	s_cbranch_execnz .LBB138_65
; %bb.24:
	s_or_b64 exec, exec, s[6:7]
	s_and_saveexec_b64 s[6:7], s[0:1]
	s_cbranch_execnz .LBB138_66
.LBB138_25:
	s_or_b64 exec, exec, s[6:7]
	s_and_saveexec_b64 s[6:7], s[2:3]
	s_cbranch_execnz .LBB138_67
.LBB138_26:
	s_or_b64 exec, exec, s[6:7]
	s_and_saveexec_b64 s[6:7], s[4:5]
	s_cbranch_execz .LBB138_28
.LBB138_27:
	v_cvt_f16_f32_e32 v32, v57
	v_add_u32_e32 v6, v5, v4
	v_mov_b32_e32 v7, 0
	s_waitcnt lgkmcnt(0)
	v_lshl_add_u64 v[6:7], v[6:7], 1, s[12:13]
	global_store_short v[6:7], v32, off
.LBB138_28:
	s_or_b64 exec, exec, s[6:7]
	v_add3_u32 v5, v1, s15, 16
	v_cmp_gt_u32_e64 s[6:7], s10, v5
	s_and_b64 exec, exec, s[6:7]
	s_cbranch_execz .LBB138_64
; %bb.29:
	v_mul_lo_u32 v5, v5, s14
	s_and_saveexec_b64 s[6:7], vcc
	s_cbranch_execnz .LBB138_68
; %bb.30:
	s_or_b64 exec, exec, s[6:7]
	s_and_saveexec_b64 s[6:7], s[0:1]
	s_cbranch_execnz .LBB138_69
.LBB138_31:
	s_or_b64 exec, exec, s[6:7]
	s_and_saveexec_b64 s[6:7], s[2:3]
	s_cbranch_execnz .LBB138_70
.LBB138_32:
	s_or_b64 exec, exec, s[6:7]
	s_and_saveexec_b64 s[6:7], s[4:5]
	s_cbranch_execz .LBB138_34
.LBB138_33:
	v_cvt_f16_f32_e32 v24, v24
	v_add_u32_e32 v6, v5, v4
	v_mov_b32_e32 v7, 0
	s_waitcnt lgkmcnt(0)
	v_lshl_add_u64 v[6:7], v[6:7], 1, s[12:13]
	global_store_short v[6:7], v24, off
.LBB138_34:
	s_or_b64 exec, exec, s[6:7]
	v_add3_u32 v5, v1, s15, 24
	v_cmp_gt_u32_e64 s[6:7], s10, v5
	s_and_b64 exec, exec, s[6:7]
	s_cbranch_execz .LBB138_64
; %bb.35:
	v_mul_lo_u32 v5, v5, s14
	s_and_saveexec_b64 s[6:7], vcc
	s_cbranch_execnz .LBB138_71
; %bb.36:
	s_or_b64 exec, exec, s[6:7]
	s_and_saveexec_b64 s[6:7], s[0:1]
	s_cbranch_execnz .LBB138_72
.LBB138_37:
	s_or_b64 exec, exec, s[6:7]
	s_and_saveexec_b64 s[6:7], s[2:3]
	s_cbranch_execnz .LBB138_73
.LBB138_38:
	s_or_b64 exec, exec, s[6:7]
	s_and_saveexec_b64 s[6:7], s[4:5]
	s_cbranch_execz .LBB138_40
.LBB138_39:
	v_cvt_f16_f32_e32 v24, v25
	v_add_u32_e32 v6, v5, v4
	v_mov_b32_e32 v7, 0
	s_waitcnt lgkmcnt(0)
	v_lshl_add_u64 v[6:7], v[6:7], 1, s[12:13]
	global_store_short v[6:7], v24, off
.LBB138_40:
	s_or_b64 exec, exec, s[6:7]
	v_add3_u32 v5, v1, s15, 32
	v_cmp_gt_u32_e64 s[6:7], s10, v5
	s_and_b64 exec, exec, s[6:7]
	s_cbranch_execz .LBB138_64
; %bb.41:
	v_mul_lo_u32 v5, v5, s14
	s_and_saveexec_b64 s[6:7], vcc
	s_cbranch_execnz .LBB138_74
; %bb.42:
	s_or_b64 exec, exec, s[6:7]
	s_and_saveexec_b64 s[6:7], s[0:1]
	s_cbranch_execnz .LBB138_75
.LBB138_43:
	s_or_b64 exec, exec, s[6:7]
	s_and_saveexec_b64 s[6:7], s[2:3]
	s_cbranch_execnz .LBB138_76
.LBB138_44:
	s_or_b64 exec, exec, s[6:7]
	s_and_saveexec_b64 s[6:7], s[4:5]
	s_cbranch_execz .LBB138_46
.LBB138_45:
	v_cvt_f16_f32_e32 v16, v16
	v_add_u32_e32 v6, v5, v4
	v_mov_b32_e32 v7, 0
	s_waitcnt lgkmcnt(0)
	v_lshl_add_u64 v[6:7], v[6:7], 1, s[12:13]
	global_store_short v[6:7], v16, off
.LBB138_46:
	s_or_b64 exec, exec, s[6:7]
	v_add3_u32 v5, v1, s15, 40
	v_cmp_gt_u32_e64 s[6:7], s10, v5
	s_and_b64 exec, exec, s[6:7]
	s_cbranch_execz .LBB138_64
; %bb.47:
	v_mul_lo_u32 v5, v5, s14
	s_and_saveexec_b64 s[6:7], vcc
	s_cbranch_execnz .LBB138_77
; %bb.48:
	s_or_b64 exec, exec, s[6:7]
	s_and_saveexec_b64 s[6:7], s[0:1]
	s_cbranch_execnz .LBB138_78
.LBB138_49:
	s_or_b64 exec, exec, s[6:7]
	s_and_saveexec_b64 s[6:7], s[2:3]
	s_cbranch_execnz .LBB138_79
.LBB138_50:
	s_or_b64 exec, exec, s[6:7]
	s_and_saveexec_b64 s[6:7], s[4:5]
	s_cbranch_execz .LBB138_52
.LBB138_51:
	v_cvt_f16_f32_e32 v16, v17
	v_add_u32_e32 v6, v5, v4
	v_mov_b32_e32 v7, 0
	s_waitcnt lgkmcnt(0)
	v_lshl_add_u64 v[6:7], v[6:7], 1, s[12:13]
	global_store_short v[6:7], v16, off
.LBB138_52:
	s_or_b64 exec, exec, s[6:7]
	v_add3_u32 v5, v1, s15, 48
	v_cmp_gt_u32_e64 s[6:7], s10, v5
	s_and_b64 exec, exec, s[6:7]
	s_cbranch_execz .LBB138_64
; %bb.53:
	v_mul_lo_u32 v5, v5, s14
	s_and_saveexec_b64 s[6:7], vcc
	s_cbranch_execnz .LBB138_80
; %bb.54:
	s_or_b64 exec, exec, s[6:7]
	s_and_saveexec_b64 s[6:7], s[0:1]
	s_cbranch_execnz .LBB138_81
.LBB138_55:
	s_or_b64 exec, exec, s[6:7]
	s_and_saveexec_b64 s[6:7], s[2:3]
	s_cbranch_execnz .LBB138_82
.LBB138_56:
	s_or_b64 exec, exec, s[6:7]
	s_and_saveexec_b64 s[6:7], s[4:5]
	s_cbranch_execz .LBB138_58
.LBB138_57:
	v_cvt_f16_f32_e32 v8, v8
	v_add_u32_e32 v6, v5, v4
	v_mov_b32_e32 v7, 0
	s_waitcnt lgkmcnt(0)
	v_lshl_add_u64 v[6:7], v[6:7], 1, s[12:13]
	global_store_short v[6:7], v8, off
.LBB138_58:
	s_or_b64 exec, exec, s[6:7]
	v_add3_u32 v1, v1, s15, 56
	v_cmp_gt_u32_e64 s[6:7], s10, v1
	s_and_b64 exec, exec, s[6:7]
	s_cbranch_execz .LBB138_64
; %bb.59:
	v_mul_lo_u32 v1, v1, s14
	s_and_saveexec_b64 s[6:7], vcc
	s_cbranch_execnz .LBB138_83
; %bb.60:
	s_or_b64 exec, exec, s[6:7]
	s_and_saveexec_b64 s[6:7], s[0:1]
	s_cbranch_execnz .LBB138_84
.LBB138_61:
	s_or_b64 exec, exec, s[6:7]
	s_and_saveexec_b64 s[0:1], s[2:3]
	s_cbranch_execnz .LBB138_85
.LBB138_62:
	s_or_b64 exec, exec, s[0:1]
	s_and_b64 exec, exec, s[4:5]
	s_cbranch_execz .LBB138_64
.LBB138_63:
	v_cvt_f16_f32_e32 v2, v9
	v_add_u32_e32 v0, v1, v4
	v_mov_b32_e32 v1, 0
	s_waitcnt lgkmcnt(0)
	v_lshl_add_u64 v[0:1], v[0:1], 1, s[12:13]
	global_store_short v[0:1], v2, off
.LBB138_64:
	s_endpgm
.LBB138_65:
	v_cvt_f16_f32_e32 v32, v99
	v_add_u32_e32 v6, v5, v0
	v_mov_b32_e32 v7, 0
	s_waitcnt lgkmcnt(0)
	v_lshl_add_u64 v[6:7], v[6:7], 1, s[12:13]
	global_store_short v[6:7], v32, off
	s_or_b64 exec, exec, s[6:7]
	s_and_saveexec_b64 s[6:7], s[0:1]
	s_cbranch_execz .LBB138_25
.LBB138_66:
	v_cvt_f16_f32_e32 v32, v89
	v_add_u32_e32 v6, v5, v2
	v_mov_b32_e32 v7, 0
	s_waitcnt lgkmcnt(0)
	v_lshl_add_u64 v[6:7], v[6:7], 1, s[12:13]
	global_store_short v[6:7], v32, off
	s_or_b64 exec, exec, s[6:7]
	s_and_saveexec_b64 s[6:7], s[2:3]
	s_cbranch_execz .LBB138_26
.LBB138_67:
	v_cvt_f16_f32_e32 v32, v73
	v_add_u32_e32 v6, v5, v3
	v_mov_b32_e32 v7, 0
	s_waitcnt lgkmcnt(0)
	v_lshl_add_u64 v[6:7], v[6:7], 1, s[12:13]
	global_store_short v[6:7], v32, off
	s_or_b64 exec, exec, s[6:7]
	s_and_saveexec_b64 s[6:7], s[4:5]
	s_cbranch_execnz .LBB138_27
	s_branch .LBB138_28
.LBB138_68:
	v_cvt_f16_f32_e32 v30, v30
	v_add_u32_e32 v6, v5, v0
	v_mov_b32_e32 v7, 0
	s_waitcnt lgkmcnt(0)
	v_lshl_add_u64 v[6:7], v[6:7], 1, s[12:13]
	global_store_short v[6:7], v30, off
	s_or_b64 exec, exec, s[6:7]
	s_and_saveexec_b64 s[6:7], s[0:1]
	s_cbranch_execz .LBB138_31
.LBB138_69:
	v_cvt_f16_f32_e32 v28, v28
	v_add_u32_e32 v6, v5, v2
	v_mov_b32_e32 v7, 0
	s_waitcnt lgkmcnt(0)
	v_lshl_add_u64 v[6:7], v[6:7], 1, s[12:13]
	global_store_short v[6:7], v28, off
	s_or_b64 exec, exec, s[6:7]
	s_and_saveexec_b64 s[6:7], s[2:3]
	s_cbranch_execz .LBB138_32
.LBB138_70:
	v_cvt_f16_f32_e32 v26, v26
	v_add_u32_e32 v6, v5, v3
	v_mov_b32_e32 v7, 0
	s_waitcnt lgkmcnt(0)
	v_lshl_add_u64 v[6:7], v[6:7], 1, s[12:13]
	global_store_short v[6:7], v26, off
	s_or_b64 exec, exec, s[6:7]
	s_and_saveexec_b64 s[6:7], s[4:5]
	s_cbranch_execnz .LBB138_33
	s_branch .LBB138_34
.LBB138_71:
	v_cvt_f16_f32_e32 v24, v31
	v_add_u32_e32 v6, v5, v0
	v_mov_b32_e32 v7, 0
	s_waitcnt lgkmcnt(0)
	v_lshl_add_u64 v[6:7], v[6:7], 1, s[12:13]
	global_store_short v[6:7], v24, off
	s_or_b64 exec, exec, s[6:7]
	s_and_saveexec_b64 s[6:7], s[0:1]
	s_cbranch_execz .LBB138_37
.LBB138_72:
	v_cvt_f16_f32_e32 v24, v29
	v_add_u32_e32 v6, v5, v2
	v_mov_b32_e32 v7, 0
	s_waitcnt lgkmcnt(0)
	v_lshl_add_u64 v[6:7], v[6:7], 1, s[12:13]
	global_store_short v[6:7], v24, off
	s_or_b64 exec, exec, s[6:7]
	s_and_saveexec_b64 s[6:7], s[2:3]
	s_cbranch_execz .LBB138_38
.LBB138_73:
	v_cvt_f16_f32_e32 v24, v27
	v_add_u32_e32 v6, v5, v3
	v_mov_b32_e32 v7, 0
	s_waitcnt lgkmcnt(0)
	v_lshl_add_u64 v[6:7], v[6:7], 1, s[12:13]
	global_store_short v[6:7], v24, off
	s_or_b64 exec, exec, s[6:7]
	s_and_saveexec_b64 s[6:7], s[4:5]
	s_cbranch_execnz .LBB138_39
	s_branch .LBB138_40
.LBB138_74:
	v_cvt_f16_f32_e32 v22, v22
	v_add_u32_e32 v6, v5, v0
	v_mov_b32_e32 v7, 0
	s_waitcnt lgkmcnt(0)
	v_lshl_add_u64 v[6:7], v[6:7], 1, s[12:13]
	global_store_short v[6:7], v22, off
	s_or_b64 exec, exec, s[6:7]
	s_and_saveexec_b64 s[6:7], s[0:1]
	s_cbranch_execz .LBB138_43
.LBB138_75:
	v_cvt_f16_f32_e32 v20, v20
	v_add_u32_e32 v6, v5, v2
	v_mov_b32_e32 v7, 0
	s_waitcnt lgkmcnt(0)
	v_lshl_add_u64 v[6:7], v[6:7], 1, s[12:13]
	global_store_short v[6:7], v20, off
	s_or_b64 exec, exec, s[6:7]
	s_and_saveexec_b64 s[6:7], s[2:3]
	s_cbranch_execz .LBB138_44
.LBB138_76:
	v_cvt_f16_f32_e32 v18, v18
	v_add_u32_e32 v6, v5, v3
	v_mov_b32_e32 v7, 0
	s_waitcnt lgkmcnt(0)
	v_lshl_add_u64 v[6:7], v[6:7], 1, s[12:13]
	global_store_short v[6:7], v18, off
	s_or_b64 exec, exec, s[6:7]
	s_and_saveexec_b64 s[6:7], s[4:5]
	s_cbranch_execnz .LBB138_45
	s_branch .LBB138_46
.LBB138_77:
	v_cvt_f16_f32_e32 v16, v23
	v_add_u32_e32 v6, v5, v0
	v_mov_b32_e32 v7, 0
	s_waitcnt lgkmcnt(0)
	v_lshl_add_u64 v[6:7], v[6:7], 1, s[12:13]
	global_store_short v[6:7], v16, off
	s_or_b64 exec, exec, s[6:7]
	s_and_saveexec_b64 s[6:7], s[0:1]
	s_cbranch_execz .LBB138_49
.LBB138_78:
	v_cvt_f16_f32_e32 v16, v21
	v_add_u32_e32 v6, v5, v2
	v_mov_b32_e32 v7, 0
	s_waitcnt lgkmcnt(0)
	v_lshl_add_u64 v[6:7], v[6:7], 1, s[12:13]
	global_store_short v[6:7], v16, off
	s_or_b64 exec, exec, s[6:7]
	s_and_saveexec_b64 s[6:7], s[2:3]
	s_cbranch_execz .LBB138_50
.LBB138_79:
	v_cvt_f16_f32_e32 v16, v19
	v_add_u32_e32 v6, v5, v3
	v_mov_b32_e32 v7, 0
	s_waitcnt lgkmcnt(0)
	v_lshl_add_u64 v[6:7], v[6:7], 1, s[12:13]
	global_store_short v[6:7], v16, off
	s_or_b64 exec, exec, s[6:7]
	s_and_saveexec_b64 s[6:7], s[4:5]
	s_cbranch_execnz .LBB138_51
	s_branch .LBB138_52
.LBB138_80:
	v_cvt_f16_f32_e32 v14, v14
	v_add_u32_e32 v6, v5, v0
	v_mov_b32_e32 v7, 0
	s_waitcnt lgkmcnt(0)
	v_lshl_add_u64 v[6:7], v[6:7], 1, s[12:13]
	global_store_short v[6:7], v14, off
	s_or_b64 exec, exec, s[6:7]
	s_and_saveexec_b64 s[6:7], s[0:1]
	s_cbranch_execz .LBB138_55
.LBB138_81:
	v_cvt_f16_f32_e32 v12, v12
	v_add_u32_e32 v6, v5, v2
	v_mov_b32_e32 v7, 0
	s_waitcnt lgkmcnt(0)
	v_lshl_add_u64 v[6:7], v[6:7], 1, s[12:13]
	global_store_short v[6:7], v12, off
	s_or_b64 exec, exec, s[6:7]
	s_and_saveexec_b64 s[6:7], s[2:3]
	s_cbranch_execz .LBB138_56
.LBB138_82:
	v_cvt_f16_f32_e32 v10, v10
	v_add_u32_e32 v6, v5, v3
	v_mov_b32_e32 v7, 0
	s_waitcnt lgkmcnt(0)
	v_lshl_add_u64 v[6:7], v[6:7], 1, s[12:13]
	global_store_short v[6:7], v10, off
	s_or_b64 exec, exec, s[6:7]
	s_and_saveexec_b64 s[6:7], s[4:5]
	s_cbranch_execnz .LBB138_57
	s_branch .LBB138_58
.LBB138_83:
	v_cvt_f16_f32_e32 v5, v15
	v_add_u32_e32 v6, v1, v0
	v_mov_b32_e32 v7, 0
	s_waitcnt lgkmcnt(0)
	v_lshl_add_u64 v[6:7], v[6:7], 1, s[12:13]
	global_store_short v[6:7], v5, off
	s_or_b64 exec, exec, s[6:7]
	s_and_saveexec_b64 s[6:7], s[0:1]
	s_cbranch_execz .LBB138_61
.LBB138_84:
	v_cvt_f16_f32_e32 v0, v13
	v_add_u32_e32 v6, v1, v2
	v_mov_b32_e32 v7, 0
	s_waitcnt lgkmcnt(0)
	v_lshl_add_u64 v[6:7], v[6:7], 1, s[12:13]
	global_store_short v[6:7], v0, off
	s_or_b64 exec, exec, s[6:7]
	s_and_saveexec_b64 s[0:1], s[2:3]
	s_cbranch_execz .LBB138_62
.LBB138_85:
	v_cvt_f16_f32_e32 v0, v11
	v_add_u32_e32 v2, v1, v3
	v_mov_b32_e32 v3, 0
	s_waitcnt lgkmcnt(0)
	v_lshl_add_u64 v[2:3], v[2:3], 1, s[12:13]
	global_store_short v[2:3], v0, off
	s_or_b64 exec, exec, s[0:1]
	s_and_b64 exec, exec, s[4:5]
	s_cbranch_execnz .LBB138_63
	s_branch .LBB138_64
	.section	.rodata,"a",@progbits
	.p2align	6, 0x0
	.amdhsa_kernel _ZL12mul_mat_q4_0IN3c104HalfELb1EEvPKvS3_PT_iiiii
		.amdhsa_group_segment_fixed_size 30336
		.amdhsa_private_segment_fixed_size 0
		.amdhsa_kernarg_size 44
		.amdhsa_user_sgpr_count 2
		.amdhsa_user_sgpr_dispatch_ptr 0
		.amdhsa_user_sgpr_queue_ptr 0
		.amdhsa_user_sgpr_kernarg_segment_ptr 1
		.amdhsa_user_sgpr_dispatch_id 0
		.amdhsa_user_sgpr_kernarg_preload_length 0
		.amdhsa_user_sgpr_kernarg_preload_offset 0
		.amdhsa_user_sgpr_private_segment_size 0
		.amdhsa_uses_dynamic_stack 0
		.amdhsa_enable_private_segment 0
		.amdhsa_system_sgpr_workgroup_id_x 1
		.amdhsa_system_sgpr_workgroup_id_y 1
		.amdhsa_system_sgpr_workgroup_id_z 0
		.amdhsa_system_sgpr_workgroup_info 0
		.amdhsa_system_vgpr_workitem_id 1
		.amdhsa_next_free_vgpr 176
		.amdhsa_next_free_sgpr 20
		.amdhsa_accum_offset 176
		.amdhsa_reserve_vcc 1
		.amdhsa_float_round_mode_32 0
		.amdhsa_float_round_mode_16_64 0
		.amdhsa_float_denorm_mode_32 3
		.amdhsa_float_denorm_mode_16_64 3
		.amdhsa_dx10_clamp 1
		.amdhsa_ieee_mode 1
		.amdhsa_fp16_overflow 0
		.amdhsa_tg_split 0
		.amdhsa_exception_fp_ieee_invalid_op 0
		.amdhsa_exception_fp_denorm_src 0
		.amdhsa_exception_fp_ieee_div_zero 0
		.amdhsa_exception_fp_ieee_overflow 0
		.amdhsa_exception_fp_ieee_underflow 0
		.amdhsa_exception_fp_ieee_inexact 0
		.amdhsa_exception_int_div_zero 0
	.end_amdhsa_kernel
	.section	.text._ZL12mul_mat_q4_0IN3c104HalfELb1EEvPKvS3_PT_iiiii,"axG",@progbits,_ZL12mul_mat_q4_0IN3c104HalfELb1EEvPKvS3_PT_iiiii,comdat
.Lfunc_end138:
	.size	_ZL12mul_mat_q4_0IN3c104HalfELb1EEvPKvS3_PT_iiiii, .Lfunc_end138-_ZL12mul_mat_q4_0IN3c104HalfELb1EEvPKvS3_PT_iiiii
                                        ; -- End function
	.section	.AMDGPU.csdata,"",@progbits
; Kernel info:
; codeLenInByte = 9800
; NumSgprs: 26
; NumVgprs: 176
; NumAgprs: 0
; TotalNumVgprs: 176
; ScratchSize: 0
; MemoryBound: 0
; FloatMode: 240
; IeeeMode: 1
; LDSByteSize: 30336 bytes/workgroup (compile time only)
; SGPRBlocks: 3
; VGPRBlocks: 21
; NumSGPRsForWavesPerEU: 26
; NumVGPRsForWavesPerEU: 176
; AccumOffset: 176
; Occupancy: 2
; WaveLimiterHint : 0
; COMPUTE_PGM_RSRC2:SCRATCH_EN: 0
; COMPUTE_PGM_RSRC2:USER_SGPR: 2
; COMPUTE_PGM_RSRC2:TRAP_HANDLER: 0
; COMPUTE_PGM_RSRC2:TGID_X_EN: 1
; COMPUTE_PGM_RSRC2:TGID_Y_EN: 1
; COMPUTE_PGM_RSRC2:TGID_Z_EN: 0
; COMPUTE_PGM_RSRC2:TIDIG_COMP_CNT: 1
; COMPUTE_PGM_RSRC3_GFX90A:ACCUM_OFFSET: 43
; COMPUTE_PGM_RSRC3_GFX90A:TG_SPLIT: 0
	.section	.text._ZL12mul_mat_q4_1IN3c104HalfELb0EEvPKvS3_PT_iiiii,"axG",@progbits,_ZL12mul_mat_q4_1IN3c104HalfELb0EEvPKvS3_PT_iiiii,comdat
	.globl	_ZL12mul_mat_q4_1IN3c104HalfELb0EEvPKvS3_PT_iiiii ; -- Begin function _ZL12mul_mat_q4_1IN3c104HalfELb0EEvPKvS3_PT_iiiii
	.p2align	8
	.type	_ZL12mul_mat_q4_1IN3c104HalfELb0EEvPKvS3_PT_iiiii,@function
_ZL12mul_mat_q4_1IN3c104HalfELb0EEvPKvS3_PT_iiiii: ; @_ZL12mul_mat_q4_1IN3c104HalfELb0EEvPKvS3_PT_iiiii
; %bb.0:
	s_load_dword s7, s[0:1], 0x18
	s_load_dwordx4 s[8:11], s[0:1], 0x20
	s_waitcnt lgkmcnt(0)
	s_lshl_b32 s11, s3, 6
	v_bfe_u32 v60, v0, 10, 10
	s_cmp_gt_i32 s7, 31
	s_cbranch_scc1 .LBB139_2
; %bb.1:
	v_bfe_u32 v1, v0, 10, 10
	v_and_b32_e32 v51, 0x3ff, v0
	v_add_u32_e32 v64, s11, v1
	s_mov_b64 s[4:5], 0
	s_mov_b32 s3, 0
	s_branch .LBB139_3
.LBB139_2:
	s_mov_b64 s[4:5], -1
                                        ; implicit-def: $sgpr3
                                        ; implicit-def: $vgpr1
                                        ; implicit-def: $vgpr51
                                        ; implicit-def: $vgpr64
.LBB139_3:
	s_load_dwordx2 s[12:13], s[0:1], 0x10
	s_lshl_b32 s6, s2, 7
	s_andn2_b64 vcc, exec, s[4:5]
	v_mov_b32_e32 v9, s3
	v_mov_b32_e32 v19, s3
	;; [unrolled: 1-line block ×32, first 2 shown]
	s_cbranch_vccnz .LBB139_13
; %bb.4:
	s_ashr_i32 s4, s7, 31
	s_load_dwordx4 s[0:3], s[0:1], 0x0
	s_lshr_b32 s4, s4, 27
	s_ashr_i32 s5, s9, 31
	s_add_i32 s7, s7, s4
	s_lshr_b32 s5, s5, 27
	s_ashr_i32 s4, s7, 5
	s_add_i32 s5, s9, s5
	s_ashr_i32 s9, s5, 5
	s_mul_i32 s5, s4, s6
	s_mul_hi_i32 s14, s5, 20
	s_mul_i32 s5, s5, 20
	s_waitcnt lgkmcnt(0)
	s_add_u32 s0, s0, s5
	s_addc_u32 s1, s1, s14
	v_mul_lo_u32 v12, s4, v60
	s_lshl_b32 s14, s4, 3
	v_add_u32_e32 v14, s14, v12
	v_add_u32_e32 v16, s14, v14
	;; [unrolled: 1-line block ×11, first 2 shown]
	v_and_b32_e32 v51, 0x3ff, v0
	v_add_u32_e32 v36, s14, v34
	v_add_u32_e32 v38, s14, v36
	v_lshrrev_b32_e32 v86, 3, v51
	v_add_u32_e32 v40, s14, v38
	v_and_b32_e32 v44, 7, v51
	v_lshl_add_u32 v0, v60, 2, v86
	v_add_u32_e32 v42, s14, v40
	v_and_b32_e32 v1, 0x7fc, v0
	v_lshlrev_b32_e32 v3, 2, v44
	s_movk_i32 s14, 0x6200
	v_add3_u32 v4, v1, v3, s14
	v_add_u32_e32 v1, 32, v0
	v_mul_lo_u32 v46, s4, v0
	v_lshlrev_b32_e32 v5, 5, v0
	v_and_b32_e32 v6, 0xffc, v1
	v_lshlrev_b32_e32 v7, 5, v1
	v_add_u32_e32 v1, 64, v0
	v_add_u32_e32 v0, 0x60, v0
	v_mov_b32_e32 v11, 0
	v_lshlrev_b32_e32 v2, 2, v51
	s_movk_i32 s16, 0x84
	v_and_b32_e32 v9, 0xffc, v1
	v_lshlrev_b32_e32 v13, 5, v1
	v_and_b32_e32 v1, 0xffc, v0
	v_lshrrev_b32_e32 v8, 2, v51
	v_and_b32_e32 v10, 12, v2
	v_mad_u32_u24 v68, v60, s16, v2
	s_andn2_b32 s7, s7, 31
	v_add3_u32 v6, v6, v3, s14
	v_add3_u32 v9, v9, v3, s14
	;; [unrolled: 1-line block ×3, first 2 shown]
	v_and_b32_e32 v2, 28, v2
	v_mov_b32_e32 v3, v11
	v_add_u32_e32 v48, s7, v46
	v_lshl_add_u64 v[54:55], s[2:3], 0, v[2:3]
	v_lshl_add_u32 v2, v60, 3, v8
	v_add_u32_e32 v50, s7, v48
	v_and_b32_e32 v3, 63, v2
	v_add_u32_e32 v52, s7, v50
	s_add_i32 s7, s8, -1
	v_or_b32_e32 v21, s11, v3
	v_and_b32_e32 v2, 3, v51
	v_min_i32_e32 v21, s7, v21
	v_mad_u64_u32 v[56:57], s[14:15], v21, s9, v[2:3]
	v_lshlrev_b32_e32 v2, 2, v2
	v_add_u32_e32 v64, s11, v60
	v_lshl_or_b32 v2, v3, 4, v2
	v_lshlrev_b32_e32 v17, 5, v0
	v_cvt_f64_i32_e32 v[0:1], s7
	v_add_u32_e32 v89, 0x7280, v2
	v_cvt_f64_u32_e32 v[2:3], v64
	v_min_f64 v[2:3], v[2:3], v[0:1]
	v_cvt_i32_f64_e32 v2, v[2:3]
	v_mul_lo_u32 v90, s9, v2
	v_add_u32_e32 v2, 8, v64
	v_cvt_f64_u32_e32 v[2:3], v2
	v_min_f64 v[2:3], v[2:3], v[0:1]
	v_cvt_i32_f64_e32 v2, v[2:3]
	v_mul_lo_u32 v92, s9, v2
	;; [unrolled: 5-line block ×7, first 2 shown]
	v_add_u32_e32 v2, 56, v64
	v_cvt_f64_u32_e32 v[2:3], v2
	v_min_f64 v[0:1], v[2:3], v[0:1]
	v_and_b32_e32 v19, 31, v51
	v_lshlrev_b32_e32 v21, 7, v60
	v_cvt_i32_f64_e32 v0, v[0:1]
	v_lshl_or_b32 v19, v19, 2, v21
	v_mul_lo_u32 v104, s9, v0
	v_add_u32_e32 v0, 32, v51
	v_add_u32_e32 v1, 64, v51
	v_add_u32_e32 v2, 0x60, v51
	v_add_u32_e32 v91, 0x4200, v19
	v_add_u32_e32 v93, 0x4600, v19
	v_add_u32_e32 v95, 0x4a00, v19
	v_add_u32_e32 v97, 0x4e00, v19
	v_add_u32_e32 v99, 0x5200, v19
	v_add_u32_e32 v101, 0x5600, v19
	v_add_u32_e32 v103, 0x5a00, v19
	v_add_u32_e32 v105, 0x5e00, v19
	v_lshlrev_b32_e32 v3, 5, v51
	v_lshrrev_b32_e32 v107, 3, v0
	v_and_b32_e32 v2, 0x1fc, v2
	v_and_b32_e32 v1, 0x1fc, v1
	;; [unrolled: 1-line block ×4, first 2 shown]
	v_add_u32_e32 v2, v3, v2
	v_add_u32_e32 v1, v3, v1
	;; [unrolled: 1-line block ×4, first 2 shown]
	v_mov_b32_e32 v19, 0x7280
	s_mov_b32 s5, 0
	v_add_u32_e32 v69, 0x420, v68
	v_add_u32_e32 v70, 0x840, v68
	;; [unrolled: 1-line block ×15, first 2 shown]
	v_mul_u32_u24_e32 v106, 0x84, v51
	v_add_u32_e32 v108, 0x6e00, v2
	v_add_u32_e32 v109, 0x6a00, v1
	;; [unrolled: 1-line block ×5, first 2 shown]
	v_lshl_add_u32 v113, v60, 4, v19
	v_add_u32_e32 v114, 0x6e10, v2
	v_add_u32_e32 v115, 0x6a10, v1
	;; [unrolled: 1-line block ×4, first 2 shown]
	v_mad_u32_u24 v118, v51, s16, 64
	v_add_u32_e32 v119, v4, v5
	v_add_u32_e32 v120, v6, v7
	;; [unrolled: 1-line block ×4, first 2 shown]
	v_mov_b32_e32 v88, v11
	v_mov_b32_e32 v67, v11
	;; [unrolled: 1-line block ×32, first 2 shown]
	s_branch .LBB139_6
.LBB139_5:                              ;   in Loop: Header=BB139_6 Depth=1
	s_add_i32 s5, s5, 8
	s_cmp_ge_i32 s5, s4
	s_cbranch_scc1 .LBB139_12
.LBB139_6:                              ; =>This Loop Header: Depth=1
                                        ;     Child Loop BB139_7 Depth 2
                                        ;     Child Loop BB139_10 Depth 2
	s_mul_i32 s9, s5, 20
	s_mul_hi_u32 s7, s5, 20
	s_add_u32 s14, s0, s9
	s_addc_u32 s15, s1, s7
	v_mad_u64_u32 v[0:1], s[16:17], v8, 20, s[14:15]
	v_lshl_add_u64 v[0:1], v[0:1], 0, v[10:11]
	v_lshl_add_u64 v[0:1], v[0:1], 0, 4
	v_mad_u64_u32 v[2:3], s[16:17], v12, 20, v[0:1]
	v_mad_u64_u32 v[4:5], s[16:17], v14, 20, v[0:1]
	;; [unrolled: 1-line block ×8, first 2 shown]
	global_load_dword v132, v[2:3], off
	global_load_dword v133, v[4:5], off
	;; [unrolled: 1-line block ×7, first 2 shown]
                                        ; kill: killed $vgpr128_vgpr129
                                        ; kill: killed $vgpr126_vgpr127
	s_nop 0
	global_load_dword v130, v[130:131], off
	v_mad_u64_u32 v[2:3], s[16:17], v28, 20, v[0:1]
	v_mad_u64_u32 v[4:5], s[16:17], v30, 20, v[0:1]
	;; [unrolled: 1-line block ×8, first 2 shown]
	global_load_dword v131, v[2:3], off
	global_load_dword v139, v[4:5], off
	global_load_dword v140, v[6:7], off
	global_load_dword v141, v[58:59], off
	global_load_dword v142, v[124:125], off
	global_load_dword v143, v[126:127], off
	global_load_dword v144, v[128:129], off
	global_load_dword v145, v[0:1], off
	v_mad_u64_u32 v[0:1], s[14:15], v44, 20, s[14:15]
	v_mad_u64_u32 v[2:3], s[14:15], v46, 20, v[0:1]
	;; [unrolled: 1-line block ×5, first 2 shown]
	v_add_u32_e32 v128, s5, v86
	global_load_dword v146, v[2:3], off
	global_load_dword v147, v[4:5], off
	;; [unrolled: 1-line block ×4, first 2 shown]
	v_add_u32_e32 v0, v128, v90
	v_add_u32_e32 v2, v128, v92
	;; [unrolled: 1-line block ×5, first 2 shown]
	v_mad_i64_i32 v[0:1], s[14:15], v0, 36, v[54:55]
	v_mad_i64_i32 v[2:3], s[14:15], v2, 36, v[54:55]
	;; [unrolled: 1-line block ×5, first 2 shown]
	v_add_u32_e32 v124, v128, v100
	v_add_u32_e32 v126, v128, v102
	;; [unrolled: 1-line block ×3, first 2 shown]
	v_mad_i64_i32 v[124:125], s[14:15], v124, 36, v[54:55]
	v_mad_i64_i32 v[126:127], s[14:15], v126, 36, v[54:55]
	;; [unrolled: 1-line block ×3, first 2 shown]
	global_load_dword v150, v[0:1], off offset:4
	s_nop 0
	global_load_dword v2, v[2:3], off offset:4
	s_nop 0
	;; [unrolled: 2-line block ×3, first 2 shown]
	global_load_dword v4, v[6:7], off offset:4
	global_load_dword v5, v[58:59], off offset:4
	s_nop 0
	global_load_dword v6, v[124:125], off offset:4
	global_load_dword v7, v[126:127], off offset:4
	;; [unrolled: 1-line block ×3, first 2 shown]
	v_add_u32_e32 v123, s5, v56
	v_mad_u64_u32 v[0:1], s[14:15], v123, 36, s[2:3]
	global_load_dword v0, v[0:1], off
	s_mov_b32 s7, -4
	v_mov_b32_e32 v124, v113
	v_mov_b32_e32 v125, v112
	;; [unrolled: 1-line block ×6, first 2 shown]
	s_waitcnt vmcnt(28)
	ds_write_b32 v68, v132
	s_waitcnt vmcnt(27)
	ds_write_b32 v69, v133
	;; [unrolled: 2-line block ×29, first 2 shown]
	v_mov_b32_e32 v130, v108
	s_waitcnt lgkmcnt(0)
	s_barrier
.LBB139_7:                              ;   Parent Loop BB139_6 Depth=1
                                        ; =>  This Inner Loop Header: Depth=2
	ds_read_b128 v[0:3], v125
	ds_read_b128 v[4:7], v125 offset:16
	ds_read2_b32 v[58:59], v124 offset1:32
	ds_read_b32 v131, v127
	ds_read2_b32 v[134:135], v126 offset1:1
	ds_read2_b32 v[138:139], v126 offset0:2 offset1:3
	v_mov_b32_e32 v140, 0
	v_mov_b32_e32 v150, 0
	s_waitcnt lgkmcnt(2)
	v_pk_mul_f16 v141, v58, v131
	s_waitcnt lgkmcnt(1)
	v_and_b32_e32 v132, 0xf0f0f0f, v134
	v_lshrrev_b32_e32 v133, 4, v134
	v_and_b32_e32 v133, 0xf0f0f0f, v133
	v_dot4c_i32_i8_e32 v140, v132, v0
	v_dot4c_i32_i8_e32 v140, v133, v4
	v_and_b32_e32 v134, 0xf0f0f0f, v135
	v_lshrrev_b32_e32 v135, 4, v135
	v_and_b32_e32 v135, 0xf0f0f0f, v135
	v_dot4c_i32_i8_e32 v140, v134, v1
	v_dot4c_i32_i8_e32 v140, v135, v5
	s_waitcnt lgkmcnt(0)
	v_and_b32_e32 v136, 0xf0f0f0f, v138
	v_lshrrev_b32_e32 v137, 4, v138
	v_and_b32_e32 v137, 0xf0f0f0f, v137
	v_dot4c_i32_i8_e32 v140, v136, v2
	v_dot4c_i32_i8_e32 v140, v137, v6
	v_and_b32_e32 v138, 0xf0f0f0f, v139
	v_lshrrev_b32_e32 v139, 4, v139
	v_and_b32_e32 v139, 0xf0f0f0f, v139
	v_dot4c_i32_i8_e32 v140, v138, v3
	v_dot4c_i32_i8_e32 v140, v139, v7
	v_add_u32_e32 v154, 0x2108, v126
	v_mov_b32_e32 v156, 0
	v_mov_b32_e32 v163, 0
	v_cvt_f32_i32_e32 v140, v140
	s_add_i32 s7, s7, 4
	v_add_u32_e32 v127, 4, v127
	s_cmp_lt_u32 s7, 12
	v_fma_mix_f32 v140, v141, v140, v141 op_sel:[0,0,1] op_sel_hi:[1,0,1]
	v_add_u32_e32 v141, 0x1080, v126
	v_add_f32_e32 v88, v88, v140
	ds_read_b32 v140, v128
	ds_read2_b32 v[144:145], v141 offset1:1
	v_add_u32_e32 v128, 4, v128
	s_waitcnt lgkmcnt(0)
	v_and_b32_e32 v141, 0xf0f0f0f, v144
	v_lshrrev_b32_e32 v142, 4, v144
	v_and_b32_e32 v143, 0xf0f0f0f, v145
	v_lshrrev_b32_e32 v144, 4, v145
	v_add_u32_e32 v145, 0x1088, v126
	ds_read2_b32 v[146:147], v145 offset1:1
	v_and_b32_e32 v142, 0xf0f0f0f, v142
	v_dot4c_i32_i8_e32 v150, v141, v0
	v_dot4c_i32_i8_e32 v150, v142, v4
	v_and_b32_e32 v144, 0xf0f0f0f, v144
	v_dot4c_i32_i8_e32 v150, v143, v1
	v_dot4c_i32_i8_e32 v150, v144, v5
	s_waitcnt lgkmcnt(0)
	v_and_b32_e32 v145, 0xf0f0f0f, v146
	v_lshrrev_b32_e32 v146, 4, v146
	v_and_b32_e32 v146, 0xf0f0f0f, v146
	v_dot4c_i32_i8_e32 v150, v145, v2
	v_dot4c_i32_i8_e32 v150, v146, v6
	v_and_b32_e32 v148, 0xf0f0f0f, v147
	v_lshrrev_b32_e32 v147, 4, v147
	v_and_b32_e32 v149, 0xf0f0f0f, v147
	v_dot4c_i32_i8_e32 v150, v148, v3
	v_dot4c_i32_i8_e32 v150, v149, v7
	v_pk_mul_f16 v147, v58, v140
	s_nop 1
	v_cvt_f32_i32_e32 v150, v150
	v_fma_mix_f32 v147, v147, v150, v147 op_sel:[0,0,1] op_sel_hi:[1,0,1]
	s_nop 0
	v_add_f32_e32 v87, v87, v147
	v_add_u32_e32 v150, 0x2100, v126
	ds_read_b32 v147, v129
	ds_read2_b32 v[152:153], v150 offset1:1
	ds_read2_b32 v[158:159], v154 offset1:1
	v_add_u32_e32 v129, 4, v129
	s_waitcnt lgkmcnt(1)
	v_and_b32_e32 v150, 0xf0f0f0f, v152
	v_lshrrev_b32_e32 v151, 4, v152
	v_and_b32_e32 v151, 0xf0f0f0f, v151
	v_dot4c_i32_i8_e32 v156, v150, v0
	v_dot4c_i32_i8_e32 v156, v151, v4
	v_and_b32_e32 v152, 0xf0f0f0f, v153
	v_lshrrev_b32_e32 v153, 4, v153
	v_and_b32_e32 v153, 0xf0f0f0f, v153
	v_dot4c_i32_i8_e32 v156, v152, v1
	v_dot4c_i32_i8_e32 v156, v153, v5
	s_waitcnt lgkmcnt(0)
	v_and_b32_e32 v154, 0xf0f0f0f, v158
	v_lshrrev_b32_e32 v155, 4, v158
	v_and_b32_e32 v155, 0xf0f0f0f, v155
	v_dot4c_i32_i8_e32 v156, v154, v2
	v_dot4c_i32_i8_e32 v156, v155, v6
	v_and_b32_e32 v157, 0xf0f0f0f, v159
	v_lshrrev_b32_e32 v158, 4, v159
	v_and_b32_e32 v158, 0xf0f0f0f, v158
	v_dot4c_i32_i8_e32 v156, v157, v3
	v_dot4c_i32_i8_e32 v156, v158, v7
	v_pk_mul_f16 v159, v58, v147
	s_nop 1
	v_cvt_f32_i32_e32 v156, v156
	v_fma_mix_f32 v156, v159, v156, v159 op_sel:[0,0,1] op_sel_hi:[1,0,1]
	s_nop 0
	v_add_f32_e32 v80, v80, v156
	v_add_u32_e32 v159, 0x3180, v126
	ds_read_b32 v156, v130
	ds_read2_b32 v[160:161], v159 offset1:1
	v_add_u32_e32 v130, 4, v130
	s_waitcnt lgkmcnt(0)
	v_and_b32_e32 v159, 0xf0f0f0f, v160
	v_lshrrev_b32_e32 v160, 4, v160
	v_and_b32_e32 v160, 0xf0f0f0f, v160
	v_dot4c_i32_i8_e32 v163, v159, v0
	v_lshrrev_b32_e32 v0, 4, v161
	v_dot4c_i32_i8_e32 v163, v160, v4
	v_and_b32_e32 v4, 0xf0f0f0f, v161
	v_and_b32_e32 v161, 0xf0f0f0f, v0
	v_add_u32_e32 v0, 0x3188, v126
	v_dot4c_i32_i8_e32 v163, v4, v1
	ds_read2_b32 v[0:1], v0 offset1:1
	v_dot4c_i32_i8_e32 v163, v161, v5
	ds_read_b128 v[164:167], v125 offset:1024
	ds_read_b128 v[168:171], v125 offset:1040
	v_add_u32_e32 v126, 16, v126
	s_waitcnt lgkmcnt(2)
	v_and_b32_e32 v5, 0xf0f0f0f, v0
	v_lshrrev_b32_e32 v0, 4, v0
	v_and_b32_e32 v162, 0xf0f0f0f, v0
	v_dot4c_i32_i8_e32 v163, v5, v2
	v_dot4c_i32_i8_e32 v163, v162, v6
	v_and_b32_e32 v2, 0xf0f0f0f, v1
	v_lshrrev_b32_e32 v0, 4, v1
	v_and_b32_e32 v6, 0xf0f0f0f, v0
	v_dot4c_i32_i8_e32 v163, v2, v3
	v_dot4c_i32_i8_e32 v163, v6, v7
	v_pk_mul_f16 v0, v58, v156
	v_mov_b32_e32 v3, 0
	s_nop 0
	v_cvt_f32_i32_e32 v1, v163
	v_fma_mix_f32 v0, v0, v1, v0 op_sel:[0,0,1] op_sel_hi:[1,0,1]
	s_nop 0
	v_add_f32_e32 v72, v72, v0
	v_mov_b32_e32 v0, 0
	s_waitcnt lgkmcnt(1)
	v_dot4c_i32_i8_e32 v0, v132, v164
	s_waitcnt lgkmcnt(0)
	v_dot4c_i32_i8_e32 v0, v133, v168
	v_dot4c_i32_i8_e32 v0, v134, v165
	v_dot4c_i32_i8_e32 v0, v135, v169
	v_dot4c_i32_i8_e32 v0, v136, v166
	v_dot4c_i32_i8_e32 v0, v137, v170
	v_dot4c_i32_i8_e32 v0, v138, v167
	v_dot4c_i32_i8_e32 v0, v139, v171
	v_pk_mul_f16 v1, v131, v59
	s_nop 1
	v_cvt_f32_i32_e32 v0, v0
	v_fma_mix_f32 v0, v0, v1, v1 op_sel:[0,0,1] op_sel_hi:[0,1,1]
	v_add_f32_e32 v67, v67, v0
	v_mov_b32_e32 v0, 0
	v_dot4c_i32_i8_e32 v0, v141, v164
	v_dot4c_i32_i8_e32 v0, v142, v168
	v_dot4c_i32_i8_e32 v0, v143, v165
	v_dot4c_i32_i8_e32 v0, v144, v169
	v_dot4c_i32_i8_e32 v0, v145, v166
	v_dot4c_i32_i8_e32 v0, v146, v170
	v_dot4c_i32_i8_e32 v0, v148, v167
	v_dot4c_i32_i8_e32 v0, v149, v171
	v_pk_mul_f16 v1, v140, v59
	s_nop 1
	v_cvt_f32_i32_e32 v0, v0
	v_fma_mix_f32 v0, v0, v1, v1 op_sel:[0,0,1] op_sel_hi:[0,1,1]
	v_add_f32_e32 v66, v66, v0
	v_mov_b32_e32 v0, 0
	v_dot4c_i32_i8_e32 v0, v150, v164
	v_dot4c_i32_i8_e32 v0, v151, v168
	v_dot4c_i32_i8_e32 v0, v152, v165
	v_dot4c_i32_i8_e32 v0, v153, v169
	v_dot4c_i32_i8_e32 v0, v154, v166
	v_dot4c_i32_i8_e32 v0, v155, v170
	v_dot4c_i32_i8_e32 v0, v157, v167
	v_dot4c_i32_i8_e32 v0, v158, v171
	v_pk_mul_f16 v1, v147, v59
	s_nop 1
	v_cvt_f32_i32_e32 v0, v0
	v_fma_mix_f32 v0, v0, v1, v1 op_sel:[0,0,1] op_sel_hi:[0,1,1]
	v_add_f32_e32 v65, v65, v0
	v_mov_b32_e32 v0, 0
	v_dot4c_i32_i8_e32 v0, v159, v164
	v_dot4c_i32_i8_e32 v0, v160, v168
	v_dot4c_i32_i8_e32 v0, v4, v165
	;; [unrolled: 1-line block ×7, first 2 shown]
	v_pk_mul_f16 v1, v156, v59
	s_nop 1
	v_cvt_f32_i32_e32 v0, v0
	v_fma_mix_f32 v0, v0, v1, v1 op_sel:[0,0,1] op_sel_hi:[0,1,1]
	v_add_f32_e32 v63, v63, v0
	ds_read_b128 v[164:167], v125 offset:2048
	ds_read_b128 v[168:171], v125 offset:2064
	ds_read2_b32 v[0:1], v124 offset0:64 offset1:96
	s_waitcnt lgkmcnt(2)
	v_dot4c_i32_i8_e32 v3, v132, v164
	s_waitcnt lgkmcnt(1)
	v_dot4c_i32_i8_e32 v3, v133, v168
	v_dot4c_i32_i8_e32 v3, v134, v165
	;; [unrolled: 1-line block ×7, first 2 shown]
	s_waitcnt lgkmcnt(0)
	v_pk_mul_f16 v7, v131, v0
	s_nop 0
	v_cvt_f32_i32_e32 v3, v3
	v_fma_mix_f32 v3, v3, v7, v7 op_sel:[0,0,1] op_sel_hi:[0,1,1]
	v_add_f32_e32 v62, v62, v3
	v_mov_b32_e32 v3, 0
	v_dot4c_i32_i8_e32 v3, v141, v164
	v_dot4c_i32_i8_e32 v3, v142, v168
	;; [unrolled: 1-line block ×8, first 2 shown]
	v_pk_mul_f16 v7, v140, v0
	s_nop 1
	v_cvt_f32_i32_e32 v3, v3
	v_fma_mix_f32 v3, v3, v7, v7 op_sel:[0,0,1] op_sel_hi:[0,1,1]
	v_add_f32_e32 v61, v61, v3
	v_mov_b32_e32 v3, 0
	v_dot4c_i32_i8_e32 v3, v150, v164
	v_dot4c_i32_i8_e32 v3, v151, v168
	;; [unrolled: 1-line block ×8, first 2 shown]
	v_pk_mul_f16 v7, v147, v0
	v_pk_mul_f16 v0, v156, v0
	s_nop 0
	v_cvt_f32_i32_e32 v3, v3
	v_fma_mix_f32 v3, v3, v7, v7 op_sel:[0,0,1] op_sel_hi:[0,1,1]
	v_add_f32_e32 v57, v57, v3
	v_mov_b32_e32 v3, 0
	v_dot4c_i32_i8_e32 v3, v159, v164
	v_dot4c_i32_i8_e32 v3, v160, v168
	;; [unrolled: 1-line block ×8, first 2 shown]
	ds_read_b128 v[164:167], v125 offset:3072
	ds_read_b128 v[168:171], v125 offset:3088
	s_nop 0
	v_cvt_f32_i32_e32 v3, v3
	v_fma_mix_f32 v0, v3, v0, v0 op_sel:[0,0,1] op_sel_hi:[0,1,1]
	v_add_f32_e32 v53, v53, v0
	v_mov_b32_e32 v0, 0
	s_waitcnt lgkmcnt(1)
	v_dot4c_i32_i8_e32 v0, v132, v164
	s_waitcnt lgkmcnt(0)
	v_dot4c_i32_i8_e32 v0, v133, v168
	v_dot4c_i32_i8_e32 v0, v134, v165
	;; [unrolled: 1-line block ×7, first 2 shown]
	v_pk_mul_f16 v3, v131, v1
	s_nop 1
	v_cvt_f32_i32_e32 v0, v0
	v_fma_mix_f32 v0, v0, v3, v3 op_sel:[0,0,1] op_sel_hi:[0,1,1]
	v_add_f32_e32 v49, v49, v0
	v_mov_b32_e32 v0, 0
	v_dot4c_i32_i8_e32 v0, v141, v164
	v_dot4c_i32_i8_e32 v0, v142, v168
	;; [unrolled: 1-line block ×8, first 2 shown]
	v_pk_mul_f16 v3, v140, v1
	s_nop 1
	v_cvt_f32_i32_e32 v0, v0
	v_fma_mix_f32 v0, v0, v3, v3 op_sel:[0,0,1] op_sel_hi:[0,1,1]
	v_add_f32_e32 v47, v47, v0
	v_mov_b32_e32 v0, 0
	v_dot4c_i32_i8_e32 v0, v150, v164
	v_dot4c_i32_i8_e32 v0, v151, v168
	;; [unrolled: 1-line block ×8, first 2 shown]
	v_pk_mul_f16 v3, v147, v1
	v_pk_mul_f16 v1, v156, v1
	s_nop 0
	v_cvt_f32_i32_e32 v0, v0
	v_fma_mix_f32 v0, v0, v3, v3 op_sel:[0,0,1] op_sel_hi:[0,1,1]
	v_add_f32_e32 v45, v45, v0
	v_mov_b32_e32 v0, 0
	v_dot4c_i32_i8_e32 v0, v159, v164
	v_dot4c_i32_i8_e32 v0, v160, v168
	v_dot4c_i32_i8_e32 v0, v4, v165
	v_dot4c_i32_i8_e32 v0, v161, v169
	v_dot4c_i32_i8_e32 v0, v5, v166
	v_dot4c_i32_i8_e32 v0, v162, v170
	v_dot4c_i32_i8_e32 v0, v2, v167
	v_dot4c_i32_i8_e32 v0, v6, v171
	v_mov_b32_e32 v3, 0
	s_nop 1
	v_cvt_f32_i32_e32 v0, v0
	v_fma_mix_f32 v0, v0, v1, v1 op_sel:[0,0,1] op_sel_hi:[0,1,1]
	v_add_f32_e32 v43, v43, v0
	ds_read_b128 v[164:167], v125 offset:4096
	ds_read_b128 v[168:171], v125 offset:4112
	ds_read2_b32 v[0:1], v124 offset0:128 offset1:160
	s_waitcnt lgkmcnt(2)
	v_dot4c_i32_i8_e32 v3, v132, v164
	s_waitcnt lgkmcnt(1)
	v_dot4c_i32_i8_e32 v3, v133, v168
	v_dot4c_i32_i8_e32 v3, v134, v165
	;; [unrolled: 1-line block ×7, first 2 shown]
	s_waitcnt lgkmcnt(0)
	v_pk_mul_f16 v7, v131, v0
	s_nop 0
	v_cvt_f32_i32_e32 v3, v3
	v_fma_mix_f32 v3, v3, v7, v7 op_sel:[0,0,1] op_sel_hi:[0,1,1]
	v_add_f32_e32 v41, v41, v3
	v_mov_b32_e32 v3, 0
	v_dot4c_i32_i8_e32 v3, v141, v164
	v_dot4c_i32_i8_e32 v3, v142, v168
	;; [unrolled: 1-line block ×8, first 2 shown]
	v_pk_mul_f16 v7, v140, v0
	s_nop 1
	v_cvt_f32_i32_e32 v3, v3
	v_fma_mix_f32 v3, v3, v7, v7 op_sel:[0,0,1] op_sel_hi:[0,1,1]
	v_add_f32_e32 v39, v39, v3
	v_mov_b32_e32 v3, 0
	v_dot4c_i32_i8_e32 v3, v150, v164
	v_dot4c_i32_i8_e32 v3, v151, v168
	;; [unrolled: 1-line block ×8, first 2 shown]
	v_pk_mul_f16 v7, v147, v0
	v_pk_mul_f16 v0, v156, v0
	s_nop 0
	v_cvt_f32_i32_e32 v3, v3
	v_fma_mix_f32 v3, v3, v7, v7 op_sel:[0,0,1] op_sel_hi:[0,1,1]
	v_add_f32_e32 v37, v37, v3
	v_mov_b32_e32 v3, 0
	v_dot4c_i32_i8_e32 v3, v159, v164
	v_dot4c_i32_i8_e32 v3, v160, v168
	;; [unrolled: 1-line block ×8, first 2 shown]
	ds_read_b128 v[164:167], v125 offset:5120
	ds_read_b128 v[168:171], v125 offset:5136
	s_nop 0
	v_cvt_f32_i32_e32 v3, v3
	v_fma_mix_f32 v0, v3, v0, v0 op_sel:[0,0,1] op_sel_hi:[0,1,1]
	v_add_f32_e32 v35, v35, v0
	v_mov_b32_e32 v0, 0
	s_waitcnt lgkmcnt(1)
	v_dot4c_i32_i8_e32 v0, v132, v164
	s_waitcnt lgkmcnt(0)
	v_dot4c_i32_i8_e32 v0, v133, v168
	v_dot4c_i32_i8_e32 v0, v134, v165
	;; [unrolled: 1-line block ×7, first 2 shown]
	v_pk_mul_f16 v3, v131, v1
	s_nop 1
	v_cvt_f32_i32_e32 v0, v0
	v_fma_mix_f32 v0, v0, v3, v3 op_sel:[0,0,1] op_sel_hi:[0,1,1]
	v_add_f32_e32 v33, v33, v0
	v_mov_b32_e32 v0, 0
	v_dot4c_i32_i8_e32 v0, v141, v164
	v_dot4c_i32_i8_e32 v0, v142, v168
	;; [unrolled: 1-line block ×8, first 2 shown]
	v_pk_mul_f16 v3, v140, v1
	s_nop 1
	v_cvt_f32_i32_e32 v0, v0
	v_fma_mix_f32 v0, v0, v3, v3 op_sel:[0,0,1] op_sel_hi:[0,1,1]
	v_add_f32_e32 v31, v31, v0
	v_mov_b32_e32 v0, 0
	v_dot4c_i32_i8_e32 v0, v150, v164
	v_dot4c_i32_i8_e32 v0, v151, v168
	;; [unrolled: 1-line block ×8, first 2 shown]
	v_pk_mul_f16 v3, v147, v1
	v_pk_mul_f16 v1, v156, v1
	s_nop 0
	v_cvt_f32_i32_e32 v0, v0
	v_fma_mix_f32 v0, v0, v3, v3 op_sel:[0,0,1] op_sel_hi:[0,1,1]
	v_add_f32_e32 v29, v29, v0
	v_mov_b32_e32 v0, 0
	v_dot4c_i32_i8_e32 v0, v159, v164
	v_dot4c_i32_i8_e32 v0, v160, v168
	;; [unrolled: 1-line block ×8, first 2 shown]
	v_mov_b32_e32 v3, 0
	s_nop 1
	v_cvt_f32_i32_e32 v0, v0
	v_fma_mix_f32 v0, v0, v1, v1 op_sel:[0,0,1] op_sel_hi:[0,1,1]
	v_add_f32_e32 v27, v27, v0
	ds_read_b128 v[164:167], v125 offset:6144
	ds_read_b128 v[168:171], v125 offset:6160
	ds_read2_b32 v[0:1], v124 offset0:192 offset1:224
	v_add_u32_e32 v124, 4, v124
	s_waitcnt lgkmcnt(2)
	v_dot4c_i32_i8_e32 v3, v132, v164
	s_waitcnt lgkmcnt(1)
	v_dot4c_i32_i8_e32 v3, v133, v168
	v_dot4c_i32_i8_e32 v3, v134, v165
	;; [unrolled: 1-line block ×7, first 2 shown]
	s_waitcnt lgkmcnt(0)
	v_pk_mul_f16 v7, v131, v0
	s_nop 0
	v_cvt_f32_i32_e32 v3, v3
	v_fma_mix_f32 v3, v3, v7, v7 op_sel:[0,0,1] op_sel_hi:[0,1,1]
	v_add_f32_e32 v25, v25, v3
	v_mov_b32_e32 v3, 0
	v_dot4c_i32_i8_e32 v3, v141, v164
	v_dot4c_i32_i8_e32 v3, v142, v168
	;; [unrolled: 1-line block ×8, first 2 shown]
	v_pk_mul_f16 v7, v140, v0
	s_nop 1
	v_cvt_f32_i32_e32 v3, v3
	v_fma_mix_f32 v3, v3, v7, v7 op_sel:[0,0,1] op_sel_hi:[0,1,1]
	v_add_f32_e32 v23, v23, v3
	v_mov_b32_e32 v3, 0
	v_dot4c_i32_i8_e32 v3, v150, v164
	v_dot4c_i32_i8_e32 v3, v151, v168
	;; [unrolled: 1-line block ×8, first 2 shown]
	v_pk_mul_f16 v7, v147, v0
	v_pk_mul_f16 v0, v156, v0
	s_nop 0
	v_cvt_f32_i32_e32 v3, v3
	v_fma_mix_f32 v3, v3, v7, v7 op_sel:[0,0,1] op_sel_hi:[0,1,1]
	v_add_f32_e32 v21, v21, v3
	v_mov_b32_e32 v3, 0
	v_dot4c_i32_i8_e32 v3, v159, v164
	v_dot4c_i32_i8_e32 v3, v160, v168
	v_dot4c_i32_i8_e32 v3, v4, v165
	v_dot4c_i32_i8_e32 v3, v161, v169
	v_dot4c_i32_i8_e32 v3, v5, v166
	v_dot4c_i32_i8_e32 v3, v162, v170
	v_dot4c_i32_i8_e32 v3, v2, v167
	v_dot4c_i32_i8_e32 v3, v6, v171
	ds_read_b128 v[164:167], v125 offset:7168
	ds_read_b128 v[168:171], v125 offset:7184
	v_add_u32_e32 v125, 32, v125
	v_cvt_f32_i32_e32 v3, v3
	v_fma_mix_f32 v0, v3, v0, v0 op_sel:[0,0,1] op_sel_hi:[0,1,1]
	v_add_f32_e32 v19, v19, v0
	v_mov_b32_e32 v0, 0
	s_waitcnt lgkmcnt(1)
	v_dot4c_i32_i8_e32 v0, v132, v164
	s_waitcnt lgkmcnt(0)
	v_dot4c_i32_i8_e32 v0, v133, v168
	v_dot4c_i32_i8_e32 v0, v134, v165
	;; [unrolled: 1-line block ×7, first 2 shown]
	v_pk_mul_f16 v3, v131, v1
	s_nop 1
	v_cvt_f32_i32_e32 v0, v0
	v_fma_mix_f32 v0, v0, v3, v3 op_sel:[0,0,1] op_sel_hi:[0,1,1]
	v_add_f32_e32 v17, v17, v0
	v_mov_b32_e32 v0, 0
	v_dot4c_i32_i8_e32 v0, v141, v164
	v_dot4c_i32_i8_e32 v0, v142, v168
	;; [unrolled: 1-line block ×8, first 2 shown]
	v_pk_mul_f16 v3, v140, v1
	s_nop 1
	v_cvt_f32_i32_e32 v0, v0
	v_fma_mix_f32 v0, v0, v3, v3 op_sel:[0,0,1] op_sel_hi:[0,1,1]
	v_add_f32_e32 v15, v15, v0
	v_mov_b32_e32 v0, 0
	v_dot4c_i32_i8_e32 v0, v150, v164
	v_dot4c_i32_i8_e32 v0, v151, v168
	;; [unrolled: 1-line block ×8, first 2 shown]
	v_pk_mul_f16 v3, v147, v1
	v_pk_mul_f16 v1, v156, v1
	s_nop 0
	v_cvt_f32_i32_e32 v0, v0
	v_fma_mix_f32 v0, v0, v3, v3 op_sel:[0,0,1] op_sel_hi:[0,1,1]
	v_add_f32_e32 v13, v13, v0
	v_mov_b32_e32 v0, 0
	v_dot4c_i32_i8_e32 v0, v159, v164
	v_dot4c_i32_i8_e32 v0, v160, v168
	;; [unrolled: 1-line block ×8, first 2 shown]
	s_nop 2
	v_cvt_f32_i32_e32 v0, v0
	v_fma_mix_f32 v0, v0, v1, v1 op_sel:[0,0,1] op_sel_hi:[0,1,1]
	v_add_f32_e32 v9, v9, v0
	s_cbranch_scc1 .LBB139_7
; %bb.8:                                ;   in Loop: Header=BB139_6 Depth=1
	s_or_b32 s7, s5, 4
	s_cmp_ge_i32 s7, s4
	s_barrier
	s_cbranch_scc1 .LBB139_5
; %bb.9:                                ;   in Loop: Header=BB139_6 Depth=1
	v_add_u32_e32 v128, s5, v107
	v_add_u32_e32 v0, v128, v90
	;; [unrolled: 1-line block ×6, first 2 shown]
	v_mad_i64_i32 v[0:1], s[14:15], v0, 36, v[54:55]
	v_mad_i64_i32 v[2:3], s[14:15], v2, 36, v[54:55]
	;; [unrolled: 1-line block ×5, first 2 shown]
	v_add_u32_e32 v124, v128, v100
	v_add_u32_e32 v126, v128, v102
	;; [unrolled: 1-line block ×3, first 2 shown]
	v_mad_i64_i32 v[124:125], s[14:15], v124, 36, v[54:55]
	v_mad_i64_i32 v[126:127], s[14:15], v126, 36, v[54:55]
	;; [unrolled: 1-line block ×3, first 2 shown]
	global_load_dword v130, v[0:1], off offset:4
	s_nop 0
	global_load_dword v2, v[2:3], off offset:4
	s_nop 0
	;; [unrolled: 2-line block ×3, first 2 shown]
	global_load_dword v4, v[6:7], off offset:4
	global_load_dword v5, v[58:59], off offset:4
	s_nop 0
	global_load_dword v6, v[124:125], off offset:4
                                        ; kill: killed $vgpr124_vgpr125
                                        ; kill: killed $vgpr58_vgpr59
	global_load_dword v7, v[126:127], off offset:4
	global_load_dword v58, v[128:129], off offset:4
	v_add_u32_e32 v0, 4, v123
	v_mad_u64_u32 v[0:1], s[14:15], v0, 36, s[2:3]
	global_load_dword v0, v[0:1], off
	s_mov_b32 s7, 12
	v_mov_b32_e32 v123, v113
	v_mov_b32_e32 v124, v112
	;; [unrolled: 1-line block ×7, first 2 shown]
	s_waitcnt vmcnt(8)
	ds_write_b32 v91, v130
	s_waitcnt vmcnt(7)
	ds_write_b32 v93, v2
	;; [unrolled: 2-line block ×9, first 2 shown]
	s_waitcnt lgkmcnt(0)
	s_barrier
.LBB139_10:                             ;   Parent Loop BB139_6 Depth=1
                                        ; =>  This Inner Loop Header: Depth=2
	ds_read_b128 v[0:3], v124
	ds_read_b128 v[4:7], v124 offset:16
	ds_read2_b32 v[58:59], v123 offset1:32
	ds_read_b32 v130, v126
	ds_read2_b32 v[134:135], v125 offset1:1
	ds_read2_b32 v[138:139], v125 offset0:2 offset1:3
	v_mov_b32_e32 v140, 0
	v_add_u32_e32 v144, 0x1088, v125
	v_mov_b32_e32 v146, 0
	s_waitcnt lgkmcnt(1)
	v_and_b32_e32 v131, 0xf0f0f0f, v134
	v_lshrrev_b32_e32 v132, 4, v134
	v_and_b32_e32 v132, 0xf0f0f0f, v132
	v_dot4c_i32_i8_e32 v140, v131, v0
	v_dot4c_i32_i8_e32 v140, v132, v4
	v_and_b32_e32 v133, 0xf0f0f0f, v135
	v_lshrrev_b32_e32 v134, 4, v135
	v_and_b32_e32 v134, 0xf0f0f0f, v134
	v_dot4c_i32_i8_e32 v140, v133, v1
	v_dot4c_i32_i8_e32 v140, v134, v5
	s_waitcnt lgkmcnt(0)
	v_and_b32_e32 v135, 0xf0f0f0f, v138
	v_lshrrev_b32_e32 v136, 4, v138
	v_and_b32_e32 v136, 0xf0f0f0f, v136
	v_dot4c_i32_i8_e32 v140, v135, v2
	v_dot4c_i32_i8_e32 v140, v136, v6
	v_and_b32_e32 v137, 0xf0f0f0f, v139
	v_lshrrev_b32_e32 v138, 4, v139
	v_and_b32_e32 v138, 0xf0f0f0f, v138
	v_dot4c_i32_i8_e32 v140, v137, v3
	v_dot4c_i32_i8_e32 v140, v138, v7
	v_pk_mul_f16 v139, v58, v130
	v_mov_b32_e32 v158, 0
	v_mov_b32_e32 v162, 0
	v_cvt_f32_i32_e32 v140, v140
	s_add_i32 s7, s7, 4
	v_add_u32_e32 v126, 4, v126
	s_cmp_lt_u32 s7, 28
	v_fma_mix_f32 v139, v139, v140, v139 op_sel:[0,0,1] op_sel_hi:[1,0,1]
	v_add_u32_e32 v140, 0x1080, v125
	v_add_f32_e32 v88, v88, v139
	ds_read_b32 v139, v127
	ds_read2_b32 v[142:143], v140 offset1:1
	ds_read2_b32 v[148:149], v144 offset1:1
	v_add_u32_e32 v127, 4, v127
	s_waitcnt lgkmcnt(1)
	v_and_b32_e32 v140, 0xf0f0f0f, v142
	v_lshrrev_b32_e32 v141, 4, v142
	v_and_b32_e32 v141, 0xf0f0f0f, v141
	v_dot4c_i32_i8_e32 v146, v140, v0
	v_dot4c_i32_i8_e32 v146, v141, v4
	v_and_b32_e32 v142, 0xf0f0f0f, v143
	v_lshrrev_b32_e32 v143, 4, v143
	v_and_b32_e32 v143, 0xf0f0f0f, v143
	v_dot4c_i32_i8_e32 v146, v142, v1
	v_dot4c_i32_i8_e32 v146, v143, v5
	s_waitcnt lgkmcnt(0)
	v_and_b32_e32 v144, 0xf0f0f0f, v148
	v_lshrrev_b32_e32 v145, 4, v148
	v_and_b32_e32 v145, 0xf0f0f0f, v145
	v_dot4c_i32_i8_e32 v146, v144, v2
	v_dot4c_i32_i8_e32 v146, v145, v6
	v_and_b32_e32 v147, 0xf0f0f0f, v149
	v_lshrrev_b32_e32 v148, 4, v149
	v_and_b32_e32 v148, 0xf0f0f0f, v148
	v_dot4c_i32_i8_e32 v146, v147, v3
	v_dot4c_i32_i8_e32 v146, v148, v7
	v_pk_mul_f16 v149, v58, v139
	s_nop 1
	v_cvt_f32_i32_e32 v146, v146
	v_fma_mix_f32 v146, v149, v146, v149 op_sel:[0,0,1] op_sel_hi:[1,0,1]
	s_nop 0
	v_add_f32_e32 v87, v87, v146
	v_add_u32_e32 v149, 0x2100, v125
	ds_read_b32 v146, v128
	ds_read2_b32 v[152:153], v149 offset1:1
	v_add_u32_e32 v128, 4, v128
	s_waitcnt lgkmcnt(0)
	v_and_b32_e32 v149, 0xf0f0f0f, v152
	v_lshrrev_b32_e32 v150, 4, v152
	v_and_b32_e32 v151, 0xf0f0f0f, v153
	v_lshrrev_b32_e32 v152, 4, v153
	v_add_u32_e32 v153, 0x2108, v125
	ds_read2_b32 v[154:155], v153 offset1:1
	v_and_b32_e32 v150, 0xf0f0f0f, v150
	v_dot4c_i32_i8_e32 v158, v149, v0
	v_dot4c_i32_i8_e32 v158, v150, v4
	v_and_b32_e32 v152, 0xf0f0f0f, v152
	v_dot4c_i32_i8_e32 v158, v151, v1
	v_dot4c_i32_i8_e32 v158, v152, v5
	s_waitcnt lgkmcnt(0)
	v_and_b32_e32 v153, 0xf0f0f0f, v154
	v_lshrrev_b32_e32 v154, 4, v154
	v_and_b32_e32 v154, 0xf0f0f0f, v154
	v_dot4c_i32_i8_e32 v158, v153, v2
	v_dot4c_i32_i8_e32 v158, v154, v6
	v_and_b32_e32 v156, 0xf0f0f0f, v155
	v_lshrrev_b32_e32 v155, 4, v155
	v_and_b32_e32 v157, 0xf0f0f0f, v155
	v_dot4c_i32_i8_e32 v158, v156, v3
	v_dot4c_i32_i8_e32 v158, v157, v7
	v_pk_mul_f16 v155, v58, v146
	s_nop 1
	v_cvt_f32_i32_e32 v158, v158
	v_fma_mix_f32 v155, v155, v158, v155 op_sel:[0,0,1] op_sel_hi:[1,0,1]
	s_nop 0
	v_add_f32_e32 v80, v80, v155
	v_add_u32_e32 v158, 0x3180, v125
	ds_read_b32 v155, v129
	ds_read2_b32 v[160:161], v158 offset1:1
	v_add_u32_e32 v129, 4, v129
	s_waitcnt lgkmcnt(0)
	v_and_b32_e32 v158, 0xf0f0f0f, v160
	v_lshrrev_b32_e32 v159, 4, v160
	v_and_b32_e32 v159, 0xf0f0f0f, v159
	v_dot4c_i32_i8_e32 v162, v158, v0
	v_lshrrev_b32_e32 v0, 4, v161
	v_dot4c_i32_i8_e32 v162, v159, v4
	v_and_b32_e32 v4, 0xf0f0f0f, v161
	v_and_b32_e32 v160, 0xf0f0f0f, v0
	v_add_u32_e32 v0, 0x3188, v125
	v_dot4c_i32_i8_e32 v162, v4, v1
	ds_read2_b32 v[0:1], v0 offset1:1
	v_dot4c_i32_i8_e32 v162, v160, v5
	v_add_u32_e32 v125, 16, v125
	s_waitcnt lgkmcnt(0)
	v_and_b32_e32 v5, 0xf0f0f0f, v0
	v_lshrrev_b32_e32 v0, 4, v0
	v_and_b32_e32 v161, 0xf0f0f0f, v0
	v_dot4c_i32_i8_e32 v162, v5, v2
	v_dot4c_i32_i8_e32 v162, v161, v6
	v_and_b32_e32 v2, 0xf0f0f0f, v1
	v_lshrrev_b32_e32 v0, 4, v1
	v_and_b32_e32 v6, 0xf0f0f0f, v0
	v_dot4c_i32_i8_e32 v162, v2, v3
	v_dot4c_i32_i8_e32 v162, v6, v7
	v_pk_mul_f16 v0, v58, v155
	v_mov_b32_e32 v3, 0
	s_nop 0
	v_cvt_f32_i32_e32 v1, v162
	ds_read_b128 v[162:165], v124 offset:1024
	ds_read_b128 v[166:169], v124 offset:1040
	v_fma_mix_f32 v0, v0, v1, v0 op_sel:[0,0,1] op_sel_hi:[1,0,1]
	s_nop 0
	v_add_f32_e32 v72, v72, v0
	v_mov_b32_e32 v0, 0
	s_waitcnt lgkmcnt(1)
	v_dot4c_i32_i8_e32 v0, v131, v162
	s_waitcnt lgkmcnt(0)
	v_dot4c_i32_i8_e32 v0, v132, v166
	v_dot4c_i32_i8_e32 v0, v133, v163
	v_dot4c_i32_i8_e32 v0, v134, v167
	v_dot4c_i32_i8_e32 v0, v135, v164
	v_dot4c_i32_i8_e32 v0, v136, v168
	v_dot4c_i32_i8_e32 v0, v137, v165
	v_dot4c_i32_i8_e32 v0, v138, v169
	v_pk_mul_f16 v1, v130, v59
	s_nop 1
	v_cvt_f32_i32_e32 v0, v0
	v_fma_mix_f32 v0, v0, v1, v1 op_sel:[0,0,1] op_sel_hi:[0,1,1]
	v_add_f32_e32 v67, v67, v0
	v_mov_b32_e32 v0, 0
	v_dot4c_i32_i8_e32 v0, v140, v162
	v_dot4c_i32_i8_e32 v0, v141, v166
	v_dot4c_i32_i8_e32 v0, v142, v163
	v_dot4c_i32_i8_e32 v0, v143, v167
	v_dot4c_i32_i8_e32 v0, v144, v164
	v_dot4c_i32_i8_e32 v0, v145, v168
	v_dot4c_i32_i8_e32 v0, v147, v165
	v_dot4c_i32_i8_e32 v0, v148, v169
	v_pk_mul_f16 v1, v139, v59
	s_nop 1
	v_cvt_f32_i32_e32 v0, v0
	v_fma_mix_f32 v0, v0, v1, v1 op_sel:[0,0,1] op_sel_hi:[0,1,1]
	v_add_f32_e32 v66, v66, v0
	v_mov_b32_e32 v0, 0
	v_dot4c_i32_i8_e32 v0, v149, v162
	;; [unrolled: 14-line block ×3, first 2 shown]
	v_dot4c_i32_i8_e32 v0, v159, v166
	v_dot4c_i32_i8_e32 v0, v4, v163
	;; [unrolled: 1-line block ×7, first 2 shown]
	v_pk_mul_f16 v1, v155, v59
	s_nop 1
	v_cvt_f32_i32_e32 v0, v0
	v_fma_mix_f32 v0, v0, v1, v1 op_sel:[0,0,1] op_sel_hi:[0,1,1]
	v_add_f32_e32 v63, v63, v0
	ds_read_b128 v[162:165], v124 offset:2048
	ds_read_b128 v[166:169], v124 offset:2064
	ds_read2_b32 v[0:1], v123 offset0:64 offset1:96
	s_waitcnt lgkmcnt(2)
	v_dot4c_i32_i8_e32 v3, v131, v162
	s_waitcnt lgkmcnt(1)
	v_dot4c_i32_i8_e32 v3, v132, v166
	v_dot4c_i32_i8_e32 v3, v133, v163
	;; [unrolled: 1-line block ×7, first 2 shown]
	s_waitcnt lgkmcnt(0)
	v_pk_mul_f16 v7, v130, v0
	s_nop 0
	v_cvt_f32_i32_e32 v3, v3
	v_fma_mix_f32 v3, v3, v7, v7 op_sel:[0,0,1] op_sel_hi:[0,1,1]
	v_add_f32_e32 v62, v62, v3
	v_mov_b32_e32 v3, 0
	v_dot4c_i32_i8_e32 v3, v140, v162
	v_dot4c_i32_i8_e32 v3, v141, v166
	;; [unrolled: 1-line block ×8, first 2 shown]
	v_pk_mul_f16 v7, v139, v0
	s_nop 1
	v_cvt_f32_i32_e32 v3, v3
	v_fma_mix_f32 v3, v3, v7, v7 op_sel:[0,0,1] op_sel_hi:[0,1,1]
	v_add_f32_e32 v61, v61, v3
	v_mov_b32_e32 v3, 0
	v_dot4c_i32_i8_e32 v3, v149, v162
	v_dot4c_i32_i8_e32 v3, v150, v166
	;; [unrolled: 1-line block ×8, first 2 shown]
	v_pk_mul_f16 v7, v146, v0
	v_pk_mul_f16 v0, v155, v0
	s_nop 0
	v_cvt_f32_i32_e32 v3, v3
	v_fma_mix_f32 v3, v3, v7, v7 op_sel:[0,0,1] op_sel_hi:[0,1,1]
	v_add_f32_e32 v57, v57, v3
	v_mov_b32_e32 v3, 0
	v_dot4c_i32_i8_e32 v3, v158, v162
	v_dot4c_i32_i8_e32 v3, v159, v166
	;; [unrolled: 1-line block ×8, first 2 shown]
	ds_read_b128 v[162:165], v124 offset:3072
	ds_read_b128 v[166:169], v124 offset:3088
	s_nop 0
	v_cvt_f32_i32_e32 v3, v3
	v_fma_mix_f32 v0, v3, v0, v0 op_sel:[0,0,1] op_sel_hi:[0,1,1]
	v_add_f32_e32 v53, v53, v0
	v_mov_b32_e32 v0, 0
	s_waitcnt lgkmcnt(1)
	v_dot4c_i32_i8_e32 v0, v131, v162
	s_waitcnt lgkmcnt(0)
	v_dot4c_i32_i8_e32 v0, v132, v166
	v_dot4c_i32_i8_e32 v0, v133, v163
	;; [unrolled: 1-line block ×7, first 2 shown]
	v_pk_mul_f16 v3, v130, v1
	s_nop 1
	v_cvt_f32_i32_e32 v0, v0
	v_fma_mix_f32 v0, v0, v3, v3 op_sel:[0,0,1] op_sel_hi:[0,1,1]
	v_add_f32_e32 v49, v49, v0
	v_mov_b32_e32 v0, 0
	v_dot4c_i32_i8_e32 v0, v140, v162
	v_dot4c_i32_i8_e32 v0, v141, v166
	;; [unrolled: 1-line block ×8, first 2 shown]
	v_pk_mul_f16 v3, v139, v1
	s_nop 1
	v_cvt_f32_i32_e32 v0, v0
	v_fma_mix_f32 v0, v0, v3, v3 op_sel:[0,0,1] op_sel_hi:[0,1,1]
	v_add_f32_e32 v47, v47, v0
	v_mov_b32_e32 v0, 0
	v_dot4c_i32_i8_e32 v0, v149, v162
	v_dot4c_i32_i8_e32 v0, v150, v166
	;; [unrolled: 1-line block ×8, first 2 shown]
	v_pk_mul_f16 v3, v146, v1
	v_pk_mul_f16 v1, v155, v1
	s_nop 0
	v_cvt_f32_i32_e32 v0, v0
	v_fma_mix_f32 v0, v0, v3, v3 op_sel:[0,0,1] op_sel_hi:[0,1,1]
	v_add_f32_e32 v45, v45, v0
	v_mov_b32_e32 v0, 0
	v_dot4c_i32_i8_e32 v0, v158, v162
	v_dot4c_i32_i8_e32 v0, v159, v166
	;; [unrolled: 1-line block ×8, first 2 shown]
	v_mov_b32_e32 v3, 0
	s_nop 1
	v_cvt_f32_i32_e32 v0, v0
	v_fma_mix_f32 v0, v0, v1, v1 op_sel:[0,0,1] op_sel_hi:[0,1,1]
	v_add_f32_e32 v43, v43, v0
	ds_read_b128 v[162:165], v124 offset:4096
	ds_read_b128 v[166:169], v124 offset:4112
	ds_read2_b32 v[0:1], v123 offset0:128 offset1:160
	s_waitcnt lgkmcnt(2)
	v_dot4c_i32_i8_e32 v3, v131, v162
	s_waitcnt lgkmcnt(1)
	v_dot4c_i32_i8_e32 v3, v132, v166
	v_dot4c_i32_i8_e32 v3, v133, v163
	;; [unrolled: 1-line block ×7, first 2 shown]
	s_waitcnt lgkmcnt(0)
	v_pk_mul_f16 v7, v130, v0
	s_nop 0
	v_cvt_f32_i32_e32 v3, v3
	v_fma_mix_f32 v3, v3, v7, v7 op_sel:[0,0,1] op_sel_hi:[0,1,1]
	v_add_f32_e32 v41, v41, v3
	v_mov_b32_e32 v3, 0
	v_dot4c_i32_i8_e32 v3, v140, v162
	v_dot4c_i32_i8_e32 v3, v141, v166
	;; [unrolled: 1-line block ×8, first 2 shown]
	v_pk_mul_f16 v7, v139, v0
	s_nop 1
	v_cvt_f32_i32_e32 v3, v3
	v_fma_mix_f32 v3, v3, v7, v7 op_sel:[0,0,1] op_sel_hi:[0,1,1]
	v_add_f32_e32 v39, v39, v3
	v_mov_b32_e32 v3, 0
	v_dot4c_i32_i8_e32 v3, v149, v162
	v_dot4c_i32_i8_e32 v3, v150, v166
	;; [unrolled: 1-line block ×8, first 2 shown]
	v_pk_mul_f16 v7, v146, v0
	v_pk_mul_f16 v0, v155, v0
	s_nop 0
	v_cvt_f32_i32_e32 v3, v3
	v_fma_mix_f32 v3, v3, v7, v7 op_sel:[0,0,1] op_sel_hi:[0,1,1]
	v_add_f32_e32 v37, v37, v3
	v_mov_b32_e32 v3, 0
	v_dot4c_i32_i8_e32 v3, v158, v162
	v_dot4c_i32_i8_e32 v3, v159, v166
	;; [unrolled: 1-line block ×8, first 2 shown]
	ds_read_b128 v[162:165], v124 offset:5120
	ds_read_b128 v[166:169], v124 offset:5136
	s_nop 0
	v_cvt_f32_i32_e32 v3, v3
	v_fma_mix_f32 v0, v3, v0, v0 op_sel:[0,0,1] op_sel_hi:[0,1,1]
	v_add_f32_e32 v35, v35, v0
	v_mov_b32_e32 v0, 0
	s_waitcnt lgkmcnt(1)
	v_dot4c_i32_i8_e32 v0, v131, v162
	s_waitcnt lgkmcnt(0)
	v_dot4c_i32_i8_e32 v0, v132, v166
	v_dot4c_i32_i8_e32 v0, v133, v163
	;; [unrolled: 1-line block ×7, first 2 shown]
	v_pk_mul_f16 v3, v130, v1
	s_nop 1
	v_cvt_f32_i32_e32 v0, v0
	v_fma_mix_f32 v0, v0, v3, v3 op_sel:[0,0,1] op_sel_hi:[0,1,1]
	v_add_f32_e32 v33, v33, v0
	v_mov_b32_e32 v0, 0
	v_dot4c_i32_i8_e32 v0, v140, v162
	v_dot4c_i32_i8_e32 v0, v141, v166
	;; [unrolled: 1-line block ×8, first 2 shown]
	v_pk_mul_f16 v3, v139, v1
	s_nop 1
	v_cvt_f32_i32_e32 v0, v0
	v_fma_mix_f32 v0, v0, v3, v3 op_sel:[0,0,1] op_sel_hi:[0,1,1]
	v_add_f32_e32 v31, v31, v0
	v_mov_b32_e32 v0, 0
	v_dot4c_i32_i8_e32 v0, v149, v162
	v_dot4c_i32_i8_e32 v0, v150, v166
	;; [unrolled: 1-line block ×8, first 2 shown]
	v_pk_mul_f16 v3, v146, v1
	v_pk_mul_f16 v1, v155, v1
	s_nop 0
	v_cvt_f32_i32_e32 v0, v0
	v_fma_mix_f32 v0, v0, v3, v3 op_sel:[0,0,1] op_sel_hi:[0,1,1]
	v_add_f32_e32 v29, v29, v0
	v_mov_b32_e32 v0, 0
	v_dot4c_i32_i8_e32 v0, v158, v162
	v_dot4c_i32_i8_e32 v0, v159, v166
	;; [unrolled: 1-line block ×8, first 2 shown]
	v_mov_b32_e32 v3, 0
	s_nop 1
	v_cvt_f32_i32_e32 v0, v0
	v_fma_mix_f32 v0, v0, v1, v1 op_sel:[0,0,1] op_sel_hi:[0,1,1]
	v_add_f32_e32 v27, v27, v0
	ds_read_b128 v[162:165], v124 offset:6144
	ds_read_b128 v[166:169], v124 offset:6160
	ds_read2_b32 v[0:1], v123 offset0:192 offset1:224
	v_add_u32_e32 v123, 4, v123
	s_waitcnt lgkmcnt(2)
	v_dot4c_i32_i8_e32 v3, v131, v162
	s_waitcnt lgkmcnt(1)
	v_dot4c_i32_i8_e32 v3, v132, v166
	v_dot4c_i32_i8_e32 v3, v133, v163
	;; [unrolled: 1-line block ×7, first 2 shown]
	s_waitcnt lgkmcnt(0)
	v_pk_mul_f16 v7, v130, v0
	s_nop 0
	v_cvt_f32_i32_e32 v3, v3
	v_fma_mix_f32 v3, v3, v7, v7 op_sel:[0,0,1] op_sel_hi:[0,1,1]
	v_add_f32_e32 v25, v25, v3
	v_mov_b32_e32 v3, 0
	v_dot4c_i32_i8_e32 v3, v140, v162
	v_dot4c_i32_i8_e32 v3, v141, v166
	v_dot4c_i32_i8_e32 v3, v142, v163
	v_dot4c_i32_i8_e32 v3, v143, v167
	v_dot4c_i32_i8_e32 v3, v144, v164
	v_dot4c_i32_i8_e32 v3, v145, v168
	v_dot4c_i32_i8_e32 v3, v147, v165
	v_dot4c_i32_i8_e32 v3, v148, v169
	v_pk_mul_f16 v7, v139, v0
	s_nop 1
	v_cvt_f32_i32_e32 v3, v3
	v_fma_mix_f32 v3, v3, v7, v7 op_sel:[0,0,1] op_sel_hi:[0,1,1]
	v_add_f32_e32 v23, v23, v3
	v_mov_b32_e32 v3, 0
	v_dot4c_i32_i8_e32 v3, v149, v162
	v_dot4c_i32_i8_e32 v3, v150, v166
	;; [unrolled: 1-line block ×8, first 2 shown]
	v_pk_mul_f16 v7, v146, v0
	v_pk_mul_f16 v0, v155, v0
	s_nop 0
	v_cvt_f32_i32_e32 v3, v3
	v_fma_mix_f32 v3, v3, v7, v7 op_sel:[0,0,1] op_sel_hi:[0,1,1]
	v_add_f32_e32 v21, v21, v3
	v_mov_b32_e32 v3, 0
	v_dot4c_i32_i8_e32 v3, v158, v162
	v_dot4c_i32_i8_e32 v3, v159, v166
	v_dot4c_i32_i8_e32 v3, v4, v163
	v_dot4c_i32_i8_e32 v3, v160, v167
	v_dot4c_i32_i8_e32 v3, v5, v164
	v_dot4c_i32_i8_e32 v3, v161, v168
	v_dot4c_i32_i8_e32 v3, v2, v165
	v_dot4c_i32_i8_e32 v3, v6, v169
	ds_read_b128 v[162:165], v124 offset:7168
	ds_read_b128 v[166:169], v124 offset:7184
	v_add_u32_e32 v124, 32, v124
	v_cvt_f32_i32_e32 v3, v3
	v_fma_mix_f32 v0, v3, v0, v0 op_sel:[0,0,1] op_sel_hi:[0,1,1]
	v_add_f32_e32 v19, v19, v0
	v_mov_b32_e32 v0, 0
	s_waitcnt lgkmcnt(1)
	v_dot4c_i32_i8_e32 v0, v131, v162
	s_waitcnt lgkmcnt(0)
	v_dot4c_i32_i8_e32 v0, v132, v166
	v_dot4c_i32_i8_e32 v0, v133, v163
	;; [unrolled: 1-line block ×7, first 2 shown]
	v_pk_mul_f16 v3, v130, v1
	s_nop 1
	v_cvt_f32_i32_e32 v0, v0
	v_fma_mix_f32 v0, v0, v3, v3 op_sel:[0,0,1] op_sel_hi:[0,1,1]
	v_add_f32_e32 v17, v17, v0
	v_mov_b32_e32 v0, 0
	v_dot4c_i32_i8_e32 v0, v140, v162
	v_dot4c_i32_i8_e32 v0, v141, v166
	;; [unrolled: 1-line block ×8, first 2 shown]
	v_pk_mul_f16 v3, v139, v1
	s_nop 1
	v_cvt_f32_i32_e32 v0, v0
	v_fma_mix_f32 v0, v0, v3, v3 op_sel:[0,0,1] op_sel_hi:[0,1,1]
	v_add_f32_e32 v15, v15, v0
	v_mov_b32_e32 v0, 0
	v_dot4c_i32_i8_e32 v0, v149, v162
	v_dot4c_i32_i8_e32 v0, v150, v166
	;; [unrolled: 1-line block ×8, first 2 shown]
	v_pk_mul_f16 v3, v146, v1
	v_pk_mul_f16 v1, v155, v1
	s_nop 0
	v_cvt_f32_i32_e32 v0, v0
	v_fma_mix_f32 v0, v0, v3, v3 op_sel:[0,0,1] op_sel_hi:[0,1,1]
	v_add_f32_e32 v13, v13, v0
	v_mov_b32_e32 v0, 0
	v_dot4c_i32_i8_e32 v0, v158, v162
	v_dot4c_i32_i8_e32 v0, v159, v166
	;; [unrolled: 1-line block ×8, first 2 shown]
	s_nop 2
	v_cvt_f32_i32_e32 v0, v0
	v_fma_mix_f32 v0, v0, v1, v1 op_sel:[0,0,1] op_sel_hi:[0,1,1]
	v_add_f32_e32 v9, v9, v0
	s_cbranch_scc1 .LBB139_10
; %bb.11:                               ;   in Loop: Header=BB139_6 Depth=1
	s_barrier
	s_branch .LBB139_5
.LBB139_12:
	v_mov_b32_e32 v1, v60
.LBB139_13:
	v_cmp_gt_u32_e32 vcc, s8, v64
	s_and_saveexec_b64 s[0:1], vcc
	s_cbranch_execz .LBB139_64
; %bb.14:
	v_add_u32_e32 v0, s6, v51
	v_mul_lo_u32 v5, v64, s10
	v_cmp_gt_u32_e32 vcc, s10, v0
	s_and_saveexec_b64 s[0:1], vcc
	s_cbranch_execz .LBB139_16
; %bb.15:
	v_cvt_f16_f32_e32 v4, v88
	v_add_u32_e32 v2, v0, v5
	v_mov_b32_e32 v3, 0
	s_waitcnt lgkmcnt(0)
	v_lshl_add_u64 v[2:3], v[2:3], 1, s[12:13]
	global_store_short v[2:3], v4, off
.LBB139_16:
	s_or_b64 exec, exec, s[0:1]
	v_add_u32_e32 v2, 32, v0
	v_cmp_gt_u32_e64 s[0:1], s10, v2
	s_and_saveexec_b64 s[2:3], s[0:1]
	s_cbranch_execz .LBB139_18
; %bb.17:
	v_cvt_f16_f32_e32 v3, v87
	v_add_u32_e32 v6, v2, v5
	v_mov_b32_e32 v7, 0
	s_waitcnt lgkmcnt(0)
	v_lshl_add_u64 v[6:7], v[6:7], 1, s[12:13]
	global_store_short v[6:7], v3, off
.LBB139_18:
	s_or_b64 exec, exec, s[2:3]
	v_add_u32_e32 v3, 64, v0
	v_cmp_gt_u32_e64 s[2:3], s10, v3
	s_and_saveexec_b64 s[4:5], s[2:3]
	;; [unrolled: 13-line block ×3, first 2 shown]
	s_cbranch_execz .LBB139_22
; %bb.21:
	v_cvt_f16_f32_e32 v8, v72
	v_add_u32_e32 v6, v4, v5
	v_mov_b32_e32 v7, 0
	s_waitcnt lgkmcnt(0)
	v_lshl_add_u64 v[6:7], v[6:7], 1, s[12:13]
	global_store_short v[6:7], v8, off
.LBB139_22:
	s_or_b64 exec, exec, s[6:7]
	v_add3_u32 v5, v1, s11, 8
	v_cmp_gt_u32_e64 s[6:7], s8, v5
	s_and_b64 exec, exec, s[6:7]
	s_cbranch_execz .LBB139_64
; %bb.23:
	v_mul_lo_u32 v5, v5, s10
	s_and_saveexec_b64 s[6:7], vcc
	s_cbranch_execnz .LBB139_65
; %bb.24:
	s_or_b64 exec, exec, s[6:7]
	s_and_saveexec_b64 s[6:7], s[0:1]
	s_cbranch_execnz .LBB139_66
.LBB139_25:
	s_or_b64 exec, exec, s[6:7]
	s_and_saveexec_b64 s[6:7], s[2:3]
	s_cbranch_execnz .LBB139_67
.LBB139_26:
	s_or_b64 exec, exec, s[6:7]
	s_and_saveexec_b64 s[6:7], s[4:5]
	s_cbranch_execz .LBB139_28
.LBB139_27:
	v_cvt_f16_f32_e32 v8, v63
	v_add_u32_e32 v6, v5, v4
	v_mov_b32_e32 v7, 0
	s_waitcnt lgkmcnt(0)
	v_lshl_add_u64 v[6:7], v[6:7], 1, s[12:13]
	global_store_short v[6:7], v8, off
.LBB139_28:
	s_or_b64 exec, exec, s[6:7]
	v_add3_u32 v5, v1, s11, 16
	v_cmp_gt_u32_e64 s[6:7], s8, v5
	s_and_b64 exec, exec, s[6:7]
	s_cbranch_execz .LBB139_64
; %bb.29:
	v_mul_lo_u32 v5, v5, s10
	s_and_saveexec_b64 s[6:7], vcc
	s_cbranch_execnz .LBB139_68
; %bb.30:
	s_or_b64 exec, exec, s[6:7]
	s_and_saveexec_b64 s[6:7], s[0:1]
	s_cbranch_execnz .LBB139_69
.LBB139_31:
	s_or_b64 exec, exec, s[6:7]
	s_and_saveexec_b64 s[6:7], s[2:3]
	s_cbranch_execnz .LBB139_70
.LBB139_32:
	s_or_b64 exec, exec, s[6:7]
	s_and_saveexec_b64 s[6:7], s[4:5]
	s_cbranch_execz .LBB139_34
.LBB139_33:
	v_cvt_f16_f32_e32 v8, v53
	v_add_u32_e32 v6, v5, v4
	v_mov_b32_e32 v7, 0
	s_waitcnt lgkmcnt(0)
	v_lshl_add_u64 v[6:7], v[6:7], 1, s[12:13]
	global_store_short v[6:7], v8, off
.LBB139_34:
	s_or_b64 exec, exec, s[6:7]
	v_add3_u32 v5, v1, s11, 24
	v_cmp_gt_u32_e64 s[6:7], s8, v5
	s_and_b64 exec, exec, s[6:7]
	s_cbranch_execz .LBB139_64
; %bb.35:
	v_mul_lo_u32 v5, v5, s10
	s_and_saveexec_b64 s[6:7], vcc
	s_cbranch_execnz .LBB139_71
; %bb.36:
	s_or_b64 exec, exec, s[6:7]
	s_and_saveexec_b64 s[6:7], s[0:1]
	s_cbranch_execnz .LBB139_72
.LBB139_37:
	s_or_b64 exec, exec, s[6:7]
	s_and_saveexec_b64 s[6:7], s[2:3]
	s_cbranch_execnz .LBB139_73
.LBB139_38:
	s_or_b64 exec, exec, s[6:7]
	s_and_saveexec_b64 s[6:7], s[4:5]
	s_cbranch_execz .LBB139_40
.LBB139_39:
	v_cvt_f16_f32_e32 v8, v43
	v_add_u32_e32 v6, v5, v4
	v_mov_b32_e32 v7, 0
	s_waitcnt lgkmcnt(0)
	v_lshl_add_u64 v[6:7], v[6:7], 1, s[12:13]
	global_store_short v[6:7], v8, off
.LBB139_40:
	s_or_b64 exec, exec, s[6:7]
	v_add3_u32 v5, v1, s11, 32
	v_cmp_gt_u32_e64 s[6:7], s8, v5
	s_and_b64 exec, exec, s[6:7]
	s_cbranch_execz .LBB139_64
; %bb.41:
	v_mul_lo_u32 v5, v5, s10
	s_and_saveexec_b64 s[6:7], vcc
	s_cbranch_execnz .LBB139_74
; %bb.42:
	s_or_b64 exec, exec, s[6:7]
	s_and_saveexec_b64 s[6:7], s[0:1]
	s_cbranch_execnz .LBB139_75
.LBB139_43:
	s_or_b64 exec, exec, s[6:7]
	s_and_saveexec_b64 s[6:7], s[2:3]
	s_cbranch_execnz .LBB139_76
.LBB139_44:
	s_or_b64 exec, exec, s[6:7]
	s_and_saveexec_b64 s[6:7], s[4:5]
	s_cbranch_execz .LBB139_46
.LBB139_45:
	v_cvt_f16_f32_e32 v8, v35
	v_add_u32_e32 v6, v5, v4
	v_mov_b32_e32 v7, 0
	s_waitcnt lgkmcnt(0)
	v_lshl_add_u64 v[6:7], v[6:7], 1, s[12:13]
	global_store_short v[6:7], v8, off
.LBB139_46:
	s_or_b64 exec, exec, s[6:7]
	v_add3_u32 v5, v1, s11, 40
	v_cmp_gt_u32_e64 s[6:7], s8, v5
	s_and_b64 exec, exec, s[6:7]
	s_cbranch_execz .LBB139_64
; %bb.47:
	v_mul_lo_u32 v5, v5, s10
	s_and_saveexec_b64 s[6:7], vcc
	s_cbranch_execnz .LBB139_77
; %bb.48:
	s_or_b64 exec, exec, s[6:7]
	s_and_saveexec_b64 s[6:7], s[0:1]
	s_cbranch_execnz .LBB139_78
.LBB139_49:
	s_or_b64 exec, exec, s[6:7]
	s_and_saveexec_b64 s[6:7], s[2:3]
	s_cbranch_execnz .LBB139_79
.LBB139_50:
	s_or_b64 exec, exec, s[6:7]
	s_and_saveexec_b64 s[6:7], s[4:5]
	s_cbranch_execz .LBB139_52
.LBB139_51:
	v_cvt_f16_f32_e32 v8, v27
	v_add_u32_e32 v6, v5, v4
	v_mov_b32_e32 v7, 0
	s_waitcnt lgkmcnt(0)
	v_lshl_add_u64 v[6:7], v[6:7], 1, s[12:13]
	global_store_short v[6:7], v8, off
.LBB139_52:
	s_or_b64 exec, exec, s[6:7]
	v_add3_u32 v5, v1, s11, 48
	v_cmp_gt_u32_e64 s[6:7], s8, v5
	s_and_b64 exec, exec, s[6:7]
	s_cbranch_execz .LBB139_64
; %bb.53:
	v_mul_lo_u32 v5, v5, s10
	s_and_saveexec_b64 s[6:7], vcc
	s_cbranch_execnz .LBB139_80
; %bb.54:
	s_or_b64 exec, exec, s[6:7]
	s_and_saveexec_b64 s[6:7], s[0:1]
	s_cbranch_execnz .LBB139_81
.LBB139_55:
	s_or_b64 exec, exec, s[6:7]
	s_and_saveexec_b64 s[6:7], s[2:3]
	s_cbranch_execnz .LBB139_82
.LBB139_56:
	s_or_b64 exec, exec, s[6:7]
	s_and_saveexec_b64 s[6:7], s[4:5]
	s_cbranch_execz .LBB139_58
.LBB139_57:
	v_cvt_f16_f32_e32 v8, v19
	v_add_u32_e32 v6, v5, v4
	v_mov_b32_e32 v7, 0
	s_waitcnt lgkmcnt(0)
	v_lshl_add_u64 v[6:7], v[6:7], 1, s[12:13]
	global_store_short v[6:7], v8, off
.LBB139_58:
	s_or_b64 exec, exec, s[6:7]
	v_add3_u32 v1, v1, s11, 56
	v_cmp_gt_u32_e64 s[6:7], s8, v1
	s_and_b64 exec, exec, s[6:7]
	s_cbranch_execz .LBB139_64
; %bb.59:
	v_mul_lo_u32 v1, v1, s10
	s_and_saveexec_b64 s[6:7], vcc
	s_cbranch_execnz .LBB139_83
; %bb.60:
	s_or_b64 exec, exec, s[6:7]
	s_and_saveexec_b64 s[6:7], s[0:1]
	s_cbranch_execnz .LBB139_84
.LBB139_61:
	s_or_b64 exec, exec, s[6:7]
	s_and_saveexec_b64 s[0:1], s[2:3]
	s_cbranch_execnz .LBB139_85
.LBB139_62:
	s_or_b64 exec, exec, s[0:1]
	s_and_b64 exec, exec, s[4:5]
	s_cbranch_execz .LBB139_64
.LBB139_63:
	v_cvt_f16_f32_e32 v2, v9
	v_add_u32_e32 v0, v1, v4
	v_mov_b32_e32 v1, 0
	s_waitcnt lgkmcnt(0)
	v_lshl_add_u64 v[0:1], v[0:1], 1, s[12:13]
	global_store_short v[0:1], v2, off
.LBB139_64:
	s_endpgm
.LBB139_65:
	v_cvt_f16_f32_e32 v8, v67
	v_add_u32_e32 v6, v5, v0
	v_mov_b32_e32 v7, 0
	s_waitcnt lgkmcnt(0)
	v_lshl_add_u64 v[6:7], v[6:7], 1, s[12:13]
	global_store_short v[6:7], v8, off
	s_or_b64 exec, exec, s[6:7]
	s_and_saveexec_b64 s[6:7], s[0:1]
	s_cbranch_execz .LBB139_25
.LBB139_66:
	v_cvt_f16_f32_e32 v8, v66
	v_add_u32_e32 v6, v5, v2
	v_mov_b32_e32 v7, 0
	s_waitcnt lgkmcnt(0)
	v_lshl_add_u64 v[6:7], v[6:7], 1, s[12:13]
	global_store_short v[6:7], v8, off
	s_or_b64 exec, exec, s[6:7]
	s_and_saveexec_b64 s[6:7], s[2:3]
	s_cbranch_execz .LBB139_26
.LBB139_67:
	v_cvt_f16_f32_e32 v8, v65
	v_add_u32_e32 v6, v5, v3
	v_mov_b32_e32 v7, 0
	s_waitcnt lgkmcnt(0)
	v_lshl_add_u64 v[6:7], v[6:7], 1, s[12:13]
	global_store_short v[6:7], v8, off
	s_or_b64 exec, exec, s[6:7]
	s_and_saveexec_b64 s[6:7], s[4:5]
	s_cbranch_execnz .LBB139_27
	s_branch .LBB139_28
.LBB139_68:
	v_cvt_f16_f32_e32 v8, v62
	v_add_u32_e32 v6, v5, v0
	v_mov_b32_e32 v7, 0
	s_waitcnt lgkmcnt(0)
	v_lshl_add_u64 v[6:7], v[6:7], 1, s[12:13]
	global_store_short v[6:7], v8, off
	s_or_b64 exec, exec, s[6:7]
	s_and_saveexec_b64 s[6:7], s[0:1]
	s_cbranch_execz .LBB139_31
.LBB139_69:
	v_cvt_f16_f32_e32 v8, v61
	v_add_u32_e32 v6, v5, v2
	v_mov_b32_e32 v7, 0
	s_waitcnt lgkmcnt(0)
	v_lshl_add_u64 v[6:7], v[6:7], 1, s[12:13]
	global_store_short v[6:7], v8, off
	s_or_b64 exec, exec, s[6:7]
	s_and_saveexec_b64 s[6:7], s[2:3]
	s_cbranch_execz .LBB139_32
.LBB139_70:
	v_cvt_f16_f32_e32 v8, v57
	v_add_u32_e32 v6, v5, v3
	v_mov_b32_e32 v7, 0
	s_waitcnt lgkmcnt(0)
	v_lshl_add_u64 v[6:7], v[6:7], 1, s[12:13]
	global_store_short v[6:7], v8, off
	s_or_b64 exec, exec, s[6:7]
	s_and_saveexec_b64 s[6:7], s[4:5]
	s_cbranch_execnz .LBB139_33
	s_branch .LBB139_34
.LBB139_71:
	v_cvt_f16_f32_e32 v8, v49
	v_add_u32_e32 v6, v5, v0
	v_mov_b32_e32 v7, 0
	s_waitcnt lgkmcnt(0)
	v_lshl_add_u64 v[6:7], v[6:7], 1, s[12:13]
	global_store_short v[6:7], v8, off
	s_or_b64 exec, exec, s[6:7]
	s_and_saveexec_b64 s[6:7], s[0:1]
	s_cbranch_execz .LBB139_37
.LBB139_72:
	v_cvt_f16_f32_e32 v8, v47
	v_add_u32_e32 v6, v5, v2
	v_mov_b32_e32 v7, 0
	s_waitcnt lgkmcnt(0)
	v_lshl_add_u64 v[6:7], v[6:7], 1, s[12:13]
	global_store_short v[6:7], v8, off
	s_or_b64 exec, exec, s[6:7]
	s_and_saveexec_b64 s[6:7], s[2:3]
	s_cbranch_execz .LBB139_38
.LBB139_73:
	v_cvt_f16_f32_e32 v8, v45
	v_add_u32_e32 v6, v5, v3
	v_mov_b32_e32 v7, 0
	s_waitcnt lgkmcnt(0)
	v_lshl_add_u64 v[6:7], v[6:7], 1, s[12:13]
	global_store_short v[6:7], v8, off
	s_or_b64 exec, exec, s[6:7]
	s_and_saveexec_b64 s[6:7], s[4:5]
	s_cbranch_execnz .LBB139_39
	s_branch .LBB139_40
.LBB139_74:
	v_cvt_f16_f32_e32 v8, v41
	v_add_u32_e32 v6, v5, v0
	v_mov_b32_e32 v7, 0
	s_waitcnt lgkmcnt(0)
	v_lshl_add_u64 v[6:7], v[6:7], 1, s[12:13]
	global_store_short v[6:7], v8, off
	s_or_b64 exec, exec, s[6:7]
	s_and_saveexec_b64 s[6:7], s[0:1]
	s_cbranch_execz .LBB139_43
.LBB139_75:
	v_cvt_f16_f32_e32 v8, v39
	v_add_u32_e32 v6, v5, v2
	v_mov_b32_e32 v7, 0
	s_waitcnt lgkmcnt(0)
	v_lshl_add_u64 v[6:7], v[6:7], 1, s[12:13]
	global_store_short v[6:7], v8, off
	s_or_b64 exec, exec, s[6:7]
	s_and_saveexec_b64 s[6:7], s[2:3]
	s_cbranch_execz .LBB139_44
.LBB139_76:
	v_cvt_f16_f32_e32 v8, v37
	v_add_u32_e32 v6, v5, v3
	v_mov_b32_e32 v7, 0
	s_waitcnt lgkmcnt(0)
	v_lshl_add_u64 v[6:7], v[6:7], 1, s[12:13]
	global_store_short v[6:7], v8, off
	s_or_b64 exec, exec, s[6:7]
	s_and_saveexec_b64 s[6:7], s[4:5]
	s_cbranch_execnz .LBB139_45
	s_branch .LBB139_46
.LBB139_77:
	v_cvt_f16_f32_e32 v8, v33
	v_add_u32_e32 v6, v5, v0
	v_mov_b32_e32 v7, 0
	s_waitcnt lgkmcnt(0)
	v_lshl_add_u64 v[6:7], v[6:7], 1, s[12:13]
	global_store_short v[6:7], v8, off
	s_or_b64 exec, exec, s[6:7]
	s_and_saveexec_b64 s[6:7], s[0:1]
	s_cbranch_execz .LBB139_49
.LBB139_78:
	v_cvt_f16_f32_e32 v8, v31
	v_add_u32_e32 v6, v5, v2
	v_mov_b32_e32 v7, 0
	s_waitcnt lgkmcnt(0)
	v_lshl_add_u64 v[6:7], v[6:7], 1, s[12:13]
	global_store_short v[6:7], v8, off
	s_or_b64 exec, exec, s[6:7]
	s_and_saveexec_b64 s[6:7], s[2:3]
	s_cbranch_execz .LBB139_50
.LBB139_79:
	v_cvt_f16_f32_e32 v8, v29
	v_add_u32_e32 v6, v5, v3
	v_mov_b32_e32 v7, 0
	s_waitcnt lgkmcnt(0)
	v_lshl_add_u64 v[6:7], v[6:7], 1, s[12:13]
	global_store_short v[6:7], v8, off
	s_or_b64 exec, exec, s[6:7]
	s_and_saveexec_b64 s[6:7], s[4:5]
	s_cbranch_execnz .LBB139_51
	s_branch .LBB139_52
.LBB139_80:
	v_cvt_f16_f32_e32 v8, v25
	v_add_u32_e32 v6, v5, v0
	v_mov_b32_e32 v7, 0
	s_waitcnt lgkmcnt(0)
	v_lshl_add_u64 v[6:7], v[6:7], 1, s[12:13]
	global_store_short v[6:7], v8, off
	s_or_b64 exec, exec, s[6:7]
	s_and_saveexec_b64 s[6:7], s[0:1]
	s_cbranch_execz .LBB139_55
.LBB139_81:
	v_cvt_f16_f32_e32 v8, v23
	v_add_u32_e32 v6, v5, v2
	v_mov_b32_e32 v7, 0
	s_waitcnt lgkmcnt(0)
	v_lshl_add_u64 v[6:7], v[6:7], 1, s[12:13]
	global_store_short v[6:7], v8, off
	s_or_b64 exec, exec, s[6:7]
	s_and_saveexec_b64 s[6:7], s[2:3]
	s_cbranch_execz .LBB139_56
.LBB139_82:
	v_cvt_f16_f32_e32 v8, v21
	v_add_u32_e32 v6, v5, v3
	v_mov_b32_e32 v7, 0
	s_waitcnt lgkmcnt(0)
	v_lshl_add_u64 v[6:7], v[6:7], 1, s[12:13]
	global_store_short v[6:7], v8, off
	s_or_b64 exec, exec, s[6:7]
	s_and_saveexec_b64 s[6:7], s[4:5]
	s_cbranch_execnz .LBB139_57
	s_branch .LBB139_58
.LBB139_83:
	v_cvt_f16_f32_e32 v5, v17
	v_add_u32_e32 v6, v1, v0
	v_mov_b32_e32 v7, 0
	s_waitcnt lgkmcnt(0)
	v_lshl_add_u64 v[6:7], v[6:7], 1, s[12:13]
	global_store_short v[6:7], v5, off
	s_or_b64 exec, exec, s[6:7]
	s_and_saveexec_b64 s[6:7], s[0:1]
	s_cbranch_execz .LBB139_61
.LBB139_84:
	v_cvt_f16_f32_e32 v0, v15
	v_add_u32_e32 v6, v1, v2
	v_mov_b32_e32 v7, 0
	s_waitcnt lgkmcnt(0)
	v_lshl_add_u64 v[6:7], v[6:7], 1, s[12:13]
	global_store_short v[6:7], v0, off
	s_or_b64 exec, exec, s[6:7]
	s_and_saveexec_b64 s[0:1], s[2:3]
	s_cbranch_execz .LBB139_62
.LBB139_85:
	v_cvt_f16_f32_e32 v0, v13
	v_add_u32_e32 v2, v1, v3
	v_mov_b32_e32 v3, 0
	s_waitcnt lgkmcnt(0)
	v_lshl_add_u64 v[2:3], v[2:3], 1, s[12:13]
	global_store_short v[2:3], v0, off
	s_or_b64 exec, exec, s[0:1]
	s_and_b64 exec, exec, s[4:5]
	s_cbranch_execnz .LBB139_63
	s_branch .LBB139_64
	.section	.rodata,"a",@progbits
	.p2align	6, 0x0
	.amdhsa_kernel _ZL12mul_mat_q4_1IN3c104HalfELb0EEvPKvS3_PT_iiiii
		.amdhsa_group_segment_fixed_size 30336
		.amdhsa_private_segment_fixed_size 0
		.amdhsa_kernarg_size 44
		.amdhsa_user_sgpr_count 2
		.amdhsa_user_sgpr_dispatch_ptr 0
		.amdhsa_user_sgpr_queue_ptr 0
		.amdhsa_user_sgpr_kernarg_segment_ptr 1
		.amdhsa_user_sgpr_dispatch_id 0
		.amdhsa_user_sgpr_kernarg_preload_length 0
		.amdhsa_user_sgpr_kernarg_preload_offset 0
		.amdhsa_user_sgpr_private_segment_size 0
		.amdhsa_uses_dynamic_stack 0
		.amdhsa_enable_private_segment 0
		.amdhsa_system_sgpr_workgroup_id_x 1
		.amdhsa_system_sgpr_workgroup_id_y 1
		.amdhsa_system_sgpr_workgroup_id_z 0
		.amdhsa_system_sgpr_workgroup_info 0
		.amdhsa_system_vgpr_workitem_id 1
		.amdhsa_next_free_vgpr 172
		.amdhsa_next_free_sgpr 18
		.amdhsa_accum_offset 172
		.amdhsa_reserve_vcc 1
		.amdhsa_float_round_mode_32 0
		.amdhsa_float_round_mode_16_64 0
		.amdhsa_float_denorm_mode_32 3
		.amdhsa_float_denorm_mode_16_64 3
		.amdhsa_dx10_clamp 1
		.amdhsa_ieee_mode 1
		.amdhsa_fp16_overflow 0
		.amdhsa_tg_split 0
		.amdhsa_exception_fp_ieee_invalid_op 0
		.amdhsa_exception_fp_denorm_src 0
		.amdhsa_exception_fp_ieee_div_zero 0
		.amdhsa_exception_fp_ieee_overflow 0
		.amdhsa_exception_fp_ieee_underflow 0
		.amdhsa_exception_fp_ieee_inexact 0
		.amdhsa_exception_int_div_zero 0
	.end_amdhsa_kernel
	.section	.text._ZL12mul_mat_q4_1IN3c104HalfELb0EEvPKvS3_PT_iiiii,"axG",@progbits,_ZL12mul_mat_q4_1IN3c104HalfELb0EEvPKvS3_PT_iiiii,comdat
.Lfunc_end139:
	.size	_ZL12mul_mat_q4_1IN3c104HalfELb0EEvPKvS3_PT_iiiii, .Lfunc_end139-_ZL12mul_mat_q4_1IN3c104HalfELb0EEvPKvS3_PT_iiiii
                                        ; -- End function
	.section	.AMDGPU.csdata,"",@progbits
; Kernel info:
; codeLenInByte = 10332
; NumSgprs: 24
; NumVgprs: 172
; NumAgprs: 0
; TotalNumVgprs: 172
; ScratchSize: 0
; MemoryBound: 0
; FloatMode: 240
; IeeeMode: 1
; LDSByteSize: 30336 bytes/workgroup (compile time only)
; SGPRBlocks: 2
; VGPRBlocks: 21
; NumSGPRsForWavesPerEU: 24
; NumVGPRsForWavesPerEU: 172
; AccumOffset: 172
; Occupancy: 2
; WaveLimiterHint : 0
; COMPUTE_PGM_RSRC2:SCRATCH_EN: 0
; COMPUTE_PGM_RSRC2:USER_SGPR: 2
; COMPUTE_PGM_RSRC2:TRAP_HANDLER: 0
; COMPUTE_PGM_RSRC2:TGID_X_EN: 1
; COMPUTE_PGM_RSRC2:TGID_Y_EN: 1
; COMPUTE_PGM_RSRC2:TGID_Z_EN: 0
; COMPUTE_PGM_RSRC2:TIDIG_COMP_CNT: 1
; COMPUTE_PGM_RSRC3_GFX90A:ACCUM_OFFSET: 42
; COMPUTE_PGM_RSRC3_GFX90A:TG_SPLIT: 0
	.section	.text._ZL12mul_mat_q4_1IN3c104HalfELb1EEvPKvS3_PT_iiiii,"axG",@progbits,_ZL12mul_mat_q4_1IN3c104HalfELb1EEvPKvS3_PT_iiiii,comdat
	.globl	_ZL12mul_mat_q4_1IN3c104HalfELb1EEvPKvS3_PT_iiiii ; -- Begin function _ZL12mul_mat_q4_1IN3c104HalfELb1EEvPKvS3_PT_iiiii
	.p2align	8
	.type	_ZL12mul_mat_q4_1IN3c104HalfELb1EEvPKvS3_PT_iiiii,@function
_ZL12mul_mat_q4_1IN3c104HalfELb1EEvPKvS3_PT_iiiii: ; @_ZL12mul_mat_q4_1IN3c104HalfELb1EEvPKvS3_PT_iiiii
; %bb.0:
	s_load_dwordx4 s[8:11], s[0:1], 0x18
	s_load_dword s14, s[0:1], 0x28
	s_lshl_b32 s15, s3, 6
	v_bfe_u32 v53, v0, 10, 10
	s_waitcnt lgkmcnt(0)
	s_cmp_gt_i32 s8, 31
	s_cbranch_scc1 .LBB140_2
; %bb.1:
	v_bfe_u32 v1, v0, 10, 10
	v_and_b32_e32 v49, 0x3ff, v0
	v_add_u32_e32 v63, s15, v1
	s_mov_b64 s[4:5], 0
	s_mov_b32 s3, 0
	s_branch .LBB140_3
.LBB140_2:
	s_mov_b64 s[4:5], -1
                                        ; implicit-def: $sgpr3
                                        ; implicit-def: $vgpr1
                                        ; implicit-def: $vgpr49
                                        ; implicit-def: $vgpr63
.LBB140_3:
	s_load_dwordx2 s[12:13], s[0:1], 0x10
	s_lshl_b32 s6, s2, 7
	s_andn2_b64 vcc, exec, s[4:5]
	v_mov_b32_e32 v9, s3
	v_mov_b32_e32 v19, s3
	;; [unrolled: 1-line block ×32, first 2 shown]
	s_cbranch_vccnz .LBB140_13
; %bb.4:
	s_ashr_i32 s4, s8, 31
	s_load_dwordx4 s[0:3], s[0:1], 0x0
	s_lshr_b32 s4, s4, 27
	s_ashr_i32 s5, s11, 31
	s_add_i32 s4, s8, s4
	s_lshr_b32 s5, s5, 27
	s_ashr_i32 s4, s4, 5
	s_add_i32 s5, s11, s5
	s_ashr_i32 s8, s5, 5
	s_mul_i32 s5, s4, s6
	s_mul_hi_i32 s7, s5, 20
	s_mul_i32 s5, s5, 20
	s_waitcnt lgkmcnt(0)
	s_add_u32 s0, s0, s5
	s_addc_u32 s1, s1, s7
	s_not_b32 s5, s6
	s_add_i32 s9, s5, s9
	v_and_b32_e32 v49, 0x3ff, v0
	v_lshlrev_b32_e32 v0, 2, v49
	v_min_i32_e32 v1, s9, v53
	s_movk_i32 s7, 0x84
	v_add_u32_e32 v4, 8, v53
	v_mul_lo_u32 v12, v1, s4
	v_mad_u64_u32 v[14:15], s[16:17], v1, s7, v[0:1]
	v_min_i32_e32 v1, s9, v4
	v_add_u32_e32 v5, 16, v53
	v_mul_lo_u32 v16, v1, s4
	v_mad_u64_u32 v[18:19], s[16:17], v1, s7, v[0:1]
	v_min_i32_e32 v1, s9, v5
	;; [unrolled: 4-line block ×7, first 2 shown]
	v_mul_lo_u32 v40, v1, s4
	v_mad_u64_u32 v[42:43], s[16:17], v1, s7, v[0:1]
	v_add_u32_e32 v1, 64, v53
	v_min_i32_e32 v1, s9, v1
	v_mul_lo_u32 v44, v1, s4
	v_mad_u64_u32 v[46:47], s[16:17], v1, s7, v[0:1]
	v_add_u32_e32 v1, 0x48, v53
	v_min_i32_e32 v1, s9, v1
	v_mul_lo_u32 v48, v1, s4
	v_mad_u64_u32 v[50:51], s[16:17], v1, s7, v[0:1]
	v_add_u32_e32 v1, 0x50, v53
	v_min_i32_e32 v1, s9, v1
	v_mul_lo_u32 v52, v1, s4
	v_mad_u64_u32 v[54:55], s[16:17], v1, s7, v[0:1]
	v_add_u32_e32 v1, 0x58, v53
	v_min_i32_e32 v1, s9, v1
	v_mul_lo_u32 v56, v1, s4
	v_mad_u64_u32 v[58:59], s[16:17], v1, s7, v[0:1]
	v_add_u32_e32 v1, 0x60, v53
	v_min_i32_e32 v1, s9, v1
	v_mul_lo_u32 v60, v1, s4
	v_mad_u64_u32 v[62:63], s[16:17], v1, s7, v[0:1]
	v_add_u32_e32 v1, 0x68, v53
	v_min_i32_e32 v1, s9, v1
	v_mul_lo_u32 v64, v1, s4
	v_mad_u64_u32 v[66:67], s[16:17], v1, s7, v[0:1]
	v_add_u32_e32 v1, 0x70, v53
	v_min_i32_e32 v1, s9, v1
	v_mul_lo_u32 v68, v1, s4
	v_mad_u64_u32 v[70:71], s[16:17], v1, s7, v[0:1]
	v_add_u32_e32 v1, 0x78, v53
	v_min_i32_e32 v1, s9, v1
	v_mad_u64_u32 v[74:75], s[16:17], v1, s7, v[0:1]
	v_lshrrev_b32_e32 v75, 3, v49
	v_mul_lo_u32 v72, v1, s4
	v_lshl_add_u32 v1, v53, 2, v75
	v_min_i32_e32 v2, s9, v1
	v_ashrrev_i32_e32 v3, 31, v2
	v_lshrrev_b32_e32 v3, 30, v3
	v_and_b32_e32 v76, 7, v49
	v_mul_lo_u32 v78, v2, s4
	v_add_u32_e32 v3, v2, v3
	v_lshlrev_b32_e32 v21, 5, v2
	v_add_u32_e32 v2, 32, v1
	v_and_b32_e32 v3, -4, v3
	v_lshlrev_b32_e32 v17, 2, v76
	s_movk_i32 s11, 0x6200
	v_min_i32_e32 v2, s9, v2
	v_add3_u32 v19, v3, v17, s11
	v_ashrrev_i32_e32 v3, 31, v2
	v_lshrrev_b32_e32 v3, 30, v3
	v_mul_lo_u32 v80, v2, s4
	v_add_u32_e32 v3, v2, v3
	v_lshlrev_b32_e32 v25, 5, v2
	v_add_u32_e32 v2, 64, v1
	v_and_b32_e32 v3, -4, v3
	v_min_i32_e32 v2, s9, v2
	v_add3_u32 v23, v3, v17, s11
	v_ashrrev_i32_e32 v3, 31, v2
	v_add_u32_e32 v1, 0x60, v1
	v_lshrrev_b32_e32 v3, 30, v3
	v_min_i32_e32 v1, s9, v1
	v_mul_lo_u32 v82, v2, s4
	v_add_u32_e32 v3, v2, v3
	v_lshlrev_b32_e32 v29, 5, v2
	v_ashrrev_i32_e32 v2, 31, v1
	v_mov_b32_e32 v11, 0
	v_lshrrev_b32_e32 v2, 30, v2
	v_lshrrev_b32_e32 v8, 2, v49
	v_and_b32_e32 v10, 12, v0
	v_mul_lo_u32 v84, v1, s4
	v_add_u32_e32 v2, v1, v2
	v_lshlrev_b32_e32 v31, 5, v1
	v_and_b32_e32 v0, 28, v0
	v_mov_b32_e32 v1, v11
	v_lshl_add_u64 v[86:87], s[2:3], 0, v[0:1]
	v_lshl_add_u32 v0, v53, 3, v8
	v_and_b32_e32 v1, 63, v0
	s_add_i32 s9, s10, -1
	v_or_b32_e32 v35, s15, v1
	v_and_b32_e32 v0, 3, v49
	v_min_i32_e32 v35, s9, v35
	v_mad_u64_u32 v[88:89], s[16:17], v35, s8, v[0:1]
	v_lshlrev_b32_e32 v0, 2, v0
	v_and_b32_e32 v3, -4, v3
	v_and_b32_e32 v2, -4, v2
	v_add_u32_e32 v63, s15, v53
	v_lshl_or_b32 v0, v1, 4, v0
	v_add3_u32 v27, v3, v17, s11
	v_add3_u32 v17, v2, v17, s11
	v_cvt_f64_i32_e32 v[2:3], s9
	v_add_u32_e32 v83, 0x7280, v0
	v_cvt_f64_u32_e32 v[0:1], v63
	v_and_b32_e32 v33, 31, v49
	v_min_f64 v[0:1], v[0:1], v[2:3]
	v_cvt_i32_f64_e32 v0, v[0:1]
	v_lshlrev_b32_e32 v33, 2, v33
	v_lshlrev_b32_e32 v35, 7, v53
	v_mul_lo_u32 v85, s8, v0
	v_or_b32_e32 v0, v35, v33
	v_add_u32_e32 v89, 0x4200, v0
	v_add_u32_e32 v0, 8, v63
	v_cvt_f64_u32_e32 v[0:1], v0
	v_min_f64 v[0:1], v[0:1], v[2:3]
	v_cvt_i32_f64_e32 v0, v[0:1]
	v_mul_lo_u32 v92, s8, v0
	v_lshl_or_b32 v0, v4, 7, v33
	v_add_u32_e32 v93, 0x4200, v0
	v_add_u32_e32 v0, 16, v63
	v_cvt_f64_u32_e32 v[0:1], v0
	v_min_f64 v[0:1], v[0:1], v[2:3]
	v_cvt_i32_f64_e32 v0, v[0:1]
	v_mul_lo_u32 v94, s8, v0
	v_lshl_or_b32 v0, v5, 7, v33
	;; [unrolled: 7-line block ×7, first 2 shown]
	v_add_u32_e32 v105, 0x4200, v0
	v_add_u32_e32 v0, 32, v49
	;; [unrolled: 1-line block ×4, first 2 shown]
	v_lshlrev_b32_e32 v3, 5, v49
	v_lshrrev_b32_e32 v107, 3, v0
	v_and_b32_e32 v2, 0x1fc, v2
	v_and_b32_e32 v1, 0x1fc, v1
	v_and_b32_e32 v0, 0x1fc, v0
	v_and_b32_e32 v4, 0xfc, v49
	v_add_u32_e32 v2, v3, v2
	v_add_u32_e32 v1, v3, v1
	;; [unrolled: 1-line block ×4, first 2 shown]
	v_mov_b32_e32 v4, 0x7280
	s_mov_b32 s5, 0
	v_mul_u32_u24_e32 v106, 0x84, v49
	v_add_u32_e32 v108, 0x6e00, v2
	v_add_u32_e32 v109, 0x6a00, v1
	;; [unrolled: 1-line block ×5, first 2 shown]
	v_lshl_add_u32 v113, v53, 4, v4
	v_add_u32_e32 v114, 0x6e10, v2
	v_add_u32_e32 v115, 0x6a10, v1
	;; [unrolled: 1-line block ×4, first 2 shown]
	v_mad_u32_u24 v118, v49, s7, 64
	v_add_u32_e32 v119, v19, v21
	v_add_u32_e32 v120, v23, v25
	;; [unrolled: 1-line block ×4, first 2 shown]
	v_mov_b32_e32 v81, v11
	v_mov_b32_e32 v71, v11
	;; [unrolled: 1-line block ×32, first 2 shown]
	s_branch .LBB140_6
.LBB140_5:                              ;   in Loop: Header=BB140_6 Depth=1
	s_add_i32 s5, s5, 8
	s_cmp_ge_i32 s5, s4
	s_cbranch_scc1 .LBB140_12
.LBB140_6:                              ; =>This Loop Header: Depth=1
                                        ;     Child Loop BB140_7 Depth 2
                                        ;     Child Loop BB140_10 Depth 2
	s_mul_i32 s8, s5, 20
	s_mul_hi_u32 s7, s5, 20
	s_add_u32 s8, s0, s8
	s_addc_u32 s9, s1, s7
	v_mad_u64_u32 v[0:1], s[16:17], v8, 20, s[8:9]
	v_lshl_add_u64 v[0:1], v[0:1], 0, v[10:11]
	v_lshl_add_u64 v[0:1], v[0:1], 0, 4
	v_mad_i64_i32 v[2:3], s[16:17], v12, 20, v[0:1]
	v_mad_i64_i32 v[4:5], s[16:17], v16, 20, v[0:1]
	;; [unrolled: 1-line block ×8, first 2 shown]
	global_load_dword v132, v[2:3], off
	global_load_dword v133, v[4:5], off
	;; [unrolled: 1-line block ×7, first 2 shown]
                                        ; kill: killed $vgpr128_vgpr129
                                        ; kill: killed $vgpr126_vgpr127
	s_nop 0
	global_load_dword v130, v[130:131], off
	v_mad_i64_i32 v[2:3], s[16:17], v44, 20, v[0:1]
	v_mad_i64_i32 v[4:5], s[16:17], v48, 20, v[0:1]
	v_mad_i64_i32 v[6:7], s[16:17], v52, 20, v[0:1]
	v_mad_i64_i32 v[90:91], s[16:17], v56, 20, v[0:1]
	v_mad_i64_i32 v[124:125], s[16:17], v60, 20, v[0:1]
	v_mad_i64_i32 v[126:127], s[16:17], v64, 20, v[0:1]
	v_mad_i64_i32 v[128:129], s[16:17], v68, 20, v[0:1]
	v_mad_i64_i32 v[0:1], s[16:17], v72, 20, v[0:1]
	global_load_dword v131, v[2:3], off
	global_load_dword v139, v[4:5], off
	;; [unrolled: 1-line block ×8, first 2 shown]
	v_mad_u64_u32 v[0:1], s[8:9], v76, 20, s[8:9]
	v_mad_i64_i32 v[2:3], s[8:9], v78, 20, v[0:1]
	v_mad_i64_i32 v[4:5], s[8:9], v80, 20, v[0:1]
	;; [unrolled: 1-line block ×4, first 2 shown]
	v_add_u32_e32 v128, s5, v75
	global_load_dword v146, v[2:3], off
	global_load_dword v147, v[4:5], off
	;; [unrolled: 1-line block ×4, first 2 shown]
	v_add_u32_e32 v0, v128, v85
	v_add_u32_e32 v2, v128, v92
	;; [unrolled: 1-line block ×5, first 2 shown]
	v_mad_i64_i32 v[0:1], s[8:9], v0, 36, v[86:87]
	v_mad_i64_i32 v[2:3], s[8:9], v2, 36, v[86:87]
	v_mad_i64_i32 v[4:5], s[8:9], v4, 36, v[86:87]
	v_mad_i64_i32 v[6:7], s[8:9], v6, 36, v[86:87]
	v_mad_i64_i32 v[90:91], s[8:9], v90, 36, v[86:87]
	v_add_u32_e32 v124, v128, v100
	v_add_u32_e32 v126, v128, v102
	;; [unrolled: 1-line block ×3, first 2 shown]
	v_mad_i64_i32 v[124:125], s[8:9], v124, 36, v[86:87]
	v_mad_i64_i32 v[126:127], s[8:9], v126, 36, v[86:87]
	;; [unrolled: 1-line block ×3, first 2 shown]
	global_load_dword v150, v[0:1], off offset:4
	s_nop 0
	global_load_dword v2, v[2:3], off offset:4
	s_nop 0
	;; [unrolled: 2-line block ×3, first 2 shown]
	global_load_dword v4, v[6:7], off offset:4
	global_load_dword v5, v[90:91], off offset:4
	s_nop 0
	global_load_dword v6, v[124:125], off offset:4
	global_load_dword v7, v[126:127], off offset:4
	;; [unrolled: 1-line block ×3, first 2 shown]
	v_add_u32_e32 v123, s5, v88
	v_mad_u64_u32 v[0:1], s[8:9], v123, 36, s[2:3]
	global_load_dword v0, v[0:1], off
	v_mov_b32_e32 v124, v113
	v_mov_b32_e32 v125, v112
	s_mov_b32 s7, -4
	v_mov_b32_e32 v126, v106
	v_mov_b32_e32 v127, v111
	;; [unrolled: 1-line block ×4, first 2 shown]
	s_waitcnt vmcnt(28)
	ds_write_b32 v14, v132
	s_waitcnt vmcnt(27)
	ds_write_b32 v18, v133
	;; [unrolled: 2-line block ×29, first 2 shown]
	v_mov_b32_e32 v130, v108
	s_waitcnt lgkmcnt(0)
	s_barrier
.LBB140_7:                              ;   Parent Loop BB140_6 Depth=1
                                        ; =>  This Inner Loop Header: Depth=2
	ds_read_b128 v[0:3], v125
	ds_read_b128 v[4:7], v125 offset:16
	ds_read2_b32 v[90:91], v124 offset1:32
	ds_read_b32 v131, v127
	ds_read2_b32 v[134:135], v126 offset1:1
	ds_read2_b32 v[138:139], v126 offset0:2 offset1:3
	v_mov_b32_e32 v140, 0
	v_mov_b32_e32 v150, 0
	s_waitcnt lgkmcnt(2)
	v_pk_mul_f16 v141, v90, v131
	s_waitcnt lgkmcnt(1)
	v_and_b32_e32 v132, 0xf0f0f0f, v134
	v_lshrrev_b32_e32 v133, 4, v134
	v_and_b32_e32 v133, 0xf0f0f0f, v133
	v_dot4c_i32_i8_e32 v140, v132, v0
	v_dot4c_i32_i8_e32 v140, v133, v4
	v_and_b32_e32 v134, 0xf0f0f0f, v135
	v_lshrrev_b32_e32 v135, 4, v135
	v_and_b32_e32 v135, 0xf0f0f0f, v135
	v_dot4c_i32_i8_e32 v140, v134, v1
	v_dot4c_i32_i8_e32 v140, v135, v5
	s_waitcnt lgkmcnt(0)
	v_and_b32_e32 v136, 0xf0f0f0f, v138
	v_lshrrev_b32_e32 v137, 4, v138
	v_and_b32_e32 v137, 0xf0f0f0f, v137
	v_dot4c_i32_i8_e32 v140, v136, v2
	v_dot4c_i32_i8_e32 v140, v137, v6
	v_and_b32_e32 v138, 0xf0f0f0f, v139
	v_lshrrev_b32_e32 v139, 4, v139
	v_and_b32_e32 v139, 0xf0f0f0f, v139
	v_dot4c_i32_i8_e32 v140, v138, v3
	v_dot4c_i32_i8_e32 v140, v139, v7
	v_add_u32_e32 v154, 0x2108, v126
	v_mov_b32_e32 v156, 0
	v_mov_b32_e32 v163, 0
	v_cvt_f32_i32_e32 v140, v140
	s_add_i32 s7, s7, 4
	v_add_u32_e32 v127, 4, v127
	s_cmp_lt_u32 s7, 12
	v_fma_mix_f32 v140, v141, v140, v141 op_sel:[0,0,1] op_sel_hi:[1,0,1]
	v_add_u32_e32 v141, 0x1080, v126
	v_add_f32_e32 v81, v81, v140
	ds_read_b32 v140, v128
	ds_read2_b32 v[144:145], v141 offset1:1
	v_add_u32_e32 v128, 4, v128
	s_waitcnt lgkmcnt(0)
	v_and_b32_e32 v141, 0xf0f0f0f, v144
	v_lshrrev_b32_e32 v142, 4, v144
	v_and_b32_e32 v143, 0xf0f0f0f, v145
	v_lshrrev_b32_e32 v144, 4, v145
	v_add_u32_e32 v145, 0x1088, v126
	ds_read2_b32 v[146:147], v145 offset1:1
	v_and_b32_e32 v142, 0xf0f0f0f, v142
	v_dot4c_i32_i8_e32 v150, v141, v0
	v_dot4c_i32_i8_e32 v150, v142, v4
	v_and_b32_e32 v144, 0xf0f0f0f, v144
	v_dot4c_i32_i8_e32 v150, v143, v1
	v_dot4c_i32_i8_e32 v150, v144, v5
	s_waitcnt lgkmcnt(0)
	v_and_b32_e32 v145, 0xf0f0f0f, v146
	v_lshrrev_b32_e32 v146, 4, v146
	v_and_b32_e32 v146, 0xf0f0f0f, v146
	v_dot4c_i32_i8_e32 v150, v145, v2
	v_dot4c_i32_i8_e32 v150, v146, v6
	v_and_b32_e32 v148, 0xf0f0f0f, v147
	v_lshrrev_b32_e32 v147, 4, v147
	v_and_b32_e32 v149, 0xf0f0f0f, v147
	v_dot4c_i32_i8_e32 v150, v148, v3
	v_dot4c_i32_i8_e32 v150, v149, v7
	v_pk_mul_f16 v147, v90, v140
	s_nop 1
	v_cvt_f32_i32_e32 v150, v150
	v_fma_mix_f32 v147, v147, v150, v147 op_sel:[0,0,1] op_sel_hi:[1,0,1]
	s_nop 0
	v_add_f32_e32 v79, v79, v147
	v_add_u32_e32 v150, 0x2100, v126
	ds_read_b32 v147, v129
	ds_read2_b32 v[152:153], v150 offset1:1
	ds_read2_b32 v[158:159], v154 offset1:1
	v_add_u32_e32 v129, 4, v129
	s_waitcnt lgkmcnt(1)
	v_and_b32_e32 v150, 0xf0f0f0f, v152
	v_lshrrev_b32_e32 v151, 4, v152
	v_and_b32_e32 v151, 0xf0f0f0f, v151
	v_dot4c_i32_i8_e32 v156, v150, v0
	v_dot4c_i32_i8_e32 v156, v151, v4
	v_and_b32_e32 v152, 0xf0f0f0f, v153
	v_lshrrev_b32_e32 v153, 4, v153
	v_and_b32_e32 v153, 0xf0f0f0f, v153
	v_dot4c_i32_i8_e32 v156, v152, v1
	v_dot4c_i32_i8_e32 v156, v153, v5
	s_waitcnt lgkmcnt(0)
	v_and_b32_e32 v154, 0xf0f0f0f, v158
	v_lshrrev_b32_e32 v155, 4, v158
	v_and_b32_e32 v155, 0xf0f0f0f, v155
	v_dot4c_i32_i8_e32 v156, v154, v2
	v_dot4c_i32_i8_e32 v156, v155, v6
	v_and_b32_e32 v157, 0xf0f0f0f, v159
	v_lshrrev_b32_e32 v158, 4, v159
	v_and_b32_e32 v158, 0xf0f0f0f, v158
	v_dot4c_i32_i8_e32 v156, v157, v3
	v_dot4c_i32_i8_e32 v156, v158, v7
	v_pk_mul_f16 v159, v90, v147
	s_nop 1
	v_cvt_f32_i32_e32 v156, v156
	v_fma_mix_f32 v156, v159, v156, v159 op_sel:[0,0,1] op_sel_hi:[1,0,1]
	s_nop 0
	v_add_f32_e32 v77, v77, v156
	v_add_u32_e32 v159, 0x3180, v126
	ds_read_b32 v156, v130
	ds_read2_b32 v[160:161], v159 offset1:1
	v_add_u32_e32 v130, 4, v130
	s_waitcnt lgkmcnt(0)
	v_and_b32_e32 v159, 0xf0f0f0f, v160
	v_lshrrev_b32_e32 v160, 4, v160
	v_and_b32_e32 v160, 0xf0f0f0f, v160
	v_dot4c_i32_i8_e32 v163, v159, v0
	v_lshrrev_b32_e32 v0, 4, v161
	v_dot4c_i32_i8_e32 v163, v160, v4
	v_and_b32_e32 v4, 0xf0f0f0f, v161
	v_and_b32_e32 v161, 0xf0f0f0f, v0
	v_add_u32_e32 v0, 0x3188, v126
	v_dot4c_i32_i8_e32 v163, v4, v1
	ds_read2_b32 v[0:1], v0 offset1:1
	v_dot4c_i32_i8_e32 v163, v161, v5
	ds_read_b128 v[164:167], v125 offset:1024
	ds_read_b128 v[168:171], v125 offset:1040
	v_add_u32_e32 v126, 16, v126
	s_waitcnt lgkmcnt(2)
	v_and_b32_e32 v5, 0xf0f0f0f, v0
	v_lshrrev_b32_e32 v0, 4, v0
	v_and_b32_e32 v162, 0xf0f0f0f, v0
	v_dot4c_i32_i8_e32 v163, v5, v2
	v_dot4c_i32_i8_e32 v163, v162, v6
	v_and_b32_e32 v2, 0xf0f0f0f, v1
	v_lshrrev_b32_e32 v0, 4, v1
	v_and_b32_e32 v6, 0xf0f0f0f, v0
	v_dot4c_i32_i8_e32 v163, v2, v3
	v_dot4c_i32_i8_e32 v163, v6, v7
	v_pk_mul_f16 v0, v90, v156
	v_mov_b32_e32 v3, 0
	s_nop 0
	v_cvt_f32_i32_e32 v1, v163
	v_fma_mix_f32 v0, v0, v1, v0 op_sel:[0,0,1] op_sel_hi:[1,0,1]
	s_nop 0
	v_add_f32_e32 v73, v73, v0
	v_mov_b32_e32 v0, 0
	s_waitcnt lgkmcnt(1)
	v_dot4c_i32_i8_e32 v0, v132, v164
	s_waitcnt lgkmcnt(0)
	v_dot4c_i32_i8_e32 v0, v133, v168
	v_dot4c_i32_i8_e32 v0, v134, v165
	v_dot4c_i32_i8_e32 v0, v135, v169
	v_dot4c_i32_i8_e32 v0, v136, v166
	v_dot4c_i32_i8_e32 v0, v137, v170
	v_dot4c_i32_i8_e32 v0, v138, v167
	v_dot4c_i32_i8_e32 v0, v139, v171
	v_pk_mul_f16 v1, v131, v91
	s_nop 1
	v_cvt_f32_i32_e32 v0, v0
	v_fma_mix_f32 v0, v0, v1, v1 op_sel:[0,0,1] op_sel_hi:[0,1,1]
	v_add_f32_e32 v71, v71, v0
	v_mov_b32_e32 v0, 0
	v_dot4c_i32_i8_e32 v0, v141, v164
	v_dot4c_i32_i8_e32 v0, v142, v168
	v_dot4c_i32_i8_e32 v0, v143, v165
	v_dot4c_i32_i8_e32 v0, v144, v169
	v_dot4c_i32_i8_e32 v0, v145, v166
	v_dot4c_i32_i8_e32 v0, v146, v170
	v_dot4c_i32_i8_e32 v0, v148, v167
	v_dot4c_i32_i8_e32 v0, v149, v171
	v_pk_mul_f16 v1, v140, v91
	s_nop 1
	v_cvt_f32_i32_e32 v0, v0
	v_fma_mix_f32 v0, v0, v1, v1 op_sel:[0,0,1] op_sel_hi:[0,1,1]
	v_add_f32_e32 v69, v69, v0
	v_mov_b32_e32 v0, 0
	v_dot4c_i32_i8_e32 v0, v150, v164
	;; [unrolled: 14-line block ×3, first 2 shown]
	v_dot4c_i32_i8_e32 v0, v160, v168
	v_dot4c_i32_i8_e32 v0, v4, v165
	;; [unrolled: 1-line block ×7, first 2 shown]
	v_pk_mul_f16 v1, v156, v91
	s_nop 1
	v_cvt_f32_i32_e32 v0, v0
	v_fma_mix_f32 v0, v0, v1, v1 op_sel:[0,0,1] op_sel_hi:[0,1,1]
	v_add_f32_e32 v65, v65, v0
	ds_read_b128 v[164:167], v125 offset:2048
	ds_read_b128 v[168:171], v125 offset:2064
	ds_read2_b32 v[0:1], v124 offset0:64 offset1:96
	s_waitcnt lgkmcnt(2)
	v_dot4c_i32_i8_e32 v3, v132, v164
	s_waitcnt lgkmcnt(1)
	v_dot4c_i32_i8_e32 v3, v133, v168
	v_dot4c_i32_i8_e32 v3, v134, v165
	;; [unrolled: 1-line block ×7, first 2 shown]
	s_waitcnt lgkmcnt(0)
	v_pk_mul_f16 v7, v131, v0
	s_nop 0
	v_cvt_f32_i32_e32 v3, v3
	v_fma_mix_f32 v3, v3, v7, v7 op_sel:[0,0,1] op_sel_hi:[0,1,1]
	v_add_f32_e32 v61, v61, v3
	v_mov_b32_e32 v3, 0
	v_dot4c_i32_i8_e32 v3, v141, v164
	v_dot4c_i32_i8_e32 v3, v142, v168
	;; [unrolled: 1-line block ×8, first 2 shown]
	v_pk_mul_f16 v7, v140, v0
	s_nop 1
	v_cvt_f32_i32_e32 v3, v3
	v_fma_mix_f32 v3, v3, v7, v7 op_sel:[0,0,1] op_sel_hi:[0,1,1]
	v_add_f32_e32 v59, v59, v3
	v_mov_b32_e32 v3, 0
	v_dot4c_i32_i8_e32 v3, v150, v164
	v_dot4c_i32_i8_e32 v3, v151, v168
	;; [unrolled: 1-line block ×8, first 2 shown]
	v_pk_mul_f16 v7, v147, v0
	v_pk_mul_f16 v0, v156, v0
	s_nop 0
	v_cvt_f32_i32_e32 v3, v3
	v_fma_mix_f32 v3, v3, v7, v7 op_sel:[0,0,1] op_sel_hi:[0,1,1]
	v_add_f32_e32 v57, v57, v3
	v_mov_b32_e32 v3, 0
	v_dot4c_i32_i8_e32 v3, v159, v164
	v_dot4c_i32_i8_e32 v3, v160, v168
	v_dot4c_i32_i8_e32 v3, v4, v165
	v_dot4c_i32_i8_e32 v3, v161, v169
	v_dot4c_i32_i8_e32 v3, v5, v166
	v_dot4c_i32_i8_e32 v3, v162, v170
	v_dot4c_i32_i8_e32 v3, v2, v167
	v_dot4c_i32_i8_e32 v3, v6, v171
	ds_read_b128 v[164:167], v125 offset:3072
	ds_read_b128 v[168:171], v125 offset:3088
	s_nop 0
	v_cvt_f32_i32_e32 v3, v3
	v_fma_mix_f32 v0, v3, v0, v0 op_sel:[0,0,1] op_sel_hi:[0,1,1]
	v_add_f32_e32 v55, v55, v0
	v_mov_b32_e32 v0, 0
	s_waitcnt lgkmcnt(1)
	v_dot4c_i32_i8_e32 v0, v132, v164
	s_waitcnt lgkmcnt(0)
	v_dot4c_i32_i8_e32 v0, v133, v168
	v_dot4c_i32_i8_e32 v0, v134, v165
	;; [unrolled: 1-line block ×7, first 2 shown]
	v_pk_mul_f16 v3, v131, v1
	s_nop 1
	v_cvt_f32_i32_e32 v0, v0
	v_fma_mix_f32 v0, v0, v3, v3 op_sel:[0,0,1] op_sel_hi:[0,1,1]
	v_add_f32_e32 v51, v51, v0
	v_mov_b32_e32 v0, 0
	v_dot4c_i32_i8_e32 v0, v141, v164
	v_dot4c_i32_i8_e32 v0, v142, v168
	;; [unrolled: 1-line block ×8, first 2 shown]
	v_pk_mul_f16 v3, v140, v1
	s_nop 1
	v_cvt_f32_i32_e32 v0, v0
	v_fma_mix_f32 v0, v0, v3, v3 op_sel:[0,0,1] op_sel_hi:[0,1,1]
	v_add_f32_e32 v47, v47, v0
	v_mov_b32_e32 v0, 0
	v_dot4c_i32_i8_e32 v0, v150, v164
	v_dot4c_i32_i8_e32 v0, v151, v168
	;; [unrolled: 1-line block ×8, first 2 shown]
	v_pk_mul_f16 v3, v147, v1
	v_pk_mul_f16 v1, v156, v1
	s_nop 0
	v_cvt_f32_i32_e32 v0, v0
	v_fma_mix_f32 v0, v0, v3, v3 op_sel:[0,0,1] op_sel_hi:[0,1,1]
	v_add_f32_e32 v45, v45, v0
	v_mov_b32_e32 v0, 0
	v_dot4c_i32_i8_e32 v0, v159, v164
	v_dot4c_i32_i8_e32 v0, v160, v168
	v_dot4c_i32_i8_e32 v0, v4, v165
	v_dot4c_i32_i8_e32 v0, v161, v169
	v_dot4c_i32_i8_e32 v0, v5, v166
	v_dot4c_i32_i8_e32 v0, v162, v170
	v_dot4c_i32_i8_e32 v0, v2, v167
	v_dot4c_i32_i8_e32 v0, v6, v171
	v_mov_b32_e32 v3, 0
	s_nop 1
	v_cvt_f32_i32_e32 v0, v0
	v_fma_mix_f32 v0, v0, v1, v1 op_sel:[0,0,1] op_sel_hi:[0,1,1]
	v_add_f32_e32 v43, v43, v0
	ds_read_b128 v[164:167], v125 offset:4096
	ds_read_b128 v[168:171], v125 offset:4112
	ds_read2_b32 v[0:1], v124 offset0:128 offset1:160
	s_waitcnt lgkmcnt(2)
	v_dot4c_i32_i8_e32 v3, v132, v164
	s_waitcnt lgkmcnt(1)
	v_dot4c_i32_i8_e32 v3, v133, v168
	v_dot4c_i32_i8_e32 v3, v134, v165
	;; [unrolled: 1-line block ×7, first 2 shown]
	s_waitcnt lgkmcnt(0)
	v_pk_mul_f16 v7, v131, v0
	s_nop 0
	v_cvt_f32_i32_e32 v3, v3
	v_fma_mix_f32 v3, v3, v7, v7 op_sel:[0,0,1] op_sel_hi:[0,1,1]
	v_add_f32_e32 v41, v41, v3
	v_mov_b32_e32 v3, 0
	v_dot4c_i32_i8_e32 v3, v141, v164
	v_dot4c_i32_i8_e32 v3, v142, v168
	;; [unrolled: 1-line block ×8, first 2 shown]
	v_pk_mul_f16 v7, v140, v0
	s_nop 1
	v_cvt_f32_i32_e32 v3, v3
	v_fma_mix_f32 v3, v3, v7, v7 op_sel:[0,0,1] op_sel_hi:[0,1,1]
	v_add_f32_e32 v39, v39, v3
	v_mov_b32_e32 v3, 0
	v_dot4c_i32_i8_e32 v3, v150, v164
	v_dot4c_i32_i8_e32 v3, v151, v168
	;; [unrolled: 1-line block ×8, first 2 shown]
	v_pk_mul_f16 v7, v147, v0
	v_pk_mul_f16 v0, v156, v0
	s_nop 0
	v_cvt_f32_i32_e32 v3, v3
	v_fma_mix_f32 v3, v3, v7, v7 op_sel:[0,0,1] op_sel_hi:[0,1,1]
	v_add_f32_e32 v37, v37, v3
	v_mov_b32_e32 v3, 0
	v_dot4c_i32_i8_e32 v3, v159, v164
	v_dot4c_i32_i8_e32 v3, v160, v168
	;; [unrolled: 1-line block ×8, first 2 shown]
	ds_read_b128 v[164:167], v125 offset:5120
	ds_read_b128 v[168:171], v125 offset:5136
	s_nop 0
	v_cvt_f32_i32_e32 v3, v3
	v_fma_mix_f32 v0, v3, v0, v0 op_sel:[0,0,1] op_sel_hi:[0,1,1]
	v_add_f32_e32 v35, v35, v0
	v_mov_b32_e32 v0, 0
	s_waitcnt lgkmcnt(1)
	v_dot4c_i32_i8_e32 v0, v132, v164
	s_waitcnt lgkmcnt(0)
	v_dot4c_i32_i8_e32 v0, v133, v168
	v_dot4c_i32_i8_e32 v0, v134, v165
	;; [unrolled: 1-line block ×7, first 2 shown]
	v_pk_mul_f16 v3, v131, v1
	s_nop 1
	v_cvt_f32_i32_e32 v0, v0
	v_fma_mix_f32 v0, v0, v3, v3 op_sel:[0,0,1] op_sel_hi:[0,1,1]
	v_add_f32_e32 v33, v33, v0
	v_mov_b32_e32 v0, 0
	v_dot4c_i32_i8_e32 v0, v141, v164
	v_dot4c_i32_i8_e32 v0, v142, v168
	v_dot4c_i32_i8_e32 v0, v143, v165
	v_dot4c_i32_i8_e32 v0, v144, v169
	v_dot4c_i32_i8_e32 v0, v145, v166
	v_dot4c_i32_i8_e32 v0, v146, v170
	v_dot4c_i32_i8_e32 v0, v148, v167
	v_dot4c_i32_i8_e32 v0, v149, v171
	v_pk_mul_f16 v3, v140, v1
	s_nop 1
	v_cvt_f32_i32_e32 v0, v0
	v_fma_mix_f32 v0, v0, v3, v3 op_sel:[0,0,1] op_sel_hi:[0,1,1]
	v_add_f32_e32 v31, v31, v0
	v_mov_b32_e32 v0, 0
	v_dot4c_i32_i8_e32 v0, v150, v164
	v_dot4c_i32_i8_e32 v0, v151, v168
	;; [unrolled: 1-line block ×8, first 2 shown]
	v_pk_mul_f16 v3, v147, v1
	v_pk_mul_f16 v1, v156, v1
	s_nop 0
	v_cvt_f32_i32_e32 v0, v0
	v_fma_mix_f32 v0, v0, v3, v3 op_sel:[0,0,1] op_sel_hi:[0,1,1]
	v_add_f32_e32 v29, v29, v0
	v_mov_b32_e32 v0, 0
	v_dot4c_i32_i8_e32 v0, v159, v164
	v_dot4c_i32_i8_e32 v0, v160, v168
	;; [unrolled: 1-line block ×8, first 2 shown]
	v_mov_b32_e32 v3, 0
	s_nop 1
	v_cvt_f32_i32_e32 v0, v0
	v_fma_mix_f32 v0, v0, v1, v1 op_sel:[0,0,1] op_sel_hi:[0,1,1]
	v_add_f32_e32 v27, v27, v0
	ds_read_b128 v[164:167], v125 offset:6144
	ds_read_b128 v[168:171], v125 offset:6160
	ds_read2_b32 v[0:1], v124 offset0:192 offset1:224
	v_add_u32_e32 v124, 4, v124
	s_waitcnt lgkmcnt(2)
	v_dot4c_i32_i8_e32 v3, v132, v164
	s_waitcnt lgkmcnt(1)
	v_dot4c_i32_i8_e32 v3, v133, v168
	v_dot4c_i32_i8_e32 v3, v134, v165
	;; [unrolled: 1-line block ×7, first 2 shown]
	s_waitcnt lgkmcnt(0)
	v_pk_mul_f16 v7, v131, v0
	s_nop 0
	v_cvt_f32_i32_e32 v3, v3
	v_fma_mix_f32 v3, v3, v7, v7 op_sel:[0,0,1] op_sel_hi:[0,1,1]
	v_add_f32_e32 v25, v25, v3
	v_mov_b32_e32 v3, 0
	v_dot4c_i32_i8_e32 v3, v141, v164
	v_dot4c_i32_i8_e32 v3, v142, v168
	;; [unrolled: 1-line block ×8, first 2 shown]
	v_pk_mul_f16 v7, v140, v0
	s_nop 1
	v_cvt_f32_i32_e32 v3, v3
	v_fma_mix_f32 v3, v3, v7, v7 op_sel:[0,0,1] op_sel_hi:[0,1,1]
	v_add_f32_e32 v23, v23, v3
	v_mov_b32_e32 v3, 0
	v_dot4c_i32_i8_e32 v3, v150, v164
	v_dot4c_i32_i8_e32 v3, v151, v168
	;; [unrolled: 1-line block ×8, first 2 shown]
	v_pk_mul_f16 v7, v147, v0
	v_pk_mul_f16 v0, v156, v0
	s_nop 0
	v_cvt_f32_i32_e32 v3, v3
	v_fma_mix_f32 v3, v3, v7, v7 op_sel:[0,0,1] op_sel_hi:[0,1,1]
	v_add_f32_e32 v21, v21, v3
	v_mov_b32_e32 v3, 0
	v_dot4c_i32_i8_e32 v3, v159, v164
	v_dot4c_i32_i8_e32 v3, v160, v168
	;; [unrolled: 1-line block ×8, first 2 shown]
	ds_read_b128 v[164:167], v125 offset:7168
	ds_read_b128 v[168:171], v125 offset:7184
	v_add_u32_e32 v125, 32, v125
	v_cvt_f32_i32_e32 v3, v3
	v_fma_mix_f32 v0, v3, v0, v0 op_sel:[0,0,1] op_sel_hi:[0,1,1]
	v_add_f32_e32 v19, v19, v0
	v_mov_b32_e32 v0, 0
	s_waitcnt lgkmcnt(1)
	v_dot4c_i32_i8_e32 v0, v132, v164
	s_waitcnt lgkmcnt(0)
	v_dot4c_i32_i8_e32 v0, v133, v168
	v_dot4c_i32_i8_e32 v0, v134, v165
	;; [unrolled: 1-line block ×7, first 2 shown]
	v_pk_mul_f16 v3, v131, v1
	s_nop 1
	v_cvt_f32_i32_e32 v0, v0
	v_fma_mix_f32 v0, v0, v3, v3 op_sel:[0,0,1] op_sel_hi:[0,1,1]
	v_add_f32_e32 v17, v17, v0
	v_mov_b32_e32 v0, 0
	v_dot4c_i32_i8_e32 v0, v141, v164
	v_dot4c_i32_i8_e32 v0, v142, v168
	;; [unrolled: 1-line block ×8, first 2 shown]
	v_pk_mul_f16 v3, v140, v1
	s_nop 1
	v_cvt_f32_i32_e32 v0, v0
	v_fma_mix_f32 v0, v0, v3, v3 op_sel:[0,0,1] op_sel_hi:[0,1,1]
	v_add_f32_e32 v15, v15, v0
	v_mov_b32_e32 v0, 0
	v_dot4c_i32_i8_e32 v0, v150, v164
	v_dot4c_i32_i8_e32 v0, v151, v168
	;; [unrolled: 1-line block ×8, first 2 shown]
	v_pk_mul_f16 v3, v147, v1
	v_pk_mul_f16 v1, v156, v1
	s_nop 0
	v_cvt_f32_i32_e32 v0, v0
	v_fma_mix_f32 v0, v0, v3, v3 op_sel:[0,0,1] op_sel_hi:[0,1,1]
	v_add_f32_e32 v13, v13, v0
	v_mov_b32_e32 v0, 0
	v_dot4c_i32_i8_e32 v0, v159, v164
	v_dot4c_i32_i8_e32 v0, v160, v168
	;; [unrolled: 1-line block ×8, first 2 shown]
	s_nop 2
	v_cvt_f32_i32_e32 v0, v0
	v_fma_mix_f32 v0, v0, v1, v1 op_sel:[0,0,1] op_sel_hi:[0,1,1]
	v_add_f32_e32 v9, v9, v0
	s_cbranch_scc1 .LBB140_7
; %bb.8:                                ;   in Loop: Header=BB140_6 Depth=1
	s_or_b32 s7, s5, 4
	s_cmp_ge_i32 s7, s4
	s_barrier
	s_cbranch_scc1 .LBB140_5
; %bb.9:                                ;   in Loop: Header=BB140_6 Depth=1
	v_add_u32_e32 v128, s5, v107
	v_add_u32_e32 v0, v128, v85
	v_add_u32_e32 v2, v128, v92
	v_add_u32_e32 v4, v128, v94
	v_add_u32_e32 v6, v128, v96
	v_add_u32_e32 v90, v128, v98
	v_mad_i64_i32 v[0:1], s[8:9], v0, 36, v[86:87]
	v_mad_i64_i32 v[2:3], s[8:9], v2, 36, v[86:87]
	;; [unrolled: 1-line block ×5, first 2 shown]
	v_add_u32_e32 v124, v128, v100
	v_add_u32_e32 v126, v128, v102
	;; [unrolled: 1-line block ×3, first 2 shown]
	v_mad_i64_i32 v[124:125], s[8:9], v124, 36, v[86:87]
	v_mad_i64_i32 v[126:127], s[8:9], v126, 36, v[86:87]
	v_mad_i64_i32 v[128:129], s[8:9], v128, 36, v[86:87]
	global_load_dword v130, v[0:1], off offset:4
	s_nop 0
	global_load_dword v2, v[2:3], off offset:4
	s_nop 0
	;; [unrolled: 2-line block ×3, first 2 shown]
	global_load_dword v4, v[6:7], off offset:4
	global_load_dword v5, v[90:91], off offset:4
	s_nop 0
	global_load_dword v6, v[124:125], off offset:4
                                        ; kill: killed $vgpr124_vgpr125
                                        ; kill: killed $vgpr90_vgpr91
	global_load_dword v7, v[126:127], off offset:4
	global_load_dword v90, v[128:129], off offset:4
	v_add_u32_e32 v0, 4, v123
	v_mad_u64_u32 v[0:1], s[8:9], v0, 36, s[2:3]
	global_load_dword v0, v[0:1], off
	s_mov_b32 s7, 12
	v_mov_b32_e32 v123, v113
	v_mov_b32_e32 v124, v112
	;; [unrolled: 1-line block ×7, first 2 shown]
	s_waitcnt vmcnt(8)
	ds_write_b32 v89, v130
	s_waitcnt vmcnt(7)
	ds_write_b32 v93, v2
	;; [unrolled: 2-line block ×9, first 2 shown]
	s_waitcnt lgkmcnt(0)
	s_barrier
.LBB140_10:                             ;   Parent Loop BB140_6 Depth=1
                                        ; =>  This Inner Loop Header: Depth=2
	ds_read_b128 v[0:3], v124
	ds_read_b128 v[4:7], v124 offset:16
	ds_read2_b32 v[90:91], v123 offset1:32
	ds_read_b32 v130, v126
	ds_read2_b32 v[134:135], v125 offset1:1
	ds_read2_b32 v[138:139], v125 offset0:2 offset1:3
	v_mov_b32_e32 v140, 0
	v_add_u32_e32 v144, 0x1088, v125
	v_mov_b32_e32 v146, 0
	s_waitcnt lgkmcnt(1)
	v_and_b32_e32 v131, 0xf0f0f0f, v134
	v_lshrrev_b32_e32 v132, 4, v134
	v_and_b32_e32 v132, 0xf0f0f0f, v132
	v_dot4c_i32_i8_e32 v140, v131, v0
	v_dot4c_i32_i8_e32 v140, v132, v4
	v_and_b32_e32 v133, 0xf0f0f0f, v135
	v_lshrrev_b32_e32 v134, 4, v135
	v_and_b32_e32 v134, 0xf0f0f0f, v134
	v_dot4c_i32_i8_e32 v140, v133, v1
	v_dot4c_i32_i8_e32 v140, v134, v5
	s_waitcnt lgkmcnt(0)
	v_and_b32_e32 v135, 0xf0f0f0f, v138
	v_lshrrev_b32_e32 v136, 4, v138
	v_and_b32_e32 v136, 0xf0f0f0f, v136
	v_dot4c_i32_i8_e32 v140, v135, v2
	v_dot4c_i32_i8_e32 v140, v136, v6
	v_and_b32_e32 v137, 0xf0f0f0f, v139
	v_lshrrev_b32_e32 v138, 4, v139
	v_and_b32_e32 v138, 0xf0f0f0f, v138
	v_dot4c_i32_i8_e32 v140, v137, v3
	v_dot4c_i32_i8_e32 v140, v138, v7
	v_pk_mul_f16 v139, v90, v130
	v_mov_b32_e32 v158, 0
	v_mov_b32_e32 v162, 0
	v_cvt_f32_i32_e32 v140, v140
	s_add_i32 s7, s7, 4
	v_add_u32_e32 v126, 4, v126
	s_cmp_lt_u32 s7, 28
	v_fma_mix_f32 v139, v139, v140, v139 op_sel:[0,0,1] op_sel_hi:[1,0,1]
	v_add_u32_e32 v140, 0x1080, v125
	v_add_f32_e32 v81, v81, v139
	ds_read_b32 v139, v127
	ds_read2_b32 v[142:143], v140 offset1:1
	ds_read2_b32 v[148:149], v144 offset1:1
	v_add_u32_e32 v127, 4, v127
	s_waitcnt lgkmcnt(1)
	v_and_b32_e32 v140, 0xf0f0f0f, v142
	v_lshrrev_b32_e32 v141, 4, v142
	v_and_b32_e32 v141, 0xf0f0f0f, v141
	v_dot4c_i32_i8_e32 v146, v140, v0
	v_dot4c_i32_i8_e32 v146, v141, v4
	v_and_b32_e32 v142, 0xf0f0f0f, v143
	v_lshrrev_b32_e32 v143, 4, v143
	v_and_b32_e32 v143, 0xf0f0f0f, v143
	v_dot4c_i32_i8_e32 v146, v142, v1
	v_dot4c_i32_i8_e32 v146, v143, v5
	s_waitcnt lgkmcnt(0)
	v_and_b32_e32 v144, 0xf0f0f0f, v148
	v_lshrrev_b32_e32 v145, 4, v148
	v_and_b32_e32 v145, 0xf0f0f0f, v145
	v_dot4c_i32_i8_e32 v146, v144, v2
	v_dot4c_i32_i8_e32 v146, v145, v6
	v_and_b32_e32 v147, 0xf0f0f0f, v149
	v_lshrrev_b32_e32 v148, 4, v149
	v_and_b32_e32 v148, 0xf0f0f0f, v148
	v_dot4c_i32_i8_e32 v146, v147, v3
	v_dot4c_i32_i8_e32 v146, v148, v7
	v_pk_mul_f16 v149, v90, v139
	s_nop 1
	v_cvt_f32_i32_e32 v146, v146
	v_fma_mix_f32 v146, v149, v146, v149 op_sel:[0,0,1] op_sel_hi:[1,0,1]
	s_nop 0
	v_add_f32_e32 v79, v79, v146
	v_add_u32_e32 v149, 0x2100, v125
	ds_read_b32 v146, v128
	ds_read2_b32 v[152:153], v149 offset1:1
	v_add_u32_e32 v128, 4, v128
	s_waitcnt lgkmcnt(0)
	v_and_b32_e32 v149, 0xf0f0f0f, v152
	v_lshrrev_b32_e32 v150, 4, v152
	v_and_b32_e32 v151, 0xf0f0f0f, v153
	v_lshrrev_b32_e32 v152, 4, v153
	v_add_u32_e32 v153, 0x2108, v125
	ds_read2_b32 v[154:155], v153 offset1:1
	v_and_b32_e32 v150, 0xf0f0f0f, v150
	v_dot4c_i32_i8_e32 v158, v149, v0
	v_dot4c_i32_i8_e32 v158, v150, v4
	v_and_b32_e32 v152, 0xf0f0f0f, v152
	v_dot4c_i32_i8_e32 v158, v151, v1
	v_dot4c_i32_i8_e32 v158, v152, v5
	s_waitcnt lgkmcnt(0)
	v_and_b32_e32 v153, 0xf0f0f0f, v154
	v_lshrrev_b32_e32 v154, 4, v154
	v_and_b32_e32 v154, 0xf0f0f0f, v154
	v_dot4c_i32_i8_e32 v158, v153, v2
	v_dot4c_i32_i8_e32 v158, v154, v6
	v_and_b32_e32 v156, 0xf0f0f0f, v155
	v_lshrrev_b32_e32 v155, 4, v155
	v_and_b32_e32 v157, 0xf0f0f0f, v155
	v_dot4c_i32_i8_e32 v158, v156, v3
	v_dot4c_i32_i8_e32 v158, v157, v7
	v_pk_mul_f16 v155, v90, v146
	s_nop 1
	v_cvt_f32_i32_e32 v158, v158
	v_fma_mix_f32 v155, v155, v158, v155 op_sel:[0,0,1] op_sel_hi:[1,0,1]
	s_nop 0
	v_add_f32_e32 v77, v77, v155
	v_add_u32_e32 v158, 0x3180, v125
	ds_read_b32 v155, v129
	ds_read2_b32 v[160:161], v158 offset1:1
	v_add_u32_e32 v129, 4, v129
	s_waitcnt lgkmcnt(0)
	v_and_b32_e32 v158, 0xf0f0f0f, v160
	v_lshrrev_b32_e32 v159, 4, v160
	v_and_b32_e32 v159, 0xf0f0f0f, v159
	v_dot4c_i32_i8_e32 v162, v158, v0
	v_lshrrev_b32_e32 v0, 4, v161
	v_dot4c_i32_i8_e32 v162, v159, v4
	v_and_b32_e32 v4, 0xf0f0f0f, v161
	v_and_b32_e32 v160, 0xf0f0f0f, v0
	v_add_u32_e32 v0, 0x3188, v125
	v_dot4c_i32_i8_e32 v162, v4, v1
	ds_read2_b32 v[0:1], v0 offset1:1
	v_dot4c_i32_i8_e32 v162, v160, v5
	v_add_u32_e32 v125, 16, v125
	s_waitcnt lgkmcnt(0)
	v_and_b32_e32 v5, 0xf0f0f0f, v0
	v_lshrrev_b32_e32 v0, 4, v0
	v_and_b32_e32 v161, 0xf0f0f0f, v0
	v_dot4c_i32_i8_e32 v162, v5, v2
	v_dot4c_i32_i8_e32 v162, v161, v6
	v_and_b32_e32 v2, 0xf0f0f0f, v1
	v_lshrrev_b32_e32 v0, 4, v1
	v_and_b32_e32 v6, 0xf0f0f0f, v0
	v_dot4c_i32_i8_e32 v162, v2, v3
	v_dot4c_i32_i8_e32 v162, v6, v7
	v_pk_mul_f16 v0, v90, v155
	v_mov_b32_e32 v3, 0
	s_nop 0
	v_cvt_f32_i32_e32 v1, v162
	ds_read_b128 v[162:165], v124 offset:1024
	ds_read_b128 v[166:169], v124 offset:1040
	v_fma_mix_f32 v0, v0, v1, v0 op_sel:[0,0,1] op_sel_hi:[1,0,1]
	s_nop 0
	v_add_f32_e32 v73, v73, v0
	v_mov_b32_e32 v0, 0
	s_waitcnt lgkmcnt(1)
	v_dot4c_i32_i8_e32 v0, v131, v162
	s_waitcnt lgkmcnt(0)
	v_dot4c_i32_i8_e32 v0, v132, v166
	v_dot4c_i32_i8_e32 v0, v133, v163
	v_dot4c_i32_i8_e32 v0, v134, v167
	v_dot4c_i32_i8_e32 v0, v135, v164
	v_dot4c_i32_i8_e32 v0, v136, v168
	v_dot4c_i32_i8_e32 v0, v137, v165
	v_dot4c_i32_i8_e32 v0, v138, v169
	v_pk_mul_f16 v1, v130, v91
	s_nop 1
	v_cvt_f32_i32_e32 v0, v0
	v_fma_mix_f32 v0, v0, v1, v1 op_sel:[0,0,1] op_sel_hi:[0,1,1]
	v_add_f32_e32 v71, v71, v0
	v_mov_b32_e32 v0, 0
	v_dot4c_i32_i8_e32 v0, v140, v162
	v_dot4c_i32_i8_e32 v0, v141, v166
	v_dot4c_i32_i8_e32 v0, v142, v163
	v_dot4c_i32_i8_e32 v0, v143, v167
	v_dot4c_i32_i8_e32 v0, v144, v164
	v_dot4c_i32_i8_e32 v0, v145, v168
	v_dot4c_i32_i8_e32 v0, v147, v165
	v_dot4c_i32_i8_e32 v0, v148, v169
	v_pk_mul_f16 v1, v139, v91
	s_nop 1
	v_cvt_f32_i32_e32 v0, v0
	v_fma_mix_f32 v0, v0, v1, v1 op_sel:[0,0,1] op_sel_hi:[0,1,1]
	v_add_f32_e32 v69, v69, v0
	v_mov_b32_e32 v0, 0
	v_dot4c_i32_i8_e32 v0, v149, v162
	v_dot4c_i32_i8_e32 v0, v150, v166
	v_dot4c_i32_i8_e32 v0, v151, v163
	v_dot4c_i32_i8_e32 v0, v152, v167
	v_dot4c_i32_i8_e32 v0, v153, v164
	v_dot4c_i32_i8_e32 v0, v154, v168
	v_dot4c_i32_i8_e32 v0, v156, v165
	v_dot4c_i32_i8_e32 v0, v157, v169
	v_pk_mul_f16 v1, v146, v91
	s_nop 1
	v_cvt_f32_i32_e32 v0, v0
	v_fma_mix_f32 v0, v0, v1, v1 op_sel:[0,0,1] op_sel_hi:[0,1,1]
	v_add_f32_e32 v67, v67, v0
	v_mov_b32_e32 v0, 0
	v_dot4c_i32_i8_e32 v0, v158, v162
	v_dot4c_i32_i8_e32 v0, v159, v166
	v_dot4c_i32_i8_e32 v0, v4, v163
	;; [unrolled: 1-line block ×7, first 2 shown]
	v_pk_mul_f16 v1, v155, v91
	s_nop 1
	v_cvt_f32_i32_e32 v0, v0
	v_fma_mix_f32 v0, v0, v1, v1 op_sel:[0,0,1] op_sel_hi:[0,1,1]
	v_add_f32_e32 v65, v65, v0
	ds_read_b128 v[162:165], v124 offset:2048
	ds_read_b128 v[166:169], v124 offset:2064
	ds_read2_b32 v[0:1], v123 offset0:64 offset1:96
	s_waitcnt lgkmcnt(2)
	v_dot4c_i32_i8_e32 v3, v131, v162
	s_waitcnt lgkmcnt(1)
	v_dot4c_i32_i8_e32 v3, v132, v166
	v_dot4c_i32_i8_e32 v3, v133, v163
	;; [unrolled: 1-line block ×7, first 2 shown]
	s_waitcnt lgkmcnt(0)
	v_pk_mul_f16 v7, v130, v0
	s_nop 0
	v_cvt_f32_i32_e32 v3, v3
	v_fma_mix_f32 v3, v3, v7, v7 op_sel:[0,0,1] op_sel_hi:[0,1,1]
	v_add_f32_e32 v61, v61, v3
	v_mov_b32_e32 v3, 0
	v_dot4c_i32_i8_e32 v3, v140, v162
	v_dot4c_i32_i8_e32 v3, v141, v166
	;; [unrolled: 1-line block ×8, first 2 shown]
	v_pk_mul_f16 v7, v139, v0
	s_nop 1
	v_cvt_f32_i32_e32 v3, v3
	v_fma_mix_f32 v3, v3, v7, v7 op_sel:[0,0,1] op_sel_hi:[0,1,1]
	v_add_f32_e32 v59, v59, v3
	v_mov_b32_e32 v3, 0
	v_dot4c_i32_i8_e32 v3, v149, v162
	v_dot4c_i32_i8_e32 v3, v150, v166
	v_dot4c_i32_i8_e32 v3, v151, v163
	v_dot4c_i32_i8_e32 v3, v152, v167
	v_dot4c_i32_i8_e32 v3, v153, v164
	v_dot4c_i32_i8_e32 v3, v154, v168
	v_dot4c_i32_i8_e32 v3, v156, v165
	v_dot4c_i32_i8_e32 v3, v157, v169
	v_pk_mul_f16 v7, v146, v0
	v_pk_mul_f16 v0, v155, v0
	s_nop 0
	v_cvt_f32_i32_e32 v3, v3
	v_fma_mix_f32 v3, v3, v7, v7 op_sel:[0,0,1] op_sel_hi:[0,1,1]
	v_add_f32_e32 v57, v57, v3
	v_mov_b32_e32 v3, 0
	v_dot4c_i32_i8_e32 v3, v158, v162
	v_dot4c_i32_i8_e32 v3, v159, v166
	;; [unrolled: 1-line block ×8, first 2 shown]
	ds_read_b128 v[162:165], v124 offset:3072
	ds_read_b128 v[166:169], v124 offset:3088
	s_nop 0
	v_cvt_f32_i32_e32 v3, v3
	v_fma_mix_f32 v0, v3, v0, v0 op_sel:[0,0,1] op_sel_hi:[0,1,1]
	v_add_f32_e32 v55, v55, v0
	v_mov_b32_e32 v0, 0
	s_waitcnt lgkmcnt(1)
	v_dot4c_i32_i8_e32 v0, v131, v162
	s_waitcnt lgkmcnt(0)
	v_dot4c_i32_i8_e32 v0, v132, v166
	v_dot4c_i32_i8_e32 v0, v133, v163
	;; [unrolled: 1-line block ×7, first 2 shown]
	v_pk_mul_f16 v3, v130, v1
	s_nop 1
	v_cvt_f32_i32_e32 v0, v0
	v_fma_mix_f32 v0, v0, v3, v3 op_sel:[0,0,1] op_sel_hi:[0,1,1]
	v_add_f32_e32 v51, v51, v0
	v_mov_b32_e32 v0, 0
	v_dot4c_i32_i8_e32 v0, v140, v162
	v_dot4c_i32_i8_e32 v0, v141, v166
	;; [unrolled: 1-line block ×8, first 2 shown]
	v_pk_mul_f16 v3, v139, v1
	s_nop 1
	v_cvt_f32_i32_e32 v0, v0
	v_fma_mix_f32 v0, v0, v3, v3 op_sel:[0,0,1] op_sel_hi:[0,1,1]
	v_add_f32_e32 v47, v47, v0
	v_mov_b32_e32 v0, 0
	v_dot4c_i32_i8_e32 v0, v149, v162
	v_dot4c_i32_i8_e32 v0, v150, v166
	v_dot4c_i32_i8_e32 v0, v151, v163
	v_dot4c_i32_i8_e32 v0, v152, v167
	v_dot4c_i32_i8_e32 v0, v153, v164
	v_dot4c_i32_i8_e32 v0, v154, v168
	v_dot4c_i32_i8_e32 v0, v156, v165
	v_dot4c_i32_i8_e32 v0, v157, v169
	v_pk_mul_f16 v3, v146, v1
	v_pk_mul_f16 v1, v155, v1
	s_nop 0
	v_cvt_f32_i32_e32 v0, v0
	v_fma_mix_f32 v0, v0, v3, v3 op_sel:[0,0,1] op_sel_hi:[0,1,1]
	v_add_f32_e32 v45, v45, v0
	v_mov_b32_e32 v0, 0
	v_dot4c_i32_i8_e32 v0, v158, v162
	v_dot4c_i32_i8_e32 v0, v159, v166
	v_dot4c_i32_i8_e32 v0, v4, v163
	v_dot4c_i32_i8_e32 v0, v160, v167
	v_dot4c_i32_i8_e32 v0, v5, v164
	v_dot4c_i32_i8_e32 v0, v161, v168
	v_dot4c_i32_i8_e32 v0, v2, v165
	v_dot4c_i32_i8_e32 v0, v6, v169
	v_mov_b32_e32 v3, 0
	s_nop 1
	v_cvt_f32_i32_e32 v0, v0
	v_fma_mix_f32 v0, v0, v1, v1 op_sel:[0,0,1] op_sel_hi:[0,1,1]
	v_add_f32_e32 v43, v43, v0
	ds_read_b128 v[162:165], v124 offset:4096
	ds_read_b128 v[166:169], v124 offset:4112
	ds_read2_b32 v[0:1], v123 offset0:128 offset1:160
	s_waitcnt lgkmcnt(2)
	v_dot4c_i32_i8_e32 v3, v131, v162
	s_waitcnt lgkmcnt(1)
	v_dot4c_i32_i8_e32 v3, v132, v166
	v_dot4c_i32_i8_e32 v3, v133, v163
	;; [unrolled: 1-line block ×7, first 2 shown]
	s_waitcnt lgkmcnt(0)
	v_pk_mul_f16 v7, v130, v0
	s_nop 0
	v_cvt_f32_i32_e32 v3, v3
	v_fma_mix_f32 v3, v3, v7, v7 op_sel:[0,0,1] op_sel_hi:[0,1,1]
	v_add_f32_e32 v41, v41, v3
	v_mov_b32_e32 v3, 0
	v_dot4c_i32_i8_e32 v3, v140, v162
	v_dot4c_i32_i8_e32 v3, v141, v166
	;; [unrolled: 1-line block ×8, first 2 shown]
	v_pk_mul_f16 v7, v139, v0
	s_nop 1
	v_cvt_f32_i32_e32 v3, v3
	v_fma_mix_f32 v3, v3, v7, v7 op_sel:[0,0,1] op_sel_hi:[0,1,1]
	v_add_f32_e32 v39, v39, v3
	v_mov_b32_e32 v3, 0
	v_dot4c_i32_i8_e32 v3, v149, v162
	v_dot4c_i32_i8_e32 v3, v150, v166
	;; [unrolled: 1-line block ×8, first 2 shown]
	v_pk_mul_f16 v7, v146, v0
	v_pk_mul_f16 v0, v155, v0
	s_nop 0
	v_cvt_f32_i32_e32 v3, v3
	v_fma_mix_f32 v3, v3, v7, v7 op_sel:[0,0,1] op_sel_hi:[0,1,1]
	v_add_f32_e32 v37, v37, v3
	v_mov_b32_e32 v3, 0
	v_dot4c_i32_i8_e32 v3, v158, v162
	v_dot4c_i32_i8_e32 v3, v159, v166
	;; [unrolled: 1-line block ×8, first 2 shown]
	ds_read_b128 v[162:165], v124 offset:5120
	ds_read_b128 v[166:169], v124 offset:5136
	s_nop 0
	v_cvt_f32_i32_e32 v3, v3
	v_fma_mix_f32 v0, v3, v0, v0 op_sel:[0,0,1] op_sel_hi:[0,1,1]
	v_add_f32_e32 v35, v35, v0
	v_mov_b32_e32 v0, 0
	s_waitcnt lgkmcnt(1)
	v_dot4c_i32_i8_e32 v0, v131, v162
	s_waitcnt lgkmcnt(0)
	v_dot4c_i32_i8_e32 v0, v132, v166
	v_dot4c_i32_i8_e32 v0, v133, v163
	;; [unrolled: 1-line block ×7, first 2 shown]
	v_pk_mul_f16 v3, v130, v1
	s_nop 1
	v_cvt_f32_i32_e32 v0, v0
	v_fma_mix_f32 v0, v0, v3, v3 op_sel:[0,0,1] op_sel_hi:[0,1,1]
	v_add_f32_e32 v33, v33, v0
	v_mov_b32_e32 v0, 0
	v_dot4c_i32_i8_e32 v0, v140, v162
	v_dot4c_i32_i8_e32 v0, v141, v166
	;; [unrolled: 1-line block ×8, first 2 shown]
	v_pk_mul_f16 v3, v139, v1
	s_nop 1
	v_cvt_f32_i32_e32 v0, v0
	v_fma_mix_f32 v0, v0, v3, v3 op_sel:[0,0,1] op_sel_hi:[0,1,1]
	v_add_f32_e32 v31, v31, v0
	v_mov_b32_e32 v0, 0
	v_dot4c_i32_i8_e32 v0, v149, v162
	v_dot4c_i32_i8_e32 v0, v150, v166
	;; [unrolled: 1-line block ×8, first 2 shown]
	v_pk_mul_f16 v3, v146, v1
	v_pk_mul_f16 v1, v155, v1
	s_nop 0
	v_cvt_f32_i32_e32 v0, v0
	v_fma_mix_f32 v0, v0, v3, v3 op_sel:[0,0,1] op_sel_hi:[0,1,1]
	v_add_f32_e32 v29, v29, v0
	v_mov_b32_e32 v0, 0
	v_dot4c_i32_i8_e32 v0, v158, v162
	v_dot4c_i32_i8_e32 v0, v159, v166
	;; [unrolled: 1-line block ×8, first 2 shown]
	v_mov_b32_e32 v3, 0
	s_nop 1
	v_cvt_f32_i32_e32 v0, v0
	v_fma_mix_f32 v0, v0, v1, v1 op_sel:[0,0,1] op_sel_hi:[0,1,1]
	v_add_f32_e32 v27, v27, v0
	ds_read_b128 v[162:165], v124 offset:6144
	ds_read_b128 v[166:169], v124 offset:6160
	ds_read2_b32 v[0:1], v123 offset0:192 offset1:224
	v_add_u32_e32 v123, 4, v123
	s_waitcnt lgkmcnt(2)
	v_dot4c_i32_i8_e32 v3, v131, v162
	s_waitcnt lgkmcnt(1)
	v_dot4c_i32_i8_e32 v3, v132, v166
	v_dot4c_i32_i8_e32 v3, v133, v163
	v_dot4c_i32_i8_e32 v3, v134, v167
	v_dot4c_i32_i8_e32 v3, v135, v164
	v_dot4c_i32_i8_e32 v3, v136, v168
	v_dot4c_i32_i8_e32 v3, v137, v165
	v_dot4c_i32_i8_e32 v3, v138, v169
	s_waitcnt lgkmcnt(0)
	v_pk_mul_f16 v7, v130, v0
	s_nop 0
	v_cvt_f32_i32_e32 v3, v3
	v_fma_mix_f32 v3, v3, v7, v7 op_sel:[0,0,1] op_sel_hi:[0,1,1]
	v_add_f32_e32 v25, v25, v3
	v_mov_b32_e32 v3, 0
	v_dot4c_i32_i8_e32 v3, v140, v162
	v_dot4c_i32_i8_e32 v3, v141, v166
	;; [unrolled: 1-line block ×8, first 2 shown]
	v_pk_mul_f16 v7, v139, v0
	s_nop 1
	v_cvt_f32_i32_e32 v3, v3
	v_fma_mix_f32 v3, v3, v7, v7 op_sel:[0,0,1] op_sel_hi:[0,1,1]
	v_add_f32_e32 v23, v23, v3
	v_mov_b32_e32 v3, 0
	v_dot4c_i32_i8_e32 v3, v149, v162
	v_dot4c_i32_i8_e32 v3, v150, v166
	;; [unrolled: 1-line block ×8, first 2 shown]
	v_pk_mul_f16 v7, v146, v0
	v_pk_mul_f16 v0, v155, v0
	s_nop 0
	v_cvt_f32_i32_e32 v3, v3
	v_fma_mix_f32 v3, v3, v7, v7 op_sel:[0,0,1] op_sel_hi:[0,1,1]
	v_add_f32_e32 v21, v21, v3
	v_mov_b32_e32 v3, 0
	v_dot4c_i32_i8_e32 v3, v158, v162
	v_dot4c_i32_i8_e32 v3, v159, v166
	;; [unrolled: 1-line block ×8, first 2 shown]
	ds_read_b128 v[162:165], v124 offset:7168
	ds_read_b128 v[166:169], v124 offset:7184
	v_add_u32_e32 v124, 32, v124
	v_cvt_f32_i32_e32 v3, v3
	v_fma_mix_f32 v0, v3, v0, v0 op_sel:[0,0,1] op_sel_hi:[0,1,1]
	v_add_f32_e32 v19, v19, v0
	v_mov_b32_e32 v0, 0
	s_waitcnt lgkmcnt(1)
	v_dot4c_i32_i8_e32 v0, v131, v162
	s_waitcnt lgkmcnt(0)
	v_dot4c_i32_i8_e32 v0, v132, v166
	v_dot4c_i32_i8_e32 v0, v133, v163
	;; [unrolled: 1-line block ×7, first 2 shown]
	v_pk_mul_f16 v3, v130, v1
	s_nop 1
	v_cvt_f32_i32_e32 v0, v0
	v_fma_mix_f32 v0, v0, v3, v3 op_sel:[0,0,1] op_sel_hi:[0,1,1]
	v_add_f32_e32 v17, v17, v0
	v_mov_b32_e32 v0, 0
	v_dot4c_i32_i8_e32 v0, v140, v162
	v_dot4c_i32_i8_e32 v0, v141, v166
	;; [unrolled: 1-line block ×8, first 2 shown]
	v_pk_mul_f16 v3, v139, v1
	s_nop 1
	v_cvt_f32_i32_e32 v0, v0
	v_fma_mix_f32 v0, v0, v3, v3 op_sel:[0,0,1] op_sel_hi:[0,1,1]
	v_add_f32_e32 v15, v15, v0
	v_mov_b32_e32 v0, 0
	v_dot4c_i32_i8_e32 v0, v149, v162
	v_dot4c_i32_i8_e32 v0, v150, v166
	;; [unrolled: 1-line block ×8, first 2 shown]
	v_pk_mul_f16 v3, v146, v1
	v_pk_mul_f16 v1, v155, v1
	s_nop 0
	v_cvt_f32_i32_e32 v0, v0
	v_fma_mix_f32 v0, v0, v3, v3 op_sel:[0,0,1] op_sel_hi:[0,1,1]
	v_add_f32_e32 v13, v13, v0
	v_mov_b32_e32 v0, 0
	v_dot4c_i32_i8_e32 v0, v158, v162
	v_dot4c_i32_i8_e32 v0, v159, v166
	;; [unrolled: 1-line block ×8, first 2 shown]
	s_nop 2
	v_cvt_f32_i32_e32 v0, v0
	v_fma_mix_f32 v0, v0, v1, v1 op_sel:[0,0,1] op_sel_hi:[0,1,1]
	v_add_f32_e32 v9, v9, v0
	s_cbranch_scc1 .LBB140_10
; %bb.11:                               ;   in Loop: Header=BB140_6 Depth=1
	s_barrier
	s_branch .LBB140_5
.LBB140_12:
	v_mov_b32_e32 v1, v53
.LBB140_13:
	v_cmp_gt_u32_e32 vcc, s10, v63
	s_and_saveexec_b64 s[0:1], vcc
	s_cbranch_execz .LBB140_64
; %bb.14:
	v_add_u32_e32 v0, s6, v49
	v_mul_lo_u32 v5, v63, s14
	v_cmp_gt_u32_e32 vcc, s14, v0
	s_and_saveexec_b64 s[0:1], vcc
	s_cbranch_execz .LBB140_16
; %bb.15:
	v_cvt_f16_f32_e32 v4, v81
	v_add_u32_e32 v2, v0, v5
	v_mov_b32_e32 v3, 0
	s_waitcnt lgkmcnt(0)
	v_lshl_add_u64 v[2:3], v[2:3], 1, s[12:13]
	global_store_short v[2:3], v4, off
.LBB140_16:
	s_or_b64 exec, exec, s[0:1]
	v_add_u32_e32 v2, 32, v0
	v_cmp_gt_u32_e64 s[0:1], s14, v2
	s_and_saveexec_b64 s[2:3], s[0:1]
	s_cbranch_execz .LBB140_18
; %bb.17:
	v_cvt_f16_f32_e32 v3, v79
	v_add_u32_e32 v6, v2, v5
	v_mov_b32_e32 v7, 0
	s_waitcnt lgkmcnt(0)
	v_lshl_add_u64 v[6:7], v[6:7], 1, s[12:13]
	global_store_short v[6:7], v3, off
.LBB140_18:
	s_or_b64 exec, exec, s[2:3]
	v_add_u32_e32 v3, 64, v0
	v_cmp_gt_u32_e64 s[2:3], s14, v3
	s_and_saveexec_b64 s[4:5], s[2:3]
	;; [unrolled: 13-line block ×3, first 2 shown]
	s_cbranch_execz .LBB140_22
; %bb.21:
	v_cvt_f16_f32_e32 v8, v73
	v_add_u32_e32 v6, v4, v5
	v_mov_b32_e32 v7, 0
	s_waitcnt lgkmcnt(0)
	v_lshl_add_u64 v[6:7], v[6:7], 1, s[12:13]
	global_store_short v[6:7], v8, off
.LBB140_22:
	s_or_b64 exec, exec, s[6:7]
	v_add3_u32 v5, v1, s15, 8
	v_cmp_gt_u32_e64 s[6:7], s10, v5
	s_and_b64 exec, exec, s[6:7]
	s_cbranch_execz .LBB140_64
; %bb.23:
	v_mul_lo_u32 v5, v5, s14
	s_and_saveexec_b64 s[6:7], vcc
	s_cbranch_execnz .LBB140_65
; %bb.24:
	s_or_b64 exec, exec, s[6:7]
	s_and_saveexec_b64 s[6:7], s[0:1]
	s_cbranch_execnz .LBB140_66
.LBB140_25:
	s_or_b64 exec, exec, s[6:7]
	s_and_saveexec_b64 s[6:7], s[2:3]
	s_cbranch_execnz .LBB140_67
.LBB140_26:
	s_or_b64 exec, exec, s[6:7]
	s_and_saveexec_b64 s[6:7], s[4:5]
	s_cbranch_execz .LBB140_28
.LBB140_27:
	v_cvt_f16_f32_e32 v8, v65
	v_add_u32_e32 v6, v5, v4
	v_mov_b32_e32 v7, 0
	s_waitcnt lgkmcnt(0)
	v_lshl_add_u64 v[6:7], v[6:7], 1, s[12:13]
	global_store_short v[6:7], v8, off
.LBB140_28:
	s_or_b64 exec, exec, s[6:7]
	v_add3_u32 v5, v1, s15, 16
	v_cmp_gt_u32_e64 s[6:7], s10, v5
	s_and_b64 exec, exec, s[6:7]
	s_cbranch_execz .LBB140_64
; %bb.29:
	v_mul_lo_u32 v5, v5, s14
	s_and_saveexec_b64 s[6:7], vcc
	s_cbranch_execnz .LBB140_68
; %bb.30:
	s_or_b64 exec, exec, s[6:7]
	s_and_saveexec_b64 s[6:7], s[0:1]
	s_cbranch_execnz .LBB140_69
.LBB140_31:
	s_or_b64 exec, exec, s[6:7]
	s_and_saveexec_b64 s[6:7], s[2:3]
	s_cbranch_execnz .LBB140_70
.LBB140_32:
	s_or_b64 exec, exec, s[6:7]
	s_and_saveexec_b64 s[6:7], s[4:5]
	s_cbranch_execz .LBB140_34
.LBB140_33:
	v_cvt_f16_f32_e32 v8, v55
	v_add_u32_e32 v6, v5, v4
	v_mov_b32_e32 v7, 0
	s_waitcnt lgkmcnt(0)
	v_lshl_add_u64 v[6:7], v[6:7], 1, s[12:13]
	global_store_short v[6:7], v8, off
.LBB140_34:
	s_or_b64 exec, exec, s[6:7]
	v_add3_u32 v5, v1, s15, 24
	v_cmp_gt_u32_e64 s[6:7], s10, v5
	s_and_b64 exec, exec, s[6:7]
	s_cbranch_execz .LBB140_64
; %bb.35:
	v_mul_lo_u32 v5, v5, s14
	s_and_saveexec_b64 s[6:7], vcc
	s_cbranch_execnz .LBB140_71
; %bb.36:
	s_or_b64 exec, exec, s[6:7]
	s_and_saveexec_b64 s[6:7], s[0:1]
	s_cbranch_execnz .LBB140_72
.LBB140_37:
	s_or_b64 exec, exec, s[6:7]
	s_and_saveexec_b64 s[6:7], s[2:3]
	s_cbranch_execnz .LBB140_73
.LBB140_38:
	s_or_b64 exec, exec, s[6:7]
	s_and_saveexec_b64 s[6:7], s[4:5]
	s_cbranch_execz .LBB140_40
.LBB140_39:
	v_cvt_f16_f32_e32 v8, v43
	v_add_u32_e32 v6, v5, v4
	v_mov_b32_e32 v7, 0
	s_waitcnt lgkmcnt(0)
	v_lshl_add_u64 v[6:7], v[6:7], 1, s[12:13]
	global_store_short v[6:7], v8, off
.LBB140_40:
	s_or_b64 exec, exec, s[6:7]
	v_add3_u32 v5, v1, s15, 32
	v_cmp_gt_u32_e64 s[6:7], s10, v5
	s_and_b64 exec, exec, s[6:7]
	s_cbranch_execz .LBB140_64
; %bb.41:
	v_mul_lo_u32 v5, v5, s14
	s_and_saveexec_b64 s[6:7], vcc
	s_cbranch_execnz .LBB140_74
; %bb.42:
	s_or_b64 exec, exec, s[6:7]
	s_and_saveexec_b64 s[6:7], s[0:1]
	s_cbranch_execnz .LBB140_75
.LBB140_43:
	s_or_b64 exec, exec, s[6:7]
	s_and_saveexec_b64 s[6:7], s[2:3]
	s_cbranch_execnz .LBB140_76
.LBB140_44:
	s_or_b64 exec, exec, s[6:7]
	s_and_saveexec_b64 s[6:7], s[4:5]
	s_cbranch_execz .LBB140_46
.LBB140_45:
	v_cvt_f16_f32_e32 v8, v35
	v_add_u32_e32 v6, v5, v4
	v_mov_b32_e32 v7, 0
	s_waitcnt lgkmcnt(0)
	v_lshl_add_u64 v[6:7], v[6:7], 1, s[12:13]
	global_store_short v[6:7], v8, off
.LBB140_46:
	s_or_b64 exec, exec, s[6:7]
	v_add3_u32 v5, v1, s15, 40
	v_cmp_gt_u32_e64 s[6:7], s10, v5
	s_and_b64 exec, exec, s[6:7]
	s_cbranch_execz .LBB140_64
; %bb.47:
	v_mul_lo_u32 v5, v5, s14
	s_and_saveexec_b64 s[6:7], vcc
	s_cbranch_execnz .LBB140_77
; %bb.48:
	s_or_b64 exec, exec, s[6:7]
	s_and_saveexec_b64 s[6:7], s[0:1]
	s_cbranch_execnz .LBB140_78
.LBB140_49:
	s_or_b64 exec, exec, s[6:7]
	s_and_saveexec_b64 s[6:7], s[2:3]
	s_cbranch_execnz .LBB140_79
.LBB140_50:
	s_or_b64 exec, exec, s[6:7]
	s_and_saveexec_b64 s[6:7], s[4:5]
	s_cbranch_execz .LBB140_52
.LBB140_51:
	v_cvt_f16_f32_e32 v8, v27
	v_add_u32_e32 v6, v5, v4
	v_mov_b32_e32 v7, 0
	s_waitcnt lgkmcnt(0)
	v_lshl_add_u64 v[6:7], v[6:7], 1, s[12:13]
	global_store_short v[6:7], v8, off
.LBB140_52:
	s_or_b64 exec, exec, s[6:7]
	v_add3_u32 v5, v1, s15, 48
	v_cmp_gt_u32_e64 s[6:7], s10, v5
	s_and_b64 exec, exec, s[6:7]
	s_cbranch_execz .LBB140_64
; %bb.53:
	v_mul_lo_u32 v5, v5, s14
	s_and_saveexec_b64 s[6:7], vcc
	s_cbranch_execnz .LBB140_80
; %bb.54:
	s_or_b64 exec, exec, s[6:7]
	s_and_saveexec_b64 s[6:7], s[0:1]
	s_cbranch_execnz .LBB140_81
.LBB140_55:
	s_or_b64 exec, exec, s[6:7]
	s_and_saveexec_b64 s[6:7], s[2:3]
	s_cbranch_execnz .LBB140_82
.LBB140_56:
	s_or_b64 exec, exec, s[6:7]
	s_and_saveexec_b64 s[6:7], s[4:5]
	s_cbranch_execz .LBB140_58
.LBB140_57:
	v_cvt_f16_f32_e32 v8, v19
	v_add_u32_e32 v6, v5, v4
	v_mov_b32_e32 v7, 0
	s_waitcnt lgkmcnt(0)
	v_lshl_add_u64 v[6:7], v[6:7], 1, s[12:13]
	global_store_short v[6:7], v8, off
.LBB140_58:
	s_or_b64 exec, exec, s[6:7]
	v_add3_u32 v1, v1, s15, 56
	v_cmp_gt_u32_e64 s[6:7], s10, v1
	s_and_b64 exec, exec, s[6:7]
	s_cbranch_execz .LBB140_64
; %bb.59:
	v_mul_lo_u32 v1, v1, s14
	s_and_saveexec_b64 s[6:7], vcc
	s_cbranch_execnz .LBB140_83
; %bb.60:
	s_or_b64 exec, exec, s[6:7]
	s_and_saveexec_b64 s[6:7], s[0:1]
	s_cbranch_execnz .LBB140_84
.LBB140_61:
	s_or_b64 exec, exec, s[6:7]
	s_and_saveexec_b64 s[0:1], s[2:3]
	s_cbranch_execnz .LBB140_85
.LBB140_62:
	s_or_b64 exec, exec, s[0:1]
	s_and_b64 exec, exec, s[4:5]
	s_cbranch_execz .LBB140_64
.LBB140_63:
	v_cvt_f16_f32_e32 v2, v9
	v_add_u32_e32 v0, v1, v4
	v_mov_b32_e32 v1, 0
	s_waitcnt lgkmcnt(0)
	v_lshl_add_u64 v[0:1], v[0:1], 1, s[12:13]
	global_store_short v[0:1], v2, off
.LBB140_64:
	s_endpgm
.LBB140_65:
	v_cvt_f16_f32_e32 v8, v71
	v_add_u32_e32 v6, v5, v0
	v_mov_b32_e32 v7, 0
	s_waitcnt lgkmcnt(0)
	v_lshl_add_u64 v[6:7], v[6:7], 1, s[12:13]
	global_store_short v[6:7], v8, off
	s_or_b64 exec, exec, s[6:7]
	s_and_saveexec_b64 s[6:7], s[0:1]
	s_cbranch_execz .LBB140_25
.LBB140_66:
	v_cvt_f16_f32_e32 v8, v69
	v_add_u32_e32 v6, v5, v2
	v_mov_b32_e32 v7, 0
	s_waitcnt lgkmcnt(0)
	v_lshl_add_u64 v[6:7], v[6:7], 1, s[12:13]
	global_store_short v[6:7], v8, off
	s_or_b64 exec, exec, s[6:7]
	s_and_saveexec_b64 s[6:7], s[2:3]
	s_cbranch_execz .LBB140_26
.LBB140_67:
	v_cvt_f16_f32_e32 v8, v67
	v_add_u32_e32 v6, v5, v3
	v_mov_b32_e32 v7, 0
	s_waitcnt lgkmcnt(0)
	v_lshl_add_u64 v[6:7], v[6:7], 1, s[12:13]
	global_store_short v[6:7], v8, off
	s_or_b64 exec, exec, s[6:7]
	s_and_saveexec_b64 s[6:7], s[4:5]
	s_cbranch_execnz .LBB140_27
	s_branch .LBB140_28
.LBB140_68:
	v_cvt_f16_f32_e32 v8, v61
	v_add_u32_e32 v6, v5, v0
	v_mov_b32_e32 v7, 0
	s_waitcnt lgkmcnt(0)
	v_lshl_add_u64 v[6:7], v[6:7], 1, s[12:13]
	global_store_short v[6:7], v8, off
	s_or_b64 exec, exec, s[6:7]
	s_and_saveexec_b64 s[6:7], s[0:1]
	s_cbranch_execz .LBB140_31
.LBB140_69:
	v_cvt_f16_f32_e32 v8, v59
	v_add_u32_e32 v6, v5, v2
	v_mov_b32_e32 v7, 0
	s_waitcnt lgkmcnt(0)
	v_lshl_add_u64 v[6:7], v[6:7], 1, s[12:13]
	global_store_short v[6:7], v8, off
	s_or_b64 exec, exec, s[6:7]
	s_and_saveexec_b64 s[6:7], s[2:3]
	s_cbranch_execz .LBB140_32
.LBB140_70:
	v_cvt_f16_f32_e32 v8, v57
	v_add_u32_e32 v6, v5, v3
	v_mov_b32_e32 v7, 0
	s_waitcnt lgkmcnt(0)
	v_lshl_add_u64 v[6:7], v[6:7], 1, s[12:13]
	global_store_short v[6:7], v8, off
	s_or_b64 exec, exec, s[6:7]
	s_and_saveexec_b64 s[6:7], s[4:5]
	s_cbranch_execnz .LBB140_33
	s_branch .LBB140_34
.LBB140_71:
	v_cvt_f16_f32_e32 v8, v51
	v_add_u32_e32 v6, v5, v0
	v_mov_b32_e32 v7, 0
	s_waitcnt lgkmcnt(0)
	v_lshl_add_u64 v[6:7], v[6:7], 1, s[12:13]
	global_store_short v[6:7], v8, off
	s_or_b64 exec, exec, s[6:7]
	s_and_saveexec_b64 s[6:7], s[0:1]
	s_cbranch_execz .LBB140_37
.LBB140_72:
	v_cvt_f16_f32_e32 v8, v47
	v_add_u32_e32 v6, v5, v2
	v_mov_b32_e32 v7, 0
	s_waitcnt lgkmcnt(0)
	v_lshl_add_u64 v[6:7], v[6:7], 1, s[12:13]
	global_store_short v[6:7], v8, off
	s_or_b64 exec, exec, s[6:7]
	s_and_saveexec_b64 s[6:7], s[2:3]
	s_cbranch_execz .LBB140_38
.LBB140_73:
	v_cvt_f16_f32_e32 v8, v45
	v_add_u32_e32 v6, v5, v3
	v_mov_b32_e32 v7, 0
	s_waitcnt lgkmcnt(0)
	v_lshl_add_u64 v[6:7], v[6:7], 1, s[12:13]
	global_store_short v[6:7], v8, off
	s_or_b64 exec, exec, s[6:7]
	s_and_saveexec_b64 s[6:7], s[4:5]
	s_cbranch_execnz .LBB140_39
	s_branch .LBB140_40
.LBB140_74:
	v_cvt_f16_f32_e32 v8, v41
	v_add_u32_e32 v6, v5, v0
	v_mov_b32_e32 v7, 0
	s_waitcnt lgkmcnt(0)
	v_lshl_add_u64 v[6:7], v[6:7], 1, s[12:13]
	global_store_short v[6:7], v8, off
	s_or_b64 exec, exec, s[6:7]
	s_and_saveexec_b64 s[6:7], s[0:1]
	s_cbranch_execz .LBB140_43
.LBB140_75:
	v_cvt_f16_f32_e32 v8, v39
	v_add_u32_e32 v6, v5, v2
	v_mov_b32_e32 v7, 0
	s_waitcnt lgkmcnt(0)
	v_lshl_add_u64 v[6:7], v[6:7], 1, s[12:13]
	global_store_short v[6:7], v8, off
	s_or_b64 exec, exec, s[6:7]
	s_and_saveexec_b64 s[6:7], s[2:3]
	s_cbranch_execz .LBB140_44
.LBB140_76:
	v_cvt_f16_f32_e32 v8, v37
	v_add_u32_e32 v6, v5, v3
	v_mov_b32_e32 v7, 0
	s_waitcnt lgkmcnt(0)
	v_lshl_add_u64 v[6:7], v[6:7], 1, s[12:13]
	global_store_short v[6:7], v8, off
	s_or_b64 exec, exec, s[6:7]
	s_and_saveexec_b64 s[6:7], s[4:5]
	s_cbranch_execnz .LBB140_45
	s_branch .LBB140_46
.LBB140_77:
	v_cvt_f16_f32_e32 v8, v33
	v_add_u32_e32 v6, v5, v0
	v_mov_b32_e32 v7, 0
	s_waitcnt lgkmcnt(0)
	v_lshl_add_u64 v[6:7], v[6:7], 1, s[12:13]
	global_store_short v[6:7], v8, off
	s_or_b64 exec, exec, s[6:7]
	s_and_saveexec_b64 s[6:7], s[0:1]
	s_cbranch_execz .LBB140_49
.LBB140_78:
	v_cvt_f16_f32_e32 v8, v31
	v_add_u32_e32 v6, v5, v2
	v_mov_b32_e32 v7, 0
	s_waitcnt lgkmcnt(0)
	v_lshl_add_u64 v[6:7], v[6:7], 1, s[12:13]
	global_store_short v[6:7], v8, off
	s_or_b64 exec, exec, s[6:7]
	s_and_saveexec_b64 s[6:7], s[2:3]
	s_cbranch_execz .LBB140_50
.LBB140_79:
	v_cvt_f16_f32_e32 v8, v29
	v_add_u32_e32 v6, v5, v3
	v_mov_b32_e32 v7, 0
	s_waitcnt lgkmcnt(0)
	v_lshl_add_u64 v[6:7], v[6:7], 1, s[12:13]
	global_store_short v[6:7], v8, off
	s_or_b64 exec, exec, s[6:7]
	s_and_saveexec_b64 s[6:7], s[4:5]
	s_cbranch_execnz .LBB140_51
	s_branch .LBB140_52
.LBB140_80:
	v_cvt_f16_f32_e32 v8, v25
	v_add_u32_e32 v6, v5, v0
	v_mov_b32_e32 v7, 0
	s_waitcnt lgkmcnt(0)
	v_lshl_add_u64 v[6:7], v[6:7], 1, s[12:13]
	global_store_short v[6:7], v8, off
	s_or_b64 exec, exec, s[6:7]
	s_and_saveexec_b64 s[6:7], s[0:1]
	s_cbranch_execz .LBB140_55
.LBB140_81:
	v_cvt_f16_f32_e32 v8, v23
	v_add_u32_e32 v6, v5, v2
	v_mov_b32_e32 v7, 0
	s_waitcnt lgkmcnt(0)
	v_lshl_add_u64 v[6:7], v[6:7], 1, s[12:13]
	global_store_short v[6:7], v8, off
	s_or_b64 exec, exec, s[6:7]
	s_and_saveexec_b64 s[6:7], s[2:3]
	s_cbranch_execz .LBB140_56
.LBB140_82:
	v_cvt_f16_f32_e32 v8, v21
	v_add_u32_e32 v6, v5, v3
	v_mov_b32_e32 v7, 0
	s_waitcnt lgkmcnt(0)
	v_lshl_add_u64 v[6:7], v[6:7], 1, s[12:13]
	global_store_short v[6:7], v8, off
	s_or_b64 exec, exec, s[6:7]
	s_and_saveexec_b64 s[6:7], s[4:5]
	s_cbranch_execnz .LBB140_57
	s_branch .LBB140_58
.LBB140_83:
	v_cvt_f16_f32_e32 v5, v17
	v_add_u32_e32 v6, v1, v0
	v_mov_b32_e32 v7, 0
	s_waitcnt lgkmcnt(0)
	v_lshl_add_u64 v[6:7], v[6:7], 1, s[12:13]
	global_store_short v[6:7], v5, off
	s_or_b64 exec, exec, s[6:7]
	s_and_saveexec_b64 s[6:7], s[0:1]
	s_cbranch_execz .LBB140_61
.LBB140_84:
	v_cvt_f16_f32_e32 v0, v15
	v_add_u32_e32 v6, v1, v2
	v_mov_b32_e32 v7, 0
	s_waitcnt lgkmcnt(0)
	v_lshl_add_u64 v[6:7], v[6:7], 1, s[12:13]
	global_store_short v[6:7], v0, off
	s_or_b64 exec, exec, s[6:7]
	s_and_saveexec_b64 s[0:1], s[2:3]
	s_cbranch_execz .LBB140_62
.LBB140_85:
	v_cvt_f16_f32_e32 v0, v13
	v_add_u32_e32 v2, v1, v3
	v_mov_b32_e32 v3, 0
	s_waitcnt lgkmcnt(0)
	v_lshl_add_u64 v[2:3], v[2:3], 1, s[12:13]
	global_store_short v[2:3], v0, off
	s_or_b64 exec, exec, s[0:1]
	s_and_b64 exec, exec, s[4:5]
	s_cbranch_execnz .LBB140_63
	s_branch .LBB140_64
	.section	.rodata,"a",@progbits
	.p2align	6, 0x0
	.amdhsa_kernel _ZL12mul_mat_q4_1IN3c104HalfELb1EEvPKvS3_PT_iiiii
		.amdhsa_group_segment_fixed_size 30336
		.amdhsa_private_segment_fixed_size 0
		.amdhsa_kernarg_size 44
		.amdhsa_user_sgpr_count 2
		.amdhsa_user_sgpr_dispatch_ptr 0
		.amdhsa_user_sgpr_queue_ptr 0
		.amdhsa_user_sgpr_kernarg_segment_ptr 1
		.amdhsa_user_sgpr_dispatch_id 0
		.amdhsa_user_sgpr_kernarg_preload_length 0
		.amdhsa_user_sgpr_kernarg_preload_offset 0
		.amdhsa_user_sgpr_private_segment_size 0
		.amdhsa_uses_dynamic_stack 0
		.amdhsa_enable_private_segment 0
		.amdhsa_system_sgpr_workgroup_id_x 1
		.amdhsa_system_sgpr_workgroup_id_y 1
		.amdhsa_system_sgpr_workgroup_id_z 0
		.amdhsa_system_sgpr_workgroup_info 0
		.amdhsa_system_vgpr_workitem_id 1
		.amdhsa_next_free_vgpr 172
		.amdhsa_next_free_sgpr 18
		.amdhsa_accum_offset 172
		.amdhsa_reserve_vcc 1
		.amdhsa_float_round_mode_32 0
		.amdhsa_float_round_mode_16_64 0
		.amdhsa_float_denorm_mode_32 3
		.amdhsa_float_denorm_mode_16_64 3
		.amdhsa_dx10_clamp 1
		.amdhsa_ieee_mode 1
		.amdhsa_fp16_overflow 0
		.amdhsa_tg_split 0
		.amdhsa_exception_fp_ieee_invalid_op 0
		.amdhsa_exception_fp_denorm_src 0
		.amdhsa_exception_fp_ieee_div_zero 0
		.amdhsa_exception_fp_ieee_overflow 0
		.amdhsa_exception_fp_ieee_underflow 0
		.amdhsa_exception_fp_ieee_inexact 0
		.amdhsa_exception_int_div_zero 0
	.end_amdhsa_kernel
	.section	.text._ZL12mul_mat_q4_1IN3c104HalfELb1EEvPKvS3_PT_iiiii,"axG",@progbits,_ZL12mul_mat_q4_1IN3c104HalfELb1EEvPKvS3_PT_iiiii,comdat
.Lfunc_end140:
	.size	_ZL12mul_mat_q4_1IN3c104HalfELb1EEvPKvS3_PT_iiiii, .Lfunc_end140-_ZL12mul_mat_q4_1IN3c104HalfELb1EEvPKvS3_PT_iiiii
                                        ; -- End function
	.section	.AMDGPU.csdata,"",@progbits
; Kernel info:
; codeLenInByte = 10660
; NumSgprs: 24
; NumVgprs: 172
; NumAgprs: 0
; TotalNumVgprs: 172
; ScratchSize: 0
; MemoryBound: 0
; FloatMode: 240
; IeeeMode: 1
; LDSByteSize: 30336 bytes/workgroup (compile time only)
; SGPRBlocks: 2
; VGPRBlocks: 21
; NumSGPRsForWavesPerEU: 24
; NumVGPRsForWavesPerEU: 172
; AccumOffset: 172
; Occupancy: 2
; WaveLimiterHint : 0
; COMPUTE_PGM_RSRC2:SCRATCH_EN: 0
; COMPUTE_PGM_RSRC2:USER_SGPR: 2
; COMPUTE_PGM_RSRC2:TRAP_HANDLER: 0
; COMPUTE_PGM_RSRC2:TGID_X_EN: 1
; COMPUTE_PGM_RSRC2:TGID_Y_EN: 1
; COMPUTE_PGM_RSRC2:TGID_Z_EN: 0
; COMPUTE_PGM_RSRC2:TIDIG_COMP_CNT: 1
; COMPUTE_PGM_RSRC3_GFX90A:ACCUM_OFFSET: 42
; COMPUTE_PGM_RSRC3_GFX90A:TG_SPLIT: 0
	.section	.text._ZL12mul_mat_q5_0IN3c104HalfELb0EEvPKvS3_PT_iiiii,"axG",@progbits,_ZL12mul_mat_q5_0IN3c104HalfELb0EEvPKvS3_PT_iiiii,comdat
	.globl	_ZL12mul_mat_q5_0IN3c104HalfELb0EEvPKvS3_PT_iiiii ; -- Begin function _ZL12mul_mat_q5_0IN3c104HalfELb0EEvPKvS3_PT_iiiii
	.p2align	8
	.type	_ZL12mul_mat_q5_0IN3c104HalfELb0EEvPKvS3_PT_iiiii,@function
_ZL12mul_mat_q5_0IN3c104HalfELb0EEvPKvS3_PT_iiiii: ; @_ZL12mul_mat_q5_0IN3c104HalfELb0EEvPKvS3_PT_iiiii
; %bb.0:
	s_load_dword s15, s[0:1], 0x18
	s_load_dwordx4 s[8:11], s[0:1], 0x20
	s_waitcnt lgkmcnt(0)
	s_lshl_b32 s11, s3, 6
	v_bfe_u32 v33, v0, 10, 10
	s_cmp_gt_i32 s15, 31
	s_cbranch_scc1 .LBB141_2
; %bb.1:
	v_bfe_u32 v30, v0, 10, 10
	s_mov_b32 s4, 0
	v_and_b32_e32 v1, 0x3ff, v0
	v_add_u32_e32 v35, s11, v30
	s_mov_b32 s5, s4
	s_mov_b64 s[6:7], 0
	s_branch .LBB141_3
.LBB141_2:
	s_mov_b64 s[6:7], -1
                                        ; implicit-def: $sgpr4_sgpr5
                                        ; implicit-def: $vgpr30
                                        ; implicit-def: $vgpr1
                                        ; implicit-def: $vgpr35
.LBB141_3:
	s_load_dwordx2 s[12:13], s[0:1], 0x10
	s_lshl_b32 s14, s2, 7
	s_andn2_b64 vcc, exec, s[6:7]
	v_mov_b64_e32 v[2:3], s[4:5]
	v_mov_b64_e32 v[10:11], s[4:5]
	;; [unrolled: 1-line block ×16, first 2 shown]
	s_cbranch_vccnz .LBB141_13
; %bb.4:
	s_ashr_i32 s4, s15, 31
	s_load_dwordx4 s[0:3], s[0:1], 0x0
	s_lshr_b32 s4, s4, 27
	s_ashr_i32 s5, s9, 31
	s_add_i32 s4, s15, s4
	s_lshr_b32 s5, s5, 27
	s_ashr_i32 s6, s4, 5
	s_add_i32 s5, s9, s5
	s_ashr_i32 s15, s5, 5
	s_mul_i32 s5, s6, s14
	s_mul_hi_i32 s9, s5, 22
	s_mul_i32 s5, s5, 22
	s_waitcnt lgkmcnt(0)
	s_add_u32 s7, s0, s5
	s_addc_u32 s9, s1, s9
	v_mul_lo_u32 v32, s6, v33
	s_lshl_b32 s5, s6, 3
	v_add_u32_e32 v34, s5, v32
	v_add_u32_e32 v36, s5, v34
	;; [unrolled: 1-line block ×11, first 2 shown]
	v_and_b32_e32 v1, 0x3ff, v0
	v_add_u32_e32 v60, s5, v58
	v_lshlrev_b32_e32 v3, 3, v1
	s_movk_i32 s1, 0x104
	v_add_u32_e32 v62, s5, v60
	v_lshrrev_b32_e32 v73, 3, v1
	v_mad_u32_u24 v37, v33, s1, v3
	v_add_u32_e32 v64, s5, v62
	v_and_b32_e32 v68, 7, v1
	v_lshl_add_u32 v3, v33, 2, v73
	v_add_u32_e32 v66, s5, v64
	v_and_b32_e32 v4, 0x7fc, v3
	v_lshlrev_b32_e32 v5, 2, v68
	s_mov_b32 s5, 0xa200
	v_add3_u32 v8, v4, v5, s5
	v_add_u32_e32 v4, 32, v3
	v_mul_lo_u32 v70, s6, v3
	v_lshlrev_b32_e32 v9, 5, v3
	v_and_b32_e32 v6, 0xffc, v4
	v_lshlrev_b32_e32 v11, 5, v4
	v_add_u32_e32 v4, 64, v3
	v_add_u32_e32 v3, 0x60, v3
	v_lshrrev_b32_e32 v0, 2, v1
	s_andn2_b32 s4, s4, 31
	v_add3_u32 v10, v6, v5, s5
	v_and_b32_e32 v6, 0xffc, v4
	v_lshlrev_b32_e32 v13, 5, v4
	v_and_b32_e32 v4, 0xffc, v3
	v_lshlrev_b32_e32 v15, 5, v3
	v_lshlrev_b32_e32 v3, 2, v1
	v_mov_b32_e32 v31, 0
	v_add_u32_e32 v72, s4, v70
	v_add3_u32 v12, v6, v5, s5
	v_and_b32_e32 v6, 28, v3
	v_lshl_add_u32 v3, v33, 3, v0
	v_add_u32_e32 v74, s4, v72
	v_mov_b32_e32 v7, v31
	v_and_b32_e32 v3, 63, v3
	v_and_b32_e32 v2, 3, v1
	v_add_u32_e32 v76, s4, v74
	s_add_i32 s4, s8, -1
	v_lshl_add_u64 v[78:79], s[2:3], 0, v[6:7]
	v_or_b32_e32 v6, s11, v3
	v_lshlrev_b32_e32 v30, 2, v2
	v_min_i32_e32 v6, s4, v6
	v_add3_u32 v14, v4, v5, s5
	v_add_u32_e32 v35, s11, v33
	v_cvt_f64_i32_e32 v[4:5], s4
	v_mad_u64_u32 v[80:81], s[4:5], v6, s15, v[2:3]
	v_lshl_or_b32 v2, v3, 4, v30
	v_add_u32_e32 v75, 0xb280, v2
	v_cvt_f64_u32_e32 v[2:3], v35
	v_min_f64 v[2:3], v[2:3], v[4:5]
	v_cvt_i32_f64_e32 v2, v[2:3]
	v_mul_lo_u32 v77, s15, v2
	v_add_u32_e32 v2, 8, v35
	v_cvt_f64_u32_e32 v[2:3], v2
	v_min_f64 v[2:3], v[2:3], v[4:5]
	v_cvt_i32_f64_e32 v2, v[2:3]
	v_mul_lo_u32 v85, s15, v2
	;; [unrolled: 5-line block ×8, first 2 shown]
	v_add_u32_e32 v2, 32, v1
	v_lshlrev_b32_e32 v5, 5, v1
	v_lshrrev_b32_e32 v136, 3, v2
	v_and_b32_e32 v2, 0x1fc, v2
	v_and_b32_e32 v16, 31, v1
	v_lshlrev_b32_e32 v6, 7, v33
	v_add_u32_e32 v2, v5, v2
	s_mov_b32 s0, 0
	v_lshl_or_b32 v7, v16, 2, v6
	v_add_u32_e32 v3, 64, v1
	v_add_u32_e32 v4, 0x60, v1
	;; [unrolled: 1-line block ×4, first 2 shown]
	v_mov_b32_e32 v2, 0x80
	v_add_u32_e32 v81, 0x8200, v7
	v_add_u32_e32 v87, 0x8600, v7
	;; [unrolled: 1-line block ×8, first 2 shown]
	v_and_b32_e32 v4, 0x1fc, v4
	v_and_b32_e32 v3, 0x1fc, v3
	;; [unrolled: 1-line block ×3, first 2 shown]
	v_mad_u32_u24 v147, v1, s1, v2
	s_mov_b32 s1, s0
	v_add_u32_e32 v4, v5, v4
	v_add_u32_e32 v3, v5, v3
	;; [unrolled: 1-line block ×4, first 2 shown]
	v_mov_b32_e32 v6, 0xb280
	v_mov_b64_e32 v[46:47], s[0:1]
	v_add_u32_e32 v41, 0x820, v37
	v_add_u32_e32 v43, 0x1040, v37
	;; [unrolled: 1-line block ×15, first 2 shown]
	v_mul_u32_u24_e32 v135, 0x104, v1
	v_add_u32_e32 v137, 0xae00, v4
	v_add_u32_e32 v138, 0xaa00, v3
	;; [unrolled: 1-line block ×3, first 2 shown]
	v_lshl_add_u32 v142, v33, 4, v6
	v_add_u32_e32 v143, 0xae10, v4
	v_add_u32_e32 v144, 0xaa10, v3
	;; [unrolled: 1-line block ×3, first 2 shown]
	s_movk_i32 s1, 0x1f00
	s_movk_i32 s15, 0xf000
	;; [unrolled: 1-line block ×3, first 2 shown]
	v_add_u32_e32 v148, v8, v9
	v_add_u32_e32 v149, v10, v11
	;; [unrolled: 1-line block ×4, first 2 shown]
	v_mov_b32_e32 v152, 8
	v_mov_b64_e32 v[24:25], v[46:47]
	v_mov_b64_e32 v[16:17], v[46:47]
	;; [unrolled: 1-line block ×15, first 2 shown]
	s_branch .LBB141_6
.LBB141_5:                              ;   in Loop: Header=BB141_6 Depth=1
	s_add_i32 s0, s0, 8
	s_cmp_ge_i32 s0, s6
	s_cbranch_scc1 .LBB141_12
.LBB141_6:                              ; =>This Loop Header: Depth=1
                                        ;     Child Loop BB141_7 Depth 2
                                        ;     Child Loop BB141_10 Depth 2
	s_mul_i32 s4, s0, 22
	s_mul_hi_u32 s5, s0, 22
	s_add_u32 s4, s7, s4
	s_addc_u32 s5, s9, s5
	v_mad_u64_u32 v[82:83], s[18:19], v0, 22, s[4:5]
	v_mad_u64_u32 v[88:89], s[18:19], v32, 22, v[82:83]
	v_lshl_add_u64 v[92:93], v[88:89], 0, v[30:31]
	v_mad_u64_u32 v[98:99], s[18:19], v40, 22, v[82:83]
	v_mad_u64_u32 v[94:95], s[18:19], v34, 22, v[82:83]
	;; [unrolled: 1-line block ×3, first 2 shown]
	global_load_dword v84, v[98:99], off offset:2
	global_load_dword v86, v[96:97], off offset:2
	;; [unrolled: 1-line block ×4, first 2 shown]
	s_nop 0
	global_load_dword v92, v[92:93], off offset:6
	v_lshl_add_u64 v[88:89], v[94:95], 0, v[30:31]
	global_load_dword v93, v[88:89], off offset:6
	v_lshl_add_u64 v[88:89], v[96:97], 0, v[30:31]
	;; [unrolled: 2-line block ×3, first 2 shown]
	global_load_dword v107, v[88:89], off offset:6
	v_mov_b32_e32 v153, v142
	v_mov_b32_e32 v154, v141
	;; [unrolled: 1-line block ×7, first 2 shown]
	s_waitcnt vmcnt(7)
	v_ashrrev_i32_e32 v84, v30, v84
	s_waitcnt vmcnt(6)
	v_ashrrev_i32_e32 v86, v30, v86
	s_waitcnt vmcnt(5)
	v_ashrrev_i32_e32 v90, v30, v90
	s_waitcnt vmcnt(4)
	v_ashrrev_i32_e32 v88, v30, v100
	v_lshlrev_b32_e32 v95, 4, v88
	v_lshlrev_b32_e32 v96, 11, v88
	;; [unrolled: 1-line block ×4, first 2 shown]
	v_lshrrev_b32_e32 v99, 12, v88
	v_lshrrev_b32_e32 v100, 5, v88
	v_lshlrev_b32_e32 v101, 2, v88
	s_waitcnt vmcnt(3)
	v_and_b32_e32 v89, 0xf0f0f0f, v92
	v_lshrrev_b32_e32 v92, 4, v92
	v_lshlrev_b32_e32 v88, 9, v88
	v_lshlrev_b32_e32 v102, 4, v90
	v_lshlrev_b32_e32 v103, 11, v90
	v_lshlrev_b32_e32 v104, 18, v90
	v_lshlrev_b32_e32 v105, 25, v90
	v_and_b32_e32 v95, 16, v95
	v_and_b32_e32 v96, 0x1000, v96
	;; [unrolled: 1-line block ×7, first 2 shown]
	s_waitcnt vmcnt(2)
	v_and_b32_e32 v94, 0xf0f0f0f, v93
	v_and_b32_e32 v92, 0xf0f0f0f, v92
	;; [unrolled: 1-line block ×7, first 2 shown]
	v_or3_b32 v95, v95, v89, v96
	v_or3_b32 v89, v89, v97, v98
	;; [unrolled: 1-line block ×5, first 2 shown]
	v_and_b32_e32 v98, 0x1f00, v95
	v_lshlrev_b16_e32 v95, 8, v95
	v_and_b32_sdwa v99, v89, s1 dst_sel:DWORD dst_unused:UNUSED_PAD src0_sel:WORD_1 src1_sel:DWORD
	v_lshlrev_b16_sdwa v89, v152, v89 dst_sel:DWORD dst_unused:UNUSED_PAD src0_sel:DWORD src1_sel:WORD_1
	v_or3_b32 v88, v96, v88, v92
	v_and_b32_e32 v92, 0x1f00, v97
	v_lshlrev_b16_e32 v96, 8, v97
	v_and_b32_sdwa v97, v94, s1 dst_sel:DWORD dst_unused:UNUSED_PAD src0_sel:WORD_1 src1_sel:DWORD
	v_lshlrev_b16_sdwa v94, v152, v94 dst_sel:DWORD dst_unused:UNUSED_PAD src0_sel:DWORD src1_sel:WORD_1
	v_add_u16_e32 v95, 0xf000, v95
	v_add_u16_e32 v89, 0xf000, v89
	v_lshlrev_b16_e32 v101, 8, v88
	v_and_b32_sdwa v102, v88, s16 dst_sel:DWORD dst_unused:UNUSED_PAD src0_sel:WORD_1 src1_sel:DWORD
	v_and_b32_e32 v100, 0x1f00, v88
	v_lshlrev_b16_sdwa v88, v152, v88 dst_sel:DWORD dst_unused:UNUSED_PAD src0_sel:DWORD src1_sel:WORD_1
	v_add_u16_e32 v96, 0xf000, v96
	v_add_u16_e32 v94, 0xf000, v94
	v_or_b32_sdwa v95, v98, v95 dst_sel:DWORD dst_unused:UNUSED_PAD src0_sel:DWORD src1_sel:BYTE_1
	v_or_b32_sdwa v89, v99, v89 dst_sel:DWORD dst_unused:UNUSED_PAD src0_sel:DWORD src1_sel:BYTE_1
	v_add_i16 v98, v101, s15 clamp
	v_add_i16 v99, v102, s15 clamp
	;; [unrolled: 1-line block ×3, first 2 shown]
	v_or_b32_sdwa v92, v92, v96 dst_sel:DWORD dst_unused:UNUSED_PAD src0_sel:DWORD src1_sel:BYTE_1
	v_or_b32_sdwa v94, v97, v94 dst_sel:DWORD dst_unused:UNUSED_PAD src0_sel:DWORD src1_sel:BYTE_1
	v_add_u16_e32 v95, 0xf000, v95
	v_add_u16_sdwa v89, v89, s15 dst_sel:WORD_1 dst_unused:UNUSED_PAD src0_sel:DWORD src1_sel:DWORD
	v_or_b32_sdwa v96, v100, v98 dst_sel:DWORD dst_unused:UNUSED_PAD src0_sel:DWORD src1_sel:BYTE_1
	v_and_b32_e32 v97, 0xffffff00, v99
	v_or_b32_e32 v89, v95, v89
	v_add_u16_e32 v95, 0xf000, v96
	v_or_b32_sdwa v88, v88, v97 dst_sel:WORD_1 dst_unused:UNUSED_PAD src0_sel:BYTE_1 src1_sel:DWORD
	v_add_u16_e32 v92, 0xf000, v92
	v_add_u16_sdwa v94, v94, s15 dst_sel:WORD_1 dst_unused:UNUSED_PAD src0_sel:DWORD src1_sel:DWORD
	v_or_b32_e32 v88, v95, v88
	v_or_b32_e32 v92, v92, v94
	ds_write2_b32 v37, v89, v88 offset1:1
	v_lshrrev_b32_e32 v88, 4, v93
	v_lshrrev_b32_e32 v89, 12, v90
	;; [unrolled: 1-line block ×3, first 2 shown]
	v_lshlrev_b32_e32 v94, 2, v90
	v_and_b32_e32 v89, 16, v89
	v_and_b32_e32 v93, 0x1000, v93
	;; [unrolled: 1-line block ×3, first 2 shown]
	v_lshlrev_b32_e32 v90, 9, v90
	v_and_b32_e32 v88, 0xf0f0f0f, v88
	v_and_b32_e32 v90, 0x10000000, v90
	v_or3_b32 v89, v93, v89, v94
	v_or3_b32 v88, v89, v90, v88
	v_lshlrev_b16_e32 v90, 8, v88
	v_and_b32_e32 v89, 0x1f00, v88
	v_add_i16 v90, v90, s15 clamp
	v_or_b32_sdwa v89, v89, v90 dst_sel:DWORD dst_unused:UNUSED_PAD src0_sel:DWORD src1_sel:BYTE_1
	v_and_b32_sdwa v90, v88, s16 dst_sel:DWORD dst_unused:UNUSED_PAD src0_sel:WORD_1 src1_sel:DWORD
	v_add_i16 v90, v90, s15 clamp
	v_lshlrev_b16_sdwa v88, v152, v88 dst_sel:DWORD dst_unused:UNUSED_PAD src0_sel:DWORD src1_sel:WORD_1
	v_and_b32_e32 v90, 0xffffff00, v90
	v_add_i16 v88, v88, s15 clamp
	v_add_u16_e32 v89, 0xf000, v89
	v_or_b32_sdwa v88, v88, v90 dst_sel:WORD_1 dst_unused:UNUSED_PAD src0_sel:BYTE_1 src1_sel:DWORD
	v_lshlrev_b32_e32 v90, 11, v86
	v_or_b32_e32 v88, v89, v88
	v_lshlrev_b32_e32 v89, 4, v86
	ds_write2_b32 v41, v92, v88 offset1:1
	s_waitcnt vmcnt(1)
	v_and_b32_e32 v88, 0xf0f0f0f, v106
	v_and_b32_e32 v89, 16, v89
	v_and_b32_e32 v90, 0x1000, v90
	v_or3_b32 v89, v89, v88, v90
	v_lshlrev_b32_e32 v90, 18, v86
	v_lshlrev_b32_e32 v92, 25, v86
	v_and_b32_e32 v90, 0x100000, v90
	v_and_b32_e32 v92, 0x10000000, v92
	v_or3_b32 v90, v88, v90, v92
	v_and_b32_e32 v88, 0x1f00, v89
	v_lshlrev_b16_e32 v89, 8, v89
	v_add_u16_e32 v89, 0xf000, v89
	v_or_b32_sdwa v88, v88, v89 dst_sel:DWORD dst_unused:UNUSED_PAD src0_sel:DWORD src1_sel:BYTE_1
	v_add_u16_e32 v108, 0xf000, v88
	v_mad_u64_u32 v[88:89], s[18:19], v42, 22, v[82:83]
	v_mad_u64_u32 v[94:95], s[18:19], v44, 22, v[82:83]
	;; [unrolled: 1-line block ×3, first 2 shown]
	v_lshl_add_u64 v[92:93], v[88:89], 0, v[30:31]
	v_lshl_add_u64 v[96:97], v[94:95], 0, v[30:31]
	v_mad_u64_u32 v[98:99], s[18:19], v48, 22, v[82:83]
	v_lshl_add_u64 v[104:105], v[102:103], 0, v[30:31]
	v_lshl_add_u64 v[100:101], v[98:99], 0, v[30:31]
	global_load_dword v109, v[104:105], off offset:6
	global_load_dword v110, v[102:103], off offset:2
	;; [unrolled: 1-line block ×3, first 2 shown]
	s_nop 0
	global_load_dword v98, v[98:99], off offset:2
	s_nop 0
	global_load_dword v96, v[96:97], off offset:6
	;; [unrolled: 2-line block ×5, first 2 shown]
	v_and_b32_sdwa v89, v90, s1 dst_sel:DWORD dst_unused:UNUSED_PAD src0_sel:WORD_1 src1_sel:DWORD
	v_lshlrev_b16_sdwa v90, v152, v90 dst_sel:DWORD dst_unused:UNUSED_PAD src0_sel:DWORD src1_sel:WORD_1
	v_add_u16_e32 v90, 0xf000, v90
	v_lshrrev_b32_e32 v93, 12, v86
	v_lshrrev_b32_e32 v95, 5, v86
	v_lshlrev_b32_e32 v97, 2, v86
	v_or_b32_sdwa v89, v89, v90 dst_sel:DWORD dst_unused:UNUSED_PAD src0_sel:DWORD src1_sel:BYTE_1
	v_lshrrev_b32_e32 v90, 4, v106
	v_and_b32_e32 v93, 16, v93
	v_and_b32_e32 v95, 0x1000, v95
	;; [unrolled: 1-line block ×3, first 2 shown]
	v_lshlrev_b32_e32 v86, 9, v86
	v_and_b32_e32 v90, 0xf0f0f0f, v90
	v_and_b32_e32 v86, 0x10000000, v86
	v_or3_b32 v93, v95, v93, v97
	v_or3_b32 v86, v93, v86, v90
	v_lshlrev_b16_e32 v93, 8, v86
	v_and_b32_e32 v90, 0x1f00, v86
	v_add_i16 v93, v93, s15 clamp
	v_or_b32_sdwa v90, v90, v93 dst_sel:DWORD dst_unused:UNUSED_PAD src0_sel:DWORD src1_sel:BYTE_1
	v_and_b32_sdwa v93, v86, s16 dst_sel:DWORD dst_unused:UNUSED_PAD src0_sel:WORD_1 src1_sel:DWORD
	v_add_i16 v93, v93, s15 clamp
	v_lshlrev_b16_sdwa v86, v152, v86 dst_sel:DWORD dst_unused:UNUSED_PAD src0_sel:DWORD src1_sel:WORD_1
	v_and_b32_e32 v93, 0xffffff00, v93
	v_add_i16 v86, v86, s15 clamp
	v_add_u16_sdwa v89, v89, s15 dst_sel:WORD_1 dst_unused:UNUSED_PAD src0_sel:DWORD src1_sel:DWORD
	v_add_u16_e32 v90, 0xf000, v90
	v_or_b32_sdwa v86, v86, v93 dst_sel:WORD_1 dst_unused:UNUSED_PAD src0_sel:BYTE_1 src1_sel:DWORD
	v_or_b32_e32 v89, v108, v89
	v_or_b32_e32 v86, v90, v86
	ds_write2_b32 v43, v89, v86 offset1:1
	v_lshlrev_b32_e32 v89, 4, v84
	v_lshlrev_b32_e32 v90, 11, v84
	s_waitcnt vmcnt(8)
	v_and_b32_e32 v86, 0xf0f0f0f, v107
	v_and_b32_e32 v89, 16, v89
	;; [unrolled: 1-line block ×3, first 2 shown]
	v_or3_b32 v89, v89, v86, v90
	v_lshlrev_b32_e32 v90, 18, v84
	v_lshlrev_b32_e32 v93, 25, v84
	v_and_b32_e32 v90, 0x100000, v90
	v_and_b32_e32 v93, 0x10000000, v93
	v_or3_b32 v86, v86, v90, v93
	v_and_b32_e32 v90, 0x1f00, v89
	v_lshlrev_b16_e32 v89, 8, v89
	v_add_u16_e32 v89, 0xf000, v89
	v_or_b32_sdwa v89, v90, v89 dst_sel:DWORD dst_unused:UNUSED_PAD src0_sel:DWORD src1_sel:BYTE_1
	v_and_b32_sdwa v90, v86, s1 dst_sel:DWORD dst_unused:UNUSED_PAD src0_sel:WORD_1 src1_sel:DWORD
	v_lshlrev_b16_sdwa v86, v152, v86 dst_sel:DWORD dst_unused:UNUSED_PAD src0_sel:DWORD src1_sel:WORD_1
	v_add_u16_e32 v86, 0xf000, v86
	v_or_b32_sdwa v86, v90, v86 dst_sel:DWORD dst_unused:UNUSED_PAD src0_sel:DWORD src1_sel:BYTE_1
	v_add_u16_e32 v89, 0xf000, v89
	v_add_u16_sdwa v86, v86, s15 dst_sel:WORD_1 dst_unused:UNUSED_PAD src0_sel:DWORD src1_sel:DWORD
	v_lshrrev_b32_e32 v90, 12, v84
	v_lshrrev_b32_e32 v93, 5, v84
	v_lshlrev_b32_e32 v95, 2, v84
	v_or_b32_e32 v86, v89, v86
	v_lshrrev_b32_e32 v89, 4, v107
	v_and_b32_e32 v90, 16, v90
	v_and_b32_e32 v93, 0x1000, v93
	;; [unrolled: 1-line block ×3, first 2 shown]
	v_lshlrev_b32_e32 v84, 9, v84
	v_and_b32_e32 v89, 0xf0f0f0f, v89
	v_and_b32_e32 v84, 0x10000000, v84
	v_or3_b32 v90, v93, v90, v95
	v_or3_b32 v84, v90, v84, v89
	v_lshlrev_b16_e32 v90, 8, v84
	v_and_b32_e32 v89, 0x1f00, v84
	v_add_i16 v90, v90, s15 clamp
	v_or_b32_sdwa v89, v89, v90 dst_sel:DWORD dst_unused:UNUSED_PAD src0_sel:DWORD src1_sel:BYTE_1
	v_and_b32_sdwa v90, v84, s16 dst_sel:DWORD dst_unused:UNUSED_PAD src0_sel:WORD_1 src1_sel:DWORD
	v_add_i16 v90, v90, s15 clamp
	v_lshlrev_b16_sdwa v84, v152, v84 dst_sel:DWORD dst_unused:UNUSED_PAD src0_sel:DWORD src1_sel:WORD_1
	v_and_b32_e32 v90, 0xffffff00, v90
	v_add_i16 v84, v84, s15 clamp
	v_add_u16_e32 v89, 0xf000, v89
	v_or_b32_sdwa v84, v84, v90 dst_sel:WORD_1 dst_unused:UNUSED_PAD src0_sel:BYTE_1 src1_sel:DWORD
	v_mad_u64_u32 v[102:103], s[18:19], v58, 22, v[82:83]
	v_or_b32_e32 v84, v89, v84
	ds_write2_b32 v45, v86, v84 offset1:1
	s_waitcnt vmcnt(0)
	v_ashrrev_i32_e32 v84, v30, v88
	v_lshlrev_b32_e32 v88, 4, v84
	v_lshlrev_b32_e32 v89, 11, v84
	v_and_b32_e32 v86, 0xf0f0f0f, v92
	v_and_b32_e32 v88, 16, v88
	;; [unrolled: 1-line block ×3, first 2 shown]
	v_or3_b32 v88, v88, v86, v89
	v_lshlrev_b32_e32 v89, 18, v84
	v_lshlrev_b32_e32 v90, 25, v84
	v_and_b32_e32 v89, 0x100000, v89
	v_and_b32_e32 v90, 0x10000000, v90
	v_or3_b32 v86, v86, v89, v90
	v_and_b32_e32 v89, 0x1f00, v88
	v_lshlrev_b16_e32 v88, 8, v88
	v_add_u16_e32 v88, 0xf000, v88
	v_or_b32_sdwa v88, v89, v88 dst_sel:DWORD dst_unused:UNUSED_PAD src0_sel:DWORD src1_sel:BYTE_1
	v_and_b32_sdwa v89, v86, s1 dst_sel:DWORD dst_unused:UNUSED_PAD src0_sel:WORD_1 src1_sel:DWORD
	v_lshlrev_b16_sdwa v86, v152, v86 dst_sel:DWORD dst_unused:UNUSED_PAD src0_sel:DWORD src1_sel:WORD_1
	v_add_u16_e32 v86, 0xf000, v86
	v_or_b32_sdwa v86, v89, v86 dst_sel:DWORD dst_unused:UNUSED_PAD src0_sel:DWORD src1_sel:BYTE_1
	v_add_u16_e32 v88, 0xf000, v88
	v_add_u16_sdwa v86, v86, s15 dst_sel:WORD_1 dst_unused:UNUSED_PAD src0_sel:DWORD src1_sel:DWORD
	v_lshrrev_b32_e32 v89, 12, v84
	v_or_b32_e32 v86, v88, v86
	v_lshrrev_b32_e32 v88, 4, v92
	v_lshrrev_b32_e32 v90, 5, v84
	v_lshlrev_b32_e32 v92, 2, v84
	v_and_b32_e32 v89, 16, v89
	v_and_b32_e32 v90, 0x1000, v90
	;; [unrolled: 1-line block ×3, first 2 shown]
	v_lshlrev_b32_e32 v84, 9, v84
	v_and_b32_e32 v88, 0xf0f0f0f, v88
	v_and_b32_e32 v84, 0x10000000, v84
	v_or3_b32 v89, v90, v89, v92
	v_or3_b32 v84, v89, v84, v88
	v_lshlrev_b16_e32 v89, 8, v84
	v_and_b32_e32 v88, 0x1f00, v84
	v_add_i16 v89, v89, s15 clamp
	v_or_b32_sdwa v88, v88, v89 dst_sel:DWORD dst_unused:UNUSED_PAD src0_sel:DWORD src1_sel:BYTE_1
	v_and_b32_sdwa v89, v84, s16 dst_sel:DWORD dst_unused:UNUSED_PAD src0_sel:WORD_1 src1_sel:DWORD
	v_add_i16 v89, v89, s15 clamp
	v_lshlrev_b16_sdwa v84, v152, v84 dst_sel:DWORD dst_unused:UNUSED_PAD src0_sel:DWORD src1_sel:WORD_1
	v_and_b32_e32 v89, 0xffffff00, v89
	v_add_i16 v84, v84, s15 clamp
	v_add_u16_e32 v88, 0xf000, v88
	v_or_b32_sdwa v84, v84, v89 dst_sel:WORD_1 dst_unused:UNUSED_PAD src0_sel:BYTE_1 src1_sel:DWORD
	v_lshl_add_u64 v[104:105], v[102:103], 0, v[30:31]
	v_or_b32_e32 v84, v88, v84
	ds_write2_b32 v49, v86, v84 offset1:1
	v_ashrrev_i32_e32 v84, v30, v94
	v_lshlrev_b32_e32 v88, 4, v84
	v_lshlrev_b32_e32 v89, 11, v84
	v_and_b32_e32 v86, 0xf0f0f0f, v96
	v_and_b32_e32 v88, 16, v88
	;; [unrolled: 1-line block ×3, first 2 shown]
	v_or3_b32 v88, v88, v86, v89
	v_lshlrev_b32_e32 v89, 18, v84
	v_lshlrev_b32_e32 v90, 25, v84
	v_and_b32_e32 v89, 0x100000, v89
	v_and_b32_e32 v90, 0x10000000, v90
	v_or3_b32 v86, v86, v89, v90
	v_and_b32_e32 v89, 0x1f00, v88
	v_lshlrev_b16_e32 v88, 8, v88
	v_add_u16_e32 v88, 0xf000, v88
	v_or_b32_sdwa v88, v89, v88 dst_sel:DWORD dst_unused:UNUSED_PAD src0_sel:DWORD src1_sel:BYTE_1
	v_and_b32_sdwa v89, v86, s1 dst_sel:DWORD dst_unused:UNUSED_PAD src0_sel:WORD_1 src1_sel:DWORD
	v_lshlrev_b16_sdwa v86, v152, v86 dst_sel:DWORD dst_unused:UNUSED_PAD src0_sel:DWORD src1_sel:WORD_1
	v_add_u16_e32 v86, 0xf000, v86
	v_or_b32_sdwa v86, v89, v86 dst_sel:DWORD dst_unused:UNUSED_PAD src0_sel:DWORD src1_sel:BYTE_1
	v_add_u16_e32 v88, 0xf000, v88
	v_add_u16_sdwa v86, v86, s15 dst_sel:WORD_1 dst_unused:UNUSED_PAD src0_sel:DWORD src1_sel:DWORD
	v_lshrrev_b32_e32 v89, 12, v84
	v_lshrrev_b32_e32 v90, 5, v84
	v_lshlrev_b32_e32 v92, 2, v84
	v_or_b32_e32 v86, v88, v86
	v_lshrrev_b32_e32 v88, 4, v96
	v_and_b32_e32 v89, 16, v89
	v_and_b32_e32 v90, 0x1000, v90
	;; [unrolled: 1-line block ×3, first 2 shown]
	v_lshlrev_b32_e32 v84, 9, v84
	v_and_b32_e32 v88, 0xf0f0f0f, v88
	v_and_b32_e32 v84, 0x10000000, v84
	v_or3_b32 v89, v90, v89, v92
	v_or3_b32 v84, v89, v84, v88
	v_lshlrev_b16_e32 v89, 8, v84
	v_and_b32_e32 v88, 0x1f00, v84
	v_add_i16 v89, v89, s15 clamp
	v_or_b32_sdwa v88, v88, v89 dst_sel:DWORD dst_unused:UNUSED_PAD src0_sel:DWORD src1_sel:BYTE_1
	v_and_b32_sdwa v89, v84, s16 dst_sel:DWORD dst_unused:UNUSED_PAD src0_sel:WORD_1 src1_sel:DWORD
	v_add_i16 v89, v89, s15 clamp
	v_lshlrev_b16_sdwa v84, v152, v84 dst_sel:DWORD dst_unused:UNUSED_PAD src0_sel:DWORD src1_sel:WORD_1
	v_and_b32_e32 v89, 0xffffff00, v89
	v_add_i16 v84, v84, s15 clamp
	v_add_u16_e32 v88, 0xf000, v88
	v_or_b32_sdwa v84, v84, v89 dst_sel:WORD_1 dst_unused:UNUSED_PAD src0_sel:BYTE_1 src1_sel:DWORD
	v_mad_u64_u32 v[94:95], s[18:19], v54, 22, v[82:83]
	v_or_b32_e32 v84, v88, v84
	ds_write2_b32 v51, v86, v84 offset1:1
	v_ashrrev_i32_e32 v84, v30, v98
	v_lshlrev_b32_e32 v88, 4, v84
	v_lshlrev_b32_e32 v89, 11, v84
	v_and_b32_e32 v86, 0xf0f0f0f, v111
	v_and_b32_e32 v88, 16, v88
	;; [unrolled: 1-line block ×3, first 2 shown]
	v_or3_b32 v88, v88, v86, v89
	v_lshlrev_b32_e32 v89, 18, v84
	v_lshlrev_b32_e32 v90, 25, v84
	v_and_b32_e32 v89, 0x100000, v89
	v_and_b32_e32 v90, 0x10000000, v90
	v_or3_b32 v86, v86, v89, v90
	v_and_b32_e32 v89, 0x1f00, v88
	v_lshlrev_b16_e32 v88, 8, v88
	v_add_u16_e32 v88, 0xf000, v88
	v_or_b32_sdwa v88, v89, v88 dst_sel:DWORD dst_unused:UNUSED_PAD src0_sel:DWORD src1_sel:BYTE_1
	v_add_u16_e32 v90, 0xf000, v88
	v_mad_u64_u32 v[88:89], s[18:19], v52, 22, v[82:83]
	v_lshl_add_u64 v[92:93], v[88:89], 0, v[30:31]
	v_lshl_add_u64 v[96:97], v[94:95], 0, v[30:31]
	v_mad_u64_u32 v[98:99], s[18:19], v56, 22, v[82:83]
	v_lshl_add_u64 v[100:101], v[98:99], 0, v[30:31]
	global_load_dword v104, v[104:105], off offset:6
	s_nop 0
	global_load_dword v105, v[102:103], off offset:2
	global_load_dword v106, v[100:101], off offset:6
	s_nop 0
	global_load_dword v98, v[98:99], off offset:2
	s_nop 0
	;; [unrolled: 2-line block ×5, first 2 shown]
	global_load_dword v88, v[88:89], off offset:2
	v_and_b32_sdwa v89, v86, s1 dst_sel:DWORD dst_unused:UNUSED_PAD src0_sel:WORD_1 src1_sel:DWORD
	v_lshlrev_b16_sdwa v86, v152, v86 dst_sel:DWORD dst_unused:UNUSED_PAD src0_sel:DWORD src1_sel:WORD_1
	v_add_u16_e32 v86, 0xf000, v86
	v_or_b32_sdwa v86, v89, v86 dst_sel:DWORD dst_unused:UNUSED_PAD src0_sel:DWORD src1_sel:BYTE_1
	v_add_u16_sdwa v86, v86, s15 dst_sel:WORD_1 dst_unused:UNUSED_PAD src0_sel:DWORD src1_sel:DWORD
	v_lshrrev_b32_e32 v93, 5, v84
	v_or_b32_e32 v86, v90, v86
	v_lshrrev_b32_e32 v90, 12, v84
	v_lshlrev_b32_e32 v95, 2, v84
	v_lshrrev_b32_e32 v89, 4, v111
	v_and_b32_e32 v90, 16, v90
	v_and_b32_e32 v93, 0x1000, v93
	;; [unrolled: 1-line block ×3, first 2 shown]
	v_lshlrev_b32_e32 v84, 9, v84
	v_and_b32_e32 v89, 0xf0f0f0f, v89
	v_and_b32_e32 v84, 0x10000000, v84
	v_or3_b32 v90, v93, v90, v95
	v_or3_b32 v84, v90, v84, v89
	v_lshlrev_b16_e32 v90, 8, v84
	v_and_b32_e32 v89, 0x1f00, v84
	v_add_i16 v90, v90, s15 clamp
	v_or_b32_sdwa v89, v89, v90 dst_sel:DWORD dst_unused:UNUSED_PAD src0_sel:DWORD src1_sel:BYTE_1
	v_and_b32_sdwa v90, v84, s16 dst_sel:DWORD dst_unused:UNUSED_PAD src0_sel:WORD_1 src1_sel:DWORD
	v_add_i16 v90, v90, s15 clamp
	v_lshlrev_b16_sdwa v84, v152, v84 dst_sel:DWORD dst_unused:UNUSED_PAD src0_sel:DWORD src1_sel:WORD_1
	v_and_b32_e32 v90, 0xffffff00, v90
	v_add_i16 v84, v84, s15 clamp
	v_add_u16_e32 v89, 0xf000, v89
	v_or_b32_sdwa v84, v84, v90 dst_sel:WORD_1 dst_unused:UNUSED_PAD src0_sel:BYTE_1 src1_sel:DWORD
	s_nop 0
	v_or_b32_e32 v84, v89, v84
	ds_write2_b32 v53, v86, v84 offset1:1
	v_ashrrev_i32_e32 v84, v30, v110
	v_lshlrev_b32_e32 v89, 4, v84
	v_lshlrev_b32_e32 v90, 11, v84
	v_and_b32_e32 v86, 0xf0f0f0f, v109
	v_and_b32_e32 v89, 16, v89
	;; [unrolled: 1-line block ×3, first 2 shown]
	v_or3_b32 v89, v89, v86, v90
	v_lshlrev_b32_e32 v90, 18, v84
	v_lshlrev_b32_e32 v93, 25, v84
	v_and_b32_e32 v90, 0x100000, v90
	v_and_b32_e32 v93, 0x10000000, v93
	v_or3_b32 v86, v86, v90, v93
	v_and_b32_e32 v90, 0x1f00, v89
	v_lshlrev_b16_e32 v89, 8, v89
	v_add_u16_e32 v89, 0xf000, v89
	v_or_b32_sdwa v89, v90, v89 dst_sel:DWORD dst_unused:UNUSED_PAD src0_sel:DWORD src1_sel:BYTE_1
	v_and_b32_sdwa v90, v86, s1 dst_sel:DWORD dst_unused:UNUSED_PAD src0_sel:WORD_1 src1_sel:DWORD
	v_lshlrev_b16_sdwa v86, v152, v86 dst_sel:DWORD dst_unused:UNUSED_PAD src0_sel:DWORD src1_sel:WORD_1
	v_add_u16_e32 v86, 0xf000, v86
	v_or_b32_sdwa v86, v90, v86 dst_sel:DWORD dst_unused:UNUSED_PAD src0_sel:DWORD src1_sel:BYTE_1
	v_add_u16_e32 v89, 0xf000, v89
	v_add_u16_sdwa v86, v86, s15 dst_sel:WORD_1 dst_unused:UNUSED_PAD src0_sel:DWORD src1_sel:DWORD
	v_lshrrev_b32_e32 v90, 12, v84
	v_lshrrev_b32_e32 v93, 5, v84
	v_lshlrev_b32_e32 v95, 2, v84
	v_or_b32_e32 v86, v89, v86
	v_lshrrev_b32_e32 v89, 4, v109
	v_and_b32_e32 v90, 16, v90
	v_and_b32_e32 v93, 0x1000, v93
	;; [unrolled: 1-line block ×3, first 2 shown]
	v_lshlrev_b32_e32 v84, 9, v84
	v_and_b32_e32 v89, 0xf0f0f0f, v89
	v_and_b32_e32 v84, 0x10000000, v84
	v_or3_b32 v90, v93, v90, v95
	v_or3_b32 v84, v90, v84, v89
	v_lshlrev_b16_e32 v90, 8, v84
	v_and_b32_e32 v89, 0x1f00, v84
	v_add_i16 v90, v90, s15 clamp
	v_or_b32_sdwa v89, v89, v90 dst_sel:DWORD dst_unused:UNUSED_PAD src0_sel:DWORD src1_sel:BYTE_1
	v_and_b32_sdwa v90, v84, s16 dst_sel:DWORD dst_unused:UNUSED_PAD src0_sel:WORD_1 src1_sel:DWORD
	v_add_i16 v90, v90, s15 clamp
	v_lshlrev_b16_sdwa v84, v152, v84 dst_sel:DWORD dst_unused:UNUSED_PAD src0_sel:DWORD src1_sel:WORD_1
	v_and_b32_e32 v90, 0xffffff00, v90
	v_add_i16 v84, v84, s15 clamp
	v_add_u16_e32 v89, 0xf000, v89
	v_or_b32_sdwa v84, v84, v90 dst_sel:WORD_1 dst_unused:UNUSED_PAD src0_sel:BYTE_1 src1_sel:DWORD
	s_nop 0
	v_or_b32_e32 v84, v89, v84
	ds_write2_b32 v55, v86, v84 offset1:1
	s_waitcnt vmcnt(0)
	v_ashrrev_i32_e32 v84, v30, v88
	v_lshlrev_b32_e32 v88, 4, v84
	v_lshlrev_b32_e32 v89, 11, v84
	v_and_b32_e32 v86, 0xf0f0f0f, v92
	v_and_b32_e32 v88, 16, v88
	v_and_b32_e32 v89, 0x1000, v89
	v_or3_b32 v88, v88, v86, v89
	v_lshlrev_b32_e32 v89, 18, v84
	v_lshlrev_b32_e32 v90, 25, v84
	v_and_b32_e32 v89, 0x100000, v89
	v_and_b32_e32 v90, 0x10000000, v90
	v_or3_b32 v86, v86, v89, v90
	v_and_b32_e32 v89, 0x1f00, v88
	v_lshlrev_b16_e32 v88, 8, v88
	v_add_u16_e32 v88, 0xf000, v88
	v_or_b32_sdwa v88, v89, v88 dst_sel:DWORD dst_unused:UNUSED_PAD src0_sel:DWORD src1_sel:BYTE_1
	v_and_b32_sdwa v89, v86, s1 dst_sel:DWORD dst_unused:UNUSED_PAD src0_sel:WORD_1 src1_sel:DWORD
	v_lshlrev_b16_sdwa v86, v152, v86 dst_sel:DWORD dst_unused:UNUSED_PAD src0_sel:DWORD src1_sel:WORD_1
	v_add_u16_e32 v86, 0xf000, v86
	v_or_b32_sdwa v86, v89, v86 dst_sel:DWORD dst_unused:UNUSED_PAD src0_sel:DWORD src1_sel:BYTE_1
	v_add_u16_e32 v88, 0xf000, v88
	v_add_u16_sdwa v86, v86, s15 dst_sel:WORD_1 dst_unused:UNUSED_PAD src0_sel:DWORD src1_sel:DWORD
	v_lshrrev_b32_e32 v89, 12, v84
	v_or_b32_e32 v86, v88, v86
	v_lshrrev_b32_e32 v88, 4, v92
	v_lshrrev_b32_e32 v90, 5, v84
	v_lshlrev_b32_e32 v92, 2, v84
	v_and_b32_e32 v89, 16, v89
	v_and_b32_e32 v90, 0x1000, v90
	;; [unrolled: 1-line block ×3, first 2 shown]
	v_lshlrev_b32_e32 v84, 9, v84
	v_and_b32_e32 v88, 0xf0f0f0f, v88
	v_and_b32_e32 v84, 0x10000000, v84
	v_or3_b32 v89, v90, v89, v92
	v_or3_b32 v84, v89, v84, v88
	v_lshlrev_b16_e32 v89, 8, v84
	v_and_b32_e32 v88, 0x1f00, v84
	v_add_i16 v89, v89, s15 clamp
	v_or_b32_sdwa v88, v88, v89 dst_sel:DWORD dst_unused:UNUSED_PAD src0_sel:DWORD src1_sel:BYTE_1
	v_and_b32_sdwa v89, v84, s16 dst_sel:DWORD dst_unused:UNUSED_PAD src0_sel:WORD_1 src1_sel:DWORD
	v_add_i16 v89, v89, s15 clamp
	v_lshlrev_b16_sdwa v84, v152, v84 dst_sel:DWORD dst_unused:UNUSED_PAD src0_sel:DWORD src1_sel:WORD_1
	v_and_b32_e32 v89, 0xffffff00, v89
	v_add_i16 v84, v84, s15 clamp
	v_add_u16_e32 v88, 0xf000, v88
	v_or_b32_sdwa v84, v84, v89 dst_sel:WORD_1 dst_unused:UNUSED_PAD src0_sel:BYTE_1 src1_sel:DWORD
	s_nop 0
	v_or_b32_e32 v84, v88, v84
	ds_write2_b32 v57, v86, v84 offset1:1
	v_ashrrev_i32_e32 v84, v30, v94
	v_lshlrev_b32_e32 v88, 4, v84
	v_lshlrev_b32_e32 v89, 11, v84
	v_and_b32_e32 v86, 0xf0f0f0f, v96
	v_and_b32_e32 v88, 16, v88
	;; [unrolled: 1-line block ×3, first 2 shown]
	v_or3_b32 v88, v88, v86, v89
	v_lshlrev_b32_e32 v89, 18, v84
	v_lshlrev_b32_e32 v90, 25, v84
	v_and_b32_e32 v89, 0x100000, v89
	v_and_b32_e32 v90, 0x10000000, v90
	v_or3_b32 v86, v86, v89, v90
	v_and_b32_e32 v89, 0x1f00, v88
	v_lshlrev_b16_e32 v88, 8, v88
	v_add_u16_e32 v88, 0xf000, v88
	v_or_b32_sdwa v88, v89, v88 dst_sel:DWORD dst_unused:UNUSED_PAD src0_sel:DWORD src1_sel:BYTE_1
	v_and_b32_sdwa v89, v86, s1 dst_sel:DWORD dst_unused:UNUSED_PAD src0_sel:WORD_1 src1_sel:DWORD
	v_lshlrev_b16_sdwa v86, v152, v86 dst_sel:DWORD dst_unused:UNUSED_PAD src0_sel:DWORD src1_sel:WORD_1
	v_add_u16_e32 v86, 0xf000, v86
	v_or_b32_sdwa v86, v89, v86 dst_sel:DWORD dst_unused:UNUSED_PAD src0_sel:DWORD src1_sel:BYTE_1
	v_add_u16_e32 v88, 0xf000, v88
	v_add_u16_sdwa v86, v86, s15 dst_sel:WORD_1 dst_unused:UNUSED_PAD src0_sel:DWORD src1_sel:DWORD
	v_lshrrev_b32_e32 v89, 12, v84
	v_lshrrev_b32_e32 v90, 5, v84
	v_lshlrev_b32_e32 v92, 2, v84
	v_or_b32_e32 v86, v88, v86
	v_lshrrev_b32_e32 v88, 4, v96
	v_and_b32_e32 v89, 16, v89
	v_and_b32_e32 v90, 0x1000, v90
	;; [unrolled: 1-line block ×3, first 2 shown]
	v_lshlrev_b32_e32 v84, 9, v84
	v_and_b32_e32 v88, 0xf0f0f0f, v88
	v_and_b32_e32 v84, 0x10000000, v84
	v_or3_b32 v89, v90, v89, v92
	v_or3_b32 v84, v89, v84, v88
	v_lshlrev_b16_e32 v89, 8, v84
	v_and_b32_e32 v88, 0x1f00, v84
	v_add_i16 v89, v89, s15 clamp
	v_or_b32_sdwa v88, v88, v89 dst_sel:DWORD dst_unused:UNUSED_PAD src0_sel:DWORD src1_sel:BYTE_1
	v_and_b32_sdwa v89, v84, s16 dst_sel:DWORD dst_unused:UNUSED_PAD src0_sel:WORD_1 src1_sel:DWORD
	v_add_i16 v89, v89, s15 clamp
	v_lshlrev_b16_sdwa v84, v152, v84 dst_sel:DWORD dst_unused:UNUSED_PAD src0_sel:DWORD src1_sel:WORD_1
	v_and_b32_e32 v89, 0xffffff00, v89
	v_add_i16 v84, v84, s15 clamp
	v_add_u16_e32 v88, 0xf000, v88
	v_or_b32_sdwa v84, v84, v89 dst_sel:WORD_1 dst_unused:UNUSED_PAD src0_sel:BYTE_1 src1_sel:DWORD
	v_mad_u64_u32 v[94:95], s[18:19], v62, 22, v[82:83]
	v_or_b32_e32 v84, v88, v84
	ds_write2_b32 v59, v86, v84 offset1:1
	v_ashrrev_i32_e32 v84, v30, v98
	v_lshlrev_b32_e32 v88, 4, v84
	v_lshlrev_b32_e32 v89, 11, v84
	v_and_b32_e32 v86, 0xf0f0f0f, v106
	v_and_b32_e32 v88, 16, v88
	;; [unrolled: 1-line block ×3, first 2 shown]
	v_or3_b32 v88, v88, v86, v89
	v_lshlrev_b32_e32 v89, 18, v84
	v_lshlrev_b32_e32 v90, 25, v84
	v_and_b32_e32 v89, 0x100000, v89
	v_and_b32_e32 v90, 0x10000000, v90
	v_or3_b32 v86, v86, v89, v90
	v_and_b32_e32 v89, 0x1f00, v88
	v_lshlrev_b16_e32 v88, 8, v88
	v_add_u16_e32 v88, 0xf000, v88
	v_or_b32_sdwa v88, v89, v88 dst_sel:DWORD dst_unused:UNUSED_PAD src0_sel:DWORD src1_sel:BYTE_1
	v_add_u16_e32 v90, 0xf000, v88
	v_mad_u64_u32 v[88:89], s[18:19], v60, 22, v[82:83]
	v_mad_u64_u32 v[98:99], s[18:19], v64, 22, v[82:83]
	;; [unrolled: 1-line block ×3, first 2 shown]
	v_lshl_add_u64 v[92:93], v[88:89], 0, v[30:31]
	v_lshl_add_u64 v[96:97], v[94:95], 0, v[30:31]
	;; [unrolled: 1-line block ×4, first 2 shown]
	global_load_dword v108, v[102:103], off offset:6
	global_load_dword v109, v[82:83], off offset:2
	s_nop 0
	global_load_dword v82, v[100:101], off offset:6
	global_load_dword v83, v[98:99], off offset:2
	s_nop 0
	global_load_dword v96, v[96:97], off offset:6
	s_nop 0
	;; [unrolled: 2-line block ×4, first 2 shown]
	global_load_dword v88, v[88:89], off offset:2
	v_and_b32_sdwa v89, v86, s1 dst_sel:DWORD dst_unused:UNUSED_PAD src0_sel:WORD_1 src1_sel:DWORD
	v_lshlrev_b16_sdwa v86, v152, v86 dst_sel:DWORD dst_unused:UNUSED_PAD src0_sel:DWORD src1_sel:WORD_1
	v_add_u16_e32 v86, 0xf000, v86
	v_or_b32_sdwa v86, v89, v86 dst_sel:DWORD dst_unused:UNUSED_PAD src0_sel:DWORD src1_sel:BYTE_1
	v_add_u16_sdwa v86, v86, s15 dst_sel:WORD_1 dst_unused:UNUSED_PAD src0_sel:DWORD src1_sel:DWORD
	v_lshrrev_b32_e32 v93, 5, v84
	v_or_b32_e32 v86, v90, v86
	v_lshrrev_b32_e32 v90, 12, v84
	v_lshlrev_b32_e32 v95, 2, v84
	v_lshrrev_b32_e32 v89, 4, v106
	v_and_b32_e32 v90, 16, v90
	v_and_b32_e32 v93, 0x1000, v93
	;; [unrolled: 1-line block ×3, first 2 shown]
	v_lshlrev_b32_e32 v84, 9, v84
	v_and_b32_e32 v89, 0xf0f0f0f, v89
	v_and_b32_e32 v84, 0x10000000, v84
	v_or3_b32 v90, v93, v90, v95
	v_or3_b32 v84, v90, v84, v89
	v_lshlrev_b16_e32 v90, 8, v84
	v_and_b32_e32 v89, 0x1f00, v84
	v_add_i16 v90, v90, s15 clamp
	v_or_b32_sdwa v89, v89, v90 dst_sel:DWORD dst_unused:UNUSED_PAD src0_sel:DWORD src1_sel:BYTE_1
	v_and_b32_sdwa v90, v84, s16 dst_sel:DWORD dst_unused:UNUSED_PAD src0_sel:WORD_1 src1_sel:DWORD
	v_add_i16 v90, v90, s15 clamp
	v_lshlrev_b16_sdwa v84, v152, v84 dst_sel:DWORD dst_unused:UNUSED_PAD src0_sel:DWORD src1_sel:WORD_1
	v_and_b32_e32 v90, 0xffffff00, v90
	v_add_i16 v84, v84, s15 clamp
	v_add_u16_e32 v89, 0xf000, v89
	v_or_b32_sdwa v84, v84, v90 dst_sel:WORD_1 dst_unused:UNUSED_PAD src0_sel:BYTE_1 src1_sel:DWORD
	s_waitcnt vmcnt(4)
	v_ashrrev_i32_e32 v83, v30, v83
	v_or_b32_e32 v84, v89, v84
	ds_write2_b32 v61, v86, v84 offset1:1
	v_ashrrev_i32_e32 v84, v30, v105
	v_lshlrev_b32_e32 v89, 4, v84
	v_lshlrev_b32_e32 v90, 11, v84
	v_and_b32_e32 v86, 0xf0f0f0f, v104
	v_and_b32_e32 v89, 16, v89
	;; [unrolled: 1-line block ×3, first 2 shown]
	v_or3_b32 v89, v89, v86, v90
	v_lshlrev_b32_e32 v90, 18, v84
	v_lshlrev_b32_e32 v93, 25, v84
	v_and_b32_e32 v90, 0x100000, v90
	v_and_b32_e32 v93, 0x10000000, v93
	v_or3_b32 v86, v86, v90, v93
	v_and_b32_e32 v90, 0x1f00, v89
	v_lshlrev_b16_e32 v89, 8, v89
	v_add_u16_e32 v89, 0xf000, v89
	v_or_b32_sdwa v89, v90, v89 dst_sel:DWORD dst_unused:UNUSED_PAD src0_sel:DWORD src1_sel:BYTE_1
	v_and_b32_sdwa v90, v86, s1 dst_sel:DWORD dst_unused:UNUSED_PAD src0_sel:WORD_1 src1_sel:DWORD
	v_lshlrev_b16_sdwa v86, v152, v86 dst_sel:DWORD dst_unused:UNUSED_PAD src0_sel:DWORD src1_sel:WORD_1
	v_add_u16_e32 v86, 0xf000, v86
	v_or_b32_sdwa v86, v90, v86 dst_sel:DWORD dst_unused:UNUSED_PAD src0_sel:DWORD src1_sel:BYTE_1
	v_add_u16_e32 v89, 0xf000, v89
	v_add_u16_sdwa v86, v86, s15 dst_sel:WORD_1 dst_unused:UNUSED_PAD src0_sel:DWORD src1_sel:DWORD
	v_lshrrev_b32_e32 v90, 12, v84
	v_lshrrev_b32_e32 v93, 5, v84
	v_lshlrev_b32_e32 v95, 2, v84
	v_or_b32_e32 v86, v89, v86
	v_lshrrev_b32_e32 v89, 4, v104
	v_and_b32_e32 v90, 16, v90
	v_and_b32_e32 v93, 0x1000, v93
	;; [unrolled: 1-line block ×3, first 2 shown]
	v_lshlrev_b32_e32 v84, 9, v84
	v_and_b32_e32 v89, 0xf0f0f0f, v89
	v_and_b32_e32 v84, 0x10000000, v84
	v_or3_b32 v90, v93, v90, v95
	v_or3_b32 v84, v90, v84, v89
	v_lshlrev_b16_e32 v90, 8, v84
	v_and_b32_e32 v89, 0x1f00, v84
	v_add_i16 v90, v90, s15 clamp
	v_or_b32_sdwa v89, v89, v90 dst_sel:DWORD dst_unused:UNUSED_PAD src0_sel:DWORD src1_sel:BYTE_1
	v_and_b32_sdwa v90, v84, s16 dst_sel:DWORD dst_unused:UNUSED_PAD src0_sel:WORD_1 src1_sel:DWORD
	v_add_i16 v90, v90, s15 clamp
	v_lshlrev_b16_sdwa v84, v152, v84 dst_sel:DWORD dst_unused:UNUSED_PAD src0_sel:DWORD src1_sel:WORD_1
	v_and_b32_e32 v90, 0xffffff00, v90
	v_add_i16 v84, v84, s15 clamp
	v_add_u16_e32 v89, 0xf000, v89
	v_or_b32_sdwa v84, v84, v90 dst_sel:WORD_1 dst_unused:UNUSED_PAD src0_sel:BYTE_1 src1_sel:DWORD
	v_add_u32_e32 v104, s0, v73
	v_or_b32_e32 v84, v89, v84
	ds_write2_b32 v63, v86, v84 offset1:1
	s_waitcnt vmcnt(0)
	v_ashrrev_i32_e32 v84, v30, v88
	v_lshlrev_b32_e32 v88, 4, v84
	v_lshlrev_b32_e32 v89, 11, v84
	v_and_b32_e32 v86, 0xf0f0f0f, v92
	v_and_b32_e32 v88, 16, v88
	v_and_b32_e32 v89, 0x1000, v89
	v_or3_b32 v88, v88, v86, v89
	v_lshlrev_b32_e32 v89, 18, v84
	v_lshlrev_b32_e32 v90, 25, v84
	v_and_b32_e32 v89, 0x100000, v89
	v_and_b32_e32 v90, 0x10000000, v90
	v_or3_b32 v86, v86, v89, v90
	v_and_b32_e32 v89, 0x1f00, v88
	v_lshlrev_b16_e32 v88, 8, v88
	v_add_u16_e32 v88, 0xf000, v88
	v_or_b32_sdwa v88, v89, v88 dst_sel:DWORD dst_unused:UNUSED_PAD src0_sel:DWORD src1_sel:BYTE_1
	v_and_b32_sdwa v89, v86, s1 dst_sel:DWORD dst_unused:UNUSED_PAD src0_sel:WORD_1 src1_sel:DWORD
	v_lshlrev_b16_sdwa v86, v152, v86 dst_sel:DWORD dst_unused:UNUSED_PAD src0_sel:DWORD src1_sel:WORD_1
	v_add_u16_e32 v86, 0xf000, v86
	v_or_b32_sdwa v86, v89, v86 dst_sel:DWORD dst_unused:UNUSED_PAD src0_sel:DWORD src1_sel:BYTE_1
	v_add_u16_e32 v88, 0xf000, v88
	v_add_u16_sdwa v86, v86, s15 dst_sel:WORD_1 dst_unused:UNUSED_PAD src0_sel:DWORD src1_sel:DWORD
	v_lshrrev_b32_e32 v89, 12, v84
	v_or_b32_e32 v86, v88, v86
	v_lshrrev_b32_e32 v88, 4, v92
	v_lshrrev_b32_e32 v90, 5, v84
	v_lshlrev_b32_e32 v92, 2, v84
	v_and_b32_e32 v89, 16, v89
	v_and_b32_e32 v90, 0x1000, v90
	;; [unrolled: 1-line block ×3, first 2 shown]
	v_lshlrev_b32_e32 v84, 9, v84
	v_and_b32_e32 v88, 0xf0f0f0f, v88
	v_and_b32_e32 v84, 0x10000000, v84
	v_or3_b32 v89, v90, v89, v92
	v_or3_b32 v84, v89, v84, v88
	v_lshlrev_b16_e32 v89, 8, v84
	v_and_b32_e32 v88, 0x1f00, v84
	v_add_i16 v89, v89, s15 clamp
	v_or_b32_sdwa v88, v88, v89 dst_sel:DWORD dst_unused:UNUSED_PAD src0_sel:DWORD src1_sel:BYTE_1
	v_and_b32_sdwa v89, v84, s16 dst_sel:DWORD dst_unused:UNUSED_PAD src0_sel:WORD_1 src1_sel:DWORD
	v_add_i16 v89, v89, s15 clamp
	v_lshlrev_b16_sdwa v84, v152, v84 dst_sel:DWORD dst_unused:UNUSED_PAD src0_sel:DWORD src1_sel:WORD_1
	v_and_b32_e32 v89, 0xffffff00, v89
	v_add_i16 v84, v84, s15 clamp
	v_add_u16_e32 v88, 0xf000, v88
	v_or_b32_sdwa v84, v84, v89 dst_sel:WORD_1 dst_unused:UNUSED_PAD src0_sel:BYTE_1 src1_sel:DWORD
	v_add_u32_e32 v98, v104, v127
	v_or_b32_e32 v84, v88, v84
	ds_write2_b32 v65, v86, v84 offset1:1
	v_ashrrev_i32_e32 v84, v30, v94
	v_lshlrev_b32_e32 v88, 4, v84
	v_lshlrev_b32_e32 v89, 11, v84
	v_and_b32_e32 v86, 0xf0f0f0f, v96
	v_and_b32_e32 v88, 16, v88
	;; [unrolled: 1-line block ×3, first 2 shown]
	v_or3_b32 v88, v88, v86, v89
	v_lshlrev_b32_e32 v89, 18, v84
	v_lshlrev_b32_e32 v90, 25, v84
	v_and_b32_e32 v89, 0x100000, v89
	v_and_b32_e32 v90, 0x10000000, v90
	v_or3_b32 v86, v86, v89, v90
	v_and_b32_e32 v89, 0x1f00, v88
	v_lshlrev_b16_e32 v88, 8, v88
	v_add_u16_e32 v88, 0xf000, v88
	v_or_b32_sdwa v88, v89, v88 dst_sel:DWORD dst_unused:UNUSED_PAD src0_sel:DWORD src1_sel:BYTE_1
	v_and_b32_sdwa v89, v86, s1 dst_sel:DWORD dst_unused:UNUSED_PAD src0_sel:WORD_1 src1_sel:DWORD
	v_lshlrev_b16_sdwa v86, v152, v86 dst_sel:DWORD dst_unused:UNUSED_PAD src0_sel:DWORD src1_sel:WORD_1
	v_add_u16_e32 v86, 0xf000, v86
	v_or_b32_sdwa v86, v89, v86 dst_sel:DWORD dst_unused:UNUSED_PAD src0_sel:DWORD src1_sel:BYTE_1
	v_add_u16_e32 v88, 0xf000, v88
	v_add_u16_sdwa v86, v86, s15 dst_sel:WORD_1 dst_unused:UNUSED_PAD src0_sel:DWORD src1_sel:DWORD
	v_lshrrev_b32_e32 v89, 12, v84
	v_lshrrev_b32_e32 v90, 5, v84
	v_lshlrev_b32_e32 v92, 2, v84
	v_or_b32_e32 v86, v88, v86
	v_lshrrev_b32_e32 v88, 4, v96
	v_and_b32_e32 v89, 16, v89
	v_and_b32_e32 v90, 0x1000, v90
	;; [unrolled: 1-line block ×3, first 2 shown]
	v_lshlrev_b32_e32 v84, 9, v84
	v_and_b32_e32 v88, 0xf0f0f0f, v88
	v_and_b32_e32 v84, 0x10000000, v84
	v_or3_b32 v89, v90, v89, v92
	v_or3_b32 v84, v89, v84, v88
	v_lshlrev_b16_e32 v89, 8, v84
	v_and_b32_e32 v88, 0x1f00, v84
	v_add_i16 v89, v89, s15 clamp
	v_or_b32_sdwa v88, v88, v89 dst_sel:DWORD dst_unused:UNUSED_PAD src0_sel:DWORD src1_sel:BYTE_1
	v_and_b32_sdwa v89, v84, s16 dst_sel:DWORD dst_unused:UNUSED_PAD src0_sel:WORD_1 src1_sel:DWORD
	v_add_i16 v89, v89, s15 clamp
	v_lshlrev_b16_sdwa v84, v152, v84 dst_sel:DWORD dst_unused:UNUSED_PAD src0_sel:DWORD src1_sel:WORD_1
	v_and_b32_e32 v89, 0xffffff00, v89
	v_add_i16 v84, v84, s15 clamp
	v_add_u16_e32 v88, 0xf000, v88
	v_or_b32_sdwa v84, v84, v89 dst_sel:WORD_1 dst_unused:UNUSED_PAD src0_sel:BYTE_1 src1_sel:DWORD
	v_lshlrev_b32_e32 v89, 25, v83
	v_or_b32_e32 v84, v88, v84
	ds_write2_b32 v67, v86, v84 offset1:1
	v_lshlrev_b32_e32 v86, 4, v83
	v_lshlrev_b32_e32 v88, 11, v83
	v_and_b32_e32 v84, 0xf0f0f0f, v82
	v_and_b32_e32 v86, 16, v86
	;; [unrolled: 1-line block ×3, first 2 shown]
	v_or3_b32 v86, v86, v84, v88
	v_lshlrev_b32_e32 v88, 18, v83
	v_and_b32_e32 v88, 0x100000, v88
	v_and_b32_e32 v89, 0x10000000, v89
	v_or3_b32 v84, v84, v88, v89
	v_and_b32_e32 v88, 0x1f00, v86
	v_lshlrev_b16_e32 v86, 8, v86
	v_add_u16_e32 v86, 0xf000, v86
	v_or_b32_sdwa v86, v88, v86 dst_sel:DWORD dst_unused:UNUSED_PAD src0_sel:DWORD src1_sel:BYTE_1
	v_and_b32_sdwa v88, v84, s1 dst_sel:DWORD dst_unused:UNUSED_PAD src0_sel:WORD_1 src1_sel:DWORD
	v_lshlrev_b16_sdwa v84, v152, v84 dst_sel:DWORD dst_unused:UNUSED_PAD src0_sel:DWORD src1_sel:WORD_1
	v_add_u16_e32 v84, 0xf000, v84
	v_or_b32_sdwa v84, v88, v84 dst_sel:DWORD dst_unused:UNUSED_PAD src0_sel:DWORD src1_sel:BYTE_1
	v_add_u16_e32 v86, 0xf000, v86
	v_add_u16_sdwa v84, v84, s15 dst_sel:WORD_1 dst_unused:UNUSED_PAD src0_sel:DWORD src1_sel:DWORD
	v_lshrrev_b32_e32 v82, 4, v82
	v_or_b32_e32 v84, v86, v84
	v_and_b32_e32 v86, 0xf0f0f0f, v82
	v_lshrrev_b32_e32 v82, 12, v83
	v_and_b32_e32 v90, 16, v82
	v_lshrrev_b32_e32 v82, 5, v83
	v_and_b32_e32 v110, 0x1000, v82
	v_lshlrev_b32_e32 v82, 2, v83
	v_and_b32_e32 v111, 0x100000, v82
	v_lshlrev_b32_e32 v82, 9, v83
	v_and_b32_e32 v112, 0x10000000, v82
	v_mad_u64_u32 v[82:83], s[4:5], v68, 22, s[4:5]
	v_mad_u64_u32 v[88:89], s[4:5], v70, 22, v[82:83]
	;; [unrolled: 1-line block ×5, first 2 shown]
	global_load_ushort v113, v[88:89], off
	global_load_ushort v114, v[92:93], off
	;; [unrolled: 1-line block ×3, first 2 shown]
	s_nop 0
	global_load_ushort v82, v[82:83], off
	v_add_u32_e32 v88, v104, v77
	v_add_u32_e32 v92, v104, v85
	;; [unrolled: 1-line block ×5, first 2 shown]
	v_mad_i64_i32 v[88:89], s[4:5], v88, 36, v[78:79]
	v_mad_i64_i32 v[92:93], s[4:5], v92, 36, v[78:79]
	;; [unrolled: 1-line block ×5, first 2 shown]
	v_add_u32_e32 v100, v104, v129
	v_add_u32_e32 v102, v104, v131
	;; [unrolled: 1-line block ×3, first 2 shown]
	v_mad_i64_i32 v[100:101], s[4:5], v100, 36, v[78:79]
	v_mad_i64_i32 v[102:103], s[4:5], v102, 36, v[78:79]
	;; [unrolled: 1-line block ×3, first 2 shown]
	v_mad_u64_u32 v[106:107], s[4:5], v83, 36, s[2:3]
	global_load_dword v88, v[88:89], off offset:4
	s_nop 0
	global_load_dword v89, v[92:93], off offset:4
	s_nop 0
	global_load_dword v92, v[94:95], off offset:4
	global_load_dword v93, v[96:97], off offset:4
	s_nop 0
	global_load_dword v94, v[98:99], off offset:4
	global_load_dword v95, v[106:107], off
	global_load_dword v96, v[100:101], off offset:4
	global_load_dword v97, v[102:103], off offset:4
	s_nop 0
	global_load_dword v98, v[104:105], off offset:4
	v_or3_b32 v90, v110, v90, v111
	v_or3_b32 v86, v90, v112, v86
	v_lshlrev_b16_e32 v99, 8, v86
	v_and_b32_e32 v90, 0x1f00, v86
	v_add_i16 v99, v99, s15 clamp
	v_or_b32_sdwa v90, v90, v99 dst_sel:DWORD dst_unused:UNUSED_PAD src0_sel:DWORD src1_sel:BYTE_1
	v_and_b32_sdwa v99, v86, s16 dst_sel:DWORD dst_unused:UNUSED_PAD src0_sel:WORD_1 src1_sel:DWORD
	v_add_i16 v99, v99, s15 clamp
	v_lshlrev_b16_sdwa v86, v152, v86 dst_sel:DWORD dst_unused:UNUSED_PAD src0_sel:DWORD src1_sel:WORD_1
	v_and_b32_e32 v99, 0xffffff00, v99
	v_add_i16 v86, v86, s15 clamp
	v_add_u16_e32 v90, 0xf000, v90
	v_or_b32_sdwa v86, v86, v99 dst_sel:WORD_1 dst_unused:UNUSED_PAD src0_sel:BYTE_1 src1_sel:DWORD
	s_mov_b32 s4, -4
	v_or_b32_e32 v86, v90, v86
	ds_write2_b32 v69, v84, v86 offset1:1
	v_ashrrev_i32_e32 v84, v30, v109
	v_lshlrev_b32_e32 v90, 4, v84
	v_lshlrev_b32_e32 v99, 11, v84
	v_and_b32_e32 v86, 0xf0f0f0f, v108
	v_and_b32_e32 v90, 16, v90
	;; [unrolled: 1-line block ×3, first 2 shown]
	v_or3_b32 v90, v90, v86, v99
	v_lshlrev_b32_e32 v99, 18, v84
	v_lshlrev_b32_e32 v100, 25, v84
	v_and_b32_e32 v99, 0x100000, v99
	v_and_b32_e32 v100, 0x10000000, v100
	v_or3_b32 v86, v86, v99, v100
	v_and_b32_e32 v99, 0x1f00, v90
	v_lshlrev_b16_e32 v90, 8, v90
	v_add_u16_e32 v90, 0xf000, v90
	v_or_b32_sdwa v90, v99, v90 dst_sel:DWORD dst_unused:UNUSED_PAD src0_sel:DWORD src1_sel:BYTE_1
	v_and_b32_sdwa v99, v86, s1 dst_sel:DWORD dst_unused:UNUSED_PAD src0_sel:WORD_1 src1_sel:DWORD
	v_lshlrev_b16_sdwa v86, v152, v86 dst_sel:DWORD dst_unused:UNUSED_PAD src0_sel:DWORD src1_sel:WORD_1
	v_add_u16_e32 v86, 0xf000, v86
	v_or_b32_sdwa v86, v99, v86 dst_sel:DWORD dst_unused:UNUSED_PAD src0_sel:DWORD src1_sel:BYTE_1
	v_add_u16_e32 v90, 0xf000, v90
	v_add_u16_sdwa v86, v86, s15 dst_sel:WORD_1 dst_unused:UNUSED_PAD src0_sel:DWORD src1_sel:DWORD
	v_lshrrev_b32_e32 v99, 12, v84
	v_lshrrev_b32_e32 v100, 5, v84
	v_lshlrev_b32_e32 v101, 2, v84
	v_or_b32_e32 v86, v90, v86
	v_lshrrev_b32_e32 v90, 4, v108
	v_and_b32_e32 v99, 16, v99
	v_and_b32_e32 v100, 0x1000, v100
	;; [unrolled: 1-line block ×3, first 2 shown]
	v_lshlrev_b32_e32 v84, 9, v84
	v_and_b32_e32 v90, 0xf0f0f0f, v90
	v_and_b32_e32 v84, 0x10000000, v84
	v_or3_b32 v99, v100, v99, v101
	v_or3_b32 v84, v99, v84, v90
	v_lshlrev_b16_e32 v99, 8, v84
	v_and_b32_e32 v90, 0x1f00, v84
	v_add_i16 v99, v99, s15 clamp
	v_or_b32_sdwa v90, v90, v99 dst_sel:DWORD dst_unused:UNUSED_PAD src0_sel:DWORD src1_sel:BYTE_1
	v_and_b32_sdwa v99, v84, s16 dst_sel:DWORD dst_unused:UNUSED_PAD src0_sel:WORD_1 src1_sel:DWORD
	v_add_i16 v99, v99, s15 clamp
	v_lshlrev_b16_sdwa v84, v152, v84 dst_sel:DWORD dst_unused:UNUSED_PAD src0_sel:DWORD src1_sel:WORD_1
	v_and_b32_e32 v99, 0xffffff00, v99
	v_add_i16 v84, v84, s15 clamp
	v_add_u16_e32 v90, 0xf000, v90
	v_or_b32_sdwa v84, v84, v99 dst_sel:WORD_1 dst_unused:UNUSED_PAD src0_sel:BYTE_1 src1_sel:DWORD
	s_waitcnt vmcnt(9)
	v_cvt_f32_f16_e32 v82, v82
	v_or_b32_e32 v84, v90, v84
	ds_write2_b32 v71, v86, v84 offset1:1
	v_cvt_f32_f16_e32 v84, v113
	v_cvt_f32_f16_e32 v86, v114
	v_cvt_f32_f16_e32 v90, v115
	ds_write_b32 v148, v84
	ds_write_b32 v149, v86
	;; [unrolled: 1-line block ×4, first 2 shown]
	s_waitcnt vmcnt(8)
	ds_write_b32 v81, v88
	s_waitcnt vmcnt(7)
	ds_write_b32 v87, v89
	;; [unrolled: 2-line block ×5, first 2 shown]
	s_waitcnt vmcnt(3)
	v_cvt_f32_f16_e32 v82, v95
	s_waitcnt vmcnt(2)
	ds_write_b32 v130, v96
	s_waitcnt vmcnt(1)
	ds_write_b32 v132, v97
	;; [unrolled: 2-line block ×3, first 2 shown]
	ds_write_b32 v75, v82
	s_waitcnt lgkmcnt(0)
	s_barrier
.LBB141_7:                              ;   Parent Loop BB141_6 Depth=1
                                        ; =>  This Inner Loop Header: Depth=2
	v_add_u32_e32 v84, 0x2080, v155
	ds_read_b128 v[160:163], v154
	ds_read_b128 v[164:167], v154 offset:16
	ds_read2_b32 v[122:123], v153 offset1:32
	ds_read_b32 v86, v156
	ds_read2_b32 v[94:95], v155 offset1:1
	ds_read2_b32 v[102:103], v155 offset0:2 offset1:3
	ds_read2_b32 v[108:109], v155 offset0:4 offset1:5
	;; [unrolled: 1-line block ×3, first 2 shown]
	ds_read_b32 v82, v157
	ds_read2_b32 v[88:89], v84 offset1:1
	v_add_u32_e32 v84, 0x2088, v155
	ds_read2_b32 v[96:97], v84 offset1:1
	v_add_u32_e32 v84, 0x2090, v155
	;; [unrolled: 2-line block ×3, first 2 shown]
	v_add_u32_e32 v90, 0x4100, v155
	ds_read2_b32 v[114:115], v84 offset1:1
	ds_read_b32 v84, v158
	ds_read2_b32 v[92:93], v90 offset1:1
	v_add_u32_e32 v90, 0x4108, v155
	ds_read2_b32 v[100:101], v90 offset1:1
	v_add_u32_e32 v90, 0x4110, v155
	;; [unrolled: 2-line block ×3, first 2 shown]
	v_add_u32_e32 v98, 0x6180, v155
	ds_read2_b32 v[118:119], v90 offset1:1
	ds_read_b32 v90, v159
	ds_read2_b32 v[98:99], v98 offset1:1
	v_add_u32_e32 v106, 0x6188, v155
	ds_read2_b32 v[106:107], v106 offset1:1
	v_add_u32_e32 v116, 0x6190, v155
	ds_read2_b32 v[116:117], v116 offset1:1
	v_mov_b32_e32 v170, 0
	v_mov_b32_e32 v172, 0
	;; [unrolled: 1-line block ×4, first 2 shown]
	s_waitcnt lgkmcnt(14)
	v_dot4c_i32_i8_e32 v170, v94, v160
	s_waitcnt lgkmcnt(12)
	v_dot4c_i32_i8_e32 v172, v88, v160
	;; [unrolled: 2-line block ×4, first 2 shown]
	v_add_u32_e32 v120, 0x6198, v155
	ds_read2_b32 v[120:121], v120 offset1:1
	v_dot4c_i32_i8_e32 v170, v95, v164
	v_dot4c_i32_i8_e32 v172, v89, v164
	v_dot4c_i32_i8_e32 v173, v93, v164
	v_dot4c_i32_i8_e32 v174, v99, v164
	v_dot4c_i32_i8_e32 v170, v102, v161
	v_dot4c_i32_i8_e32 v172, v96, v161
	v_dot4c_i32_i8_e32 v173, v100, v161
	s_waitcnt lgkmcnt(2)
	v_dot4c_i32_i8_e32 v174, v106, v161
	v_dot4c_i32_i8_e32 v170, v103, v165
	v_dot4c_i32_i8_e32 v172, v97, v165
	v_dot4c_i32_i8_e32 v173, v101, v165
	v_dot4c_i32_i8_e32 v174, v107, v165
	v_dot4c_i32_i8_e32 v170, v108, v162
	v_dot4c_i32_i8_e32 v172, v104, v162
	v_dot4c_i32_i8_e32 v173, v110, v162
	s_waitcnt lgkmcnt(1)
	v_dot4c_i32_i8_e32 v174, v116, v162
	;; [unrolled: 9-line block ×3, first 2 shown]
	v_dot4c_i32_i8_e32 v170, v113, v167
	v_dot4c_i32_i8_e32 v172, v115, v167
	;; [unrolled: 1-line block ×4, first 2 shown]
	ds_read_b128 v[160:163], v154 offset:1024
	ds_read_b128 v[164:167], v154 offset:1040
	v_mov_b32_e32 v171, 0
	v_cvt_f32_i32_e32 v170, v170
	v_pk_mul_f32 v[168:169], v[86:87], v[122:123] op_sel_hi:[0,1]
	s_waitcnt lgkmcnt(1)
	v_dot4c_i32_i8_e32 v171, v94, v160
	s_waitcnt lgkmcnt(0)
	v_dot4c_i32_i8_e32 v171, v95, v164
	v_dot4c_i32_i8_e32 v171, v102, v161
	v_dot4c_i32_i8_e32 v171, v103, v165
	v_dot4c_i32_i8_e32 v171, v108, v162
	v_dot4c_i32_i8_e32 v171, v109, v166
	v_dot4c_i32_i8_e32 v171, v112, v163
	v_dot4c_i32_i8_e32 v171, v113, v167
	s_add_i32 s4, s4, 4
	v_add_u32_e32 v159, 4, v159
	v_add_u32_e32 v158, 4, v158
	v_cvt_f32_i32_e32 v171, v171
	v_add_u32_e32 v157, 4, v157
	v_add_u32_e32 v156, 4, v156
	;; [unrolled: 1-line block ×3, first 2 shown]
	v_pk_fma_f32 v[46:47], v[168:169], v[170:171], v[46:47]
	v_mov_b32_e32 v170, 0
	v_dot4c_i32_i8_e32 v170, v88, v160
	v_dot4c_i32_i8_e32 v170, v89, v164
	;; [unrolled: 1-line block ×8, first 2 shown]
	v_pk_mul_f32 v[168:169], v[82:83], v[122:123] op_sel_hi:[0,1]
	s_cmp_lt_u32 s4, 12
	s_nop 0
	v_cvt_f32_i32_e32 v171, v170
	v_cvt_f32_i32_e32 v170, v172
	v_mov_b32_e32 v172, 0
	v_pk_fma_f32 v[38:39], v[168:169], v[170:171], v[38:39]
	v_mov_b32_e32 v170, 0
	v_dot4c_i32_i8_e32 v170, v92, v160
	v_dot4c_i32_i8_e32 v170, v93, v164
	;; [unrolled: 1-line block ×8, first 2 shown]
	v_pk_mul_f32 v[168:169], v[84:85], v[122:123] op_sel_hi:[0,1]
	v_pk_mul_f32 v[122:123], v[90:91], v[122:123] op_sel_hi:[0,1]
	s_nop 0
	v_cvt_f32_i32_e32 v171, v170
	v_cvt_f32_i32_e32 v170, v173
	v_mov_b32_e32 v173, 0
	v_pk_fma_f32 v[28:29], v[168:169], v[170:171], v[28:29]
	v_mov_b32_e32 v168, 0
	v_dot4c_i32_i8_e32 v168, v98, v160
	v_dot4c_i32_i8_e32 v168, v99, v164
	;; [unrolled: 1-line block ×8, first 2 shown]
	v_cvt_f32_i32_e32 v160, v174
	v_mov_b32_e32 v170, 0
	v_mov_b32_e32 v174, 0
	v_cvt_f32_i32_e32 v161, v168
	v_mov_b32_e32 v171, 0
	v_pk_fma_f32 v[26:27], v[122:123], v[160:161], v[26:27]
	ds_read_b128 v[160:163], v154 offset:2048
	ds_read_b128 v[164:167], v154 offset:2064
	ds_read2_b32 v[122:123], v153 offset0:64 offset1:96
	s_waitcnt lgkmcnt(2)
	v_dot4c_i32_i8_e32 v170, v94, v160
	v_dot4c_i32_i8_e32 v172, v88, v160
	;; [unrolled: 1-line block ×4, first 2 shown]
	s_waitcnt lgkmcnt(1)
	v_dot4c_i32_i8_e32 v170, v95, v164
	v_dot4c_i32_i8_e32 v172, v89, v164
	;; [unrolled: 1-line block ×28, first 2 shown]
	ds_read_b128 v[160:163], v154 offset:3072
	ds_read_b128 v[164:167], v154 offset:3088
	v_cvt_f32_i32_e32 v170, v170
	s_waitcnt lgkmcnt(2)
	v_pk_mul_f32 v[168:169], v[86:87], v[122:123] op_sel_hi:[0,1]
	s_waitcnt lgkmcnt(1)
	v_dot4c_i32_i8_e32 v171, v94, v160
	s_waitcnt lgkmcnt(0)
	v_dot4c_i32_i8_e32 v171, v95, v164
	v_dot4c_i32_i8_e32 v171, v102, v161
	v_dot4c_i32_i8_e32 v171, v103, v165
	v_dot4c_i32_i8_e32 v171, v108, v162
	v_dot4c_i32_i8_e32 v171, v109, v166
	v_dot4c_i32_i8_e32 v171, v112, v163
	v_dot4c_i32_i8_e32 v171, v113, v167
	s_nop 2
	v_cvt_f32_i32_e32 v171, v171
	v_pk_fma_f32 v[24:25], v[168:169], v[170:171], v[24:25]
	v_mov_b32_e32 v170, 0
	v_dot4c_i32_i8_e32 v170, v88, v160
	v_dot4c_i32_i8_e32 v170, v89, v164
	;; [unrolled: 1-line block ×8, first 2 shown]
	v_pk_mul_f32 v[168:169], v[82:83], v[122:123] op_sel_hi:[0,1]
	s_nop 1
	v_cvt_f32_i32_e32 v171, v170
	v_cvt_f32_i32_e32 v170, v172
	v_mov_b32_e32 v172, 0
	v_pk_fma_f32 v[22:23], v[168:169], v[170:171], v[22:23]
	v_mov_b32_e32 v170, 0
	v_dot4c_i32_i8_e32 v170, v92, v160
	v_dot4c_i32_i8_e32 v170, v93, v164
	;; [unrolled: 1-line block ×8, first 2 shown]
	v_pk_mul_f32 v[168:169], v[84:85], v[122:123] op_sel_hi:[0,1]
	v_pk_mul_f32 v[122:123], v[90:91], v[122:123] op_sel_hi:[0,1]
	s_nop 0
	v_cvt_f32_i32_e32 v171, v170
	v_cvt_f32_i32_e32 v170, v173
	v_mov_b32_e32 v173, 0
	v_pk_fma_f32 v[20:21], v[168:169], v[170:171], v[20:21]
	v_mov_b32_e32 v168, 0
	v_dot4c_i32_i8_e32 v168, v98, v160
	v_dot4c_i32_i8_e32 v168, v99, v164
	;; [unrolled: 1-line block ×8, first 2 shown]
	v_cvt_f32_i32_e32 v160, v174
	v_mov_b32_e32 v170, 0
	v_mov_b32_e32 v174, 0
	v_cvt_f32_i32_e32 v161, v168
	v_mov_b32_e32 v171, 0
	v_pk_fma_f32 v[18:19], v[122:123], v[160:161], v[18:19]
	ds_read_b128 v[160:163], v154 offset:4096
	ds_read_b128 v[164:167], v154 offset:4112
	ds_read2_b32 v[122:123], v153 offset0:128 offset1:160
	s_waitcnt lgkmcnt(2)
	v_dot4c_i32_i8_e32 v170, v94, v160
	v_dot4c_i32_i8_e32 v172, v88, v160
	v_dot4c_i32_i8_e32 v173, v92, v160
	v_dot4c_i32_i8_e32 v174, v98, v160
	s_waitcnt lgkmcnt(1)
	v_dot4c_i32_i8_e32 v170, v95, v164
	v_dot4c_i32_i8_e32 v172, v89, v164
	;; [unrolled: 1-line block ×28, first 2 shown]
	ds_read_b128 v[160:163], v154 offset:5120
	ds_read_b128 v[164:167], v154 offset:5136
	v_cvt_f32_i32_e32 v170, v170
	s_waitcnt lgkmcnt(2)
	v_pk_mul_f32 v[168:169], v[86:87], v[122:123] op_sel_hi:[0,1]
	s_waitcnt lgkmcnt(1)
	v_dot4c_i32_i8_e32 v171, v94, v160
	s_waitcnt lgkmcnt(0)
	v_dot4c_i32_i8_e32 v171, v95, v164
	v_dot4c_i32_i8_e32 v171, v102, v161
	v_dot4c_i32_i8_e32 v171, v103, v165
	v_dot4c_i32_i8_e32 v171, v108, v162
	v_dot4c_i32_i8_e32 v171, v109, v166
	v_dot4c_i32_i8_e32 v171, v112, v163
	v_dot4c_i32_i8_e32 v171, v113, v167
	s_nop 2
	v_cvt_f32_i32_e32 v171, v171
	v_pk_fma_f32 v[16:17], v[168:169], v[170:171], v[16:17]
	v_mov_b32_e32 v170, 0
	v_dot4c_i32_i8_e32 v170, v88, v160
	v_dot4c_i32_i8_e32 v170, v89, v164
	;; [unrolled: 1-line block ×8, first 2 shown]
	v_pk_mul_f32 v[168:169], v[82:83], v[122:123] op_sel_hi:[0,1]
	s_nop 1
	v_cvt_f32_i32_e32 v171, v170
	v_cvt_f32_i32_e32 v170, v172
	v_mov_b32_e32 v172, 0
	v_pk_fma_f32 v[14:15], v[168:169], v[170:171], v[14:15]
	v_mov_b32_e32 v170, 0
	v_dot4c_i32_i8_e32 v170, v92, v160
	v_dot4c_i32_i8_e32 v170, v93, v164
	;; [unrolled: 1-line block ×8, first 2 shown]
	v_pk_mul_f32 v[168:169], v[84:85], v[122:123] op_sel_hi:[0,1]
	v_pk_mul_f32 v[122:123], v[90:91], v[122:123] op_sel_hi:[0,1]
	s_nop 0
	v_cvt_f32_i32_e32 v171, v170
	v_cvt_f32_i32_e32 v170, v173
	v_pk_fma_f32 v[12:13], v[168:169], v[170:171], v[12:13]
	v_mov_b32_e32 v168, 0
	v_dot4c_i32_i8_e32 v168, v98, v160
	v_dot4c_i32_i8_e32 v168, v99, v164
	;; [unrolled: 1-line block ×8, first 2 shown]
	v_cvt_f32_i32_e32 v160, v174
	v_mov_b32_e32 v169, 0
	v_mov_b32_e32 v170, 0
	v_cvt_f32_i32_e32 v161, v168
	v_mov_b32_e32 v168, 0
	v_mov_b32_e32 v171, 0
	v_pk_fma_f32 v[10:11], v[122:123], v[160:161], v[10:11]
	ds_read_b128 v[160:163], v154 offset:6144
	ds_read_b128 v[164:167], v154 offset:6160
	ds_read2_b32 v[122:123], v153 offset0:192 offset1:224
	v_add_u32_e32 v153, 4, v153
	s_waitcnt lgkmcnt(2)
	v_dot4c_i32_i8_e32 v168, v94, v160
	v_dot4c_i32_i8_e32 v169, v88, v160
	;; [unrolled: 1-line block ×4, first 2 shown]
	s_waitcnt lgkmcnt(1)
	v_dot4c_i32_i8_e32 v168, v95, v164
	v_dot4c_i32_i8_e32 v169, v89, v164
	;; [unrolled: 1-line block ×28, first 2 shown]
	ds_read_b128 v[160:163], v154 offset:7168
	ds_read_b128 v[164:167], v154 offset:7184
	v_add_u32_e32 v154, 32, v154
	s_waitcnt lgkmcnt(1)
	v_dot4c_i32_i8_e32 v172, v94, v160
	s_waitcnt lgkmcnt(0)
	v_dot4c_i32_i8_e32 v172, v95, v164
	v_pk_mul_f32 v[94:95], v[86:87], v[122:123] op_sel_hi:[0,1]
	v_mov_b32_e32 v86, 0
	v_dot4c_i32_i8_e32 v86, v88, v160
	v_dot4c_i32_i8_e32 v86, v89, v164
	v_pk_mul_f32 v[88:89], v[82:83], v[122:123] op_sel_hi:[0,1]
	v_mov_b32_e32 v82, 0
	v_dot4c_i32_i8_e32 v82, v92, v160
	v_dot4c_i32_i8_e32 v82, v93, v164
	;; [unrolled: 1-line block ×16, first 2 shown]
	v_cvt_f32_i32_e32 v102, v168
	v_cvt_f32_i32_e32 v103, v172
	v_dot4c_i32_i8_e32 v86, v104, v162
	v_cvt_f32_i32_e32 v93, v82
	v_mov_b32_e32 v82, 0
	v_dot4c_i32_i8_e32 v86, v105, v166
	v_dot4c_i32_i8_e32 v82, v98, v160
	;; [unrolled: 1-line block ×6, first 2 shown]
	v_pk_fma_f32 v[8:9], v[94:95], v[102:103], v[8:9]
	v_cvt_f32_i32_e32 v94, v169
	v_cvt_f32_i32_e32 v95, v86
	v_dot4c_i32_i8_e32 v82, v107, v165
	v_cvt_f32_i32_e32 v92, v170
	v_dot4c_i32_i8_e32 v82, v116, v162
	v_dot4c_i32_i8_e32 v82, v117, v166
	;; [unrolled: 1-line block ×3, first 2 shown]
	v_pk_fma_f32 v[6:7], v[88:89], v[94:95], v[6:7]
	v_pk_mul_f32 v[88:89], v[84:85], v[122:123] op_sel_hi:[0,1]
	v_dot4c_i32_i8_e32 v82, v121, v167
	v_pk_fma_f32 v[4:5], v[88:89], v[92:93], v[4:5]
	v_cvt_f32_i32_e32 v92, v171
	v_pk_mul_f32 v[88:89], v[90:91], v[122:123] op_sel_hi:[0,1]
	v_cvt_f32_i32_e32 v93, v82
	v_pk_fma_f32 v[2:3], v[88:89], v[92:93], v[2:3]
	s_cbranch_scc1 .LBB141_7
; %bb.8:                                ;   in Loop: Header=BB141_6 Depth=1
	s_or_b32 s4, s0, 4
	s_cmp_ge_i32 s4, s6
	s_barrier
	s_cbranch_scc1 .LBB141_5
; %bb.9:                                ;   in Loop: Header=BB141_6 Depth=1
	v_add_u32_e32 v82, s0, v136
	v_add_u32_e32 v84, v82, v77
	v_mad_i64_i32 v[88:89], s[4:5], v84, 36, v[78:79]
	v_add_u32_e32 v84, v82, v85
	v_mad_i64_i32 v[92:93], s[4:5], v84, 36, v[78:79]
	;; [unrolled: 2-line block ×6, first 2 shown]
	v_add_u32_e32 v84, v82, v131
	v_add_u32_e32 v82, v82, v133
	v_mad_i64_i32 v[104:105], s[4:5], v82, 36, v[78:79]
	v_add_u32_e32 v82, 4, v83
	v_mad_u64_u32 v[82:83], s[4:5], v82, 36, s[2:3]
	v_mad_i64_i32 v[102:103], s[4:5], v84, 36, v[78:79]
	global_load_dword v82, v[82:83], off
	s_nop 0
	global_load_dword v84, v[88:89], off offset:4
	global_load_dword v86, v[92:93], off offset:4
	s_nop 0
	global_load_dword v88, v[94:95], off offset:4
	global_load_dword v89, v[96:97], off offset:4
	;; [unrolled: 1-line block ×5, first 2 shown]
                                        ; kill: killed $vgpr102_vgpr103
                                        ; kill: killed $vgpr100_vgpr101
	s_nop 0
	global_load_dword v94, v[104:105], off offset:4
	s_mov_b32 s4, 12
	v_mov_b32_e32 v83, v142
	v_mov_b32_e32 v153, v141
	;; [unrolled: 1-line block ×7, first 2 shown]
	s_waitcnt vmcnt(8)
	v_cvt_f32_f16_e32 v82, v82
	s_waitcnt vmcnt(7)
	ds_write_b32 v81, v84
	s_waitcnt vmcnt(6)
	ds_write_b32 v87, v86
	;; [unrolled: 2-line block ×8, first 2 shown]
	ds_write_b32 v75, v82
	s_waitcnt lgkmcnt(0)
	s_barrier
.LBB141_10:                             ;   Parent Loop BB141_6 Depth=1
                                        ; =>  This Inner Loop Header: Depth=2
	v_add_u32_e32 v84, 0x2080, v154
	ds_read_b128 v[160:163], v153
	ds_read_b128 v[164:167], v153 offset:16
	ds_read2_b32 v[122:123], v83 offset1:32
	ds_read_b32 v86, v155
	ds_read2_b32 v[94:95], v154 offset1:1
	ds_read2_b32 v[102:103], v154 offset0:2 offset1:3
	ds_read2_b32 v[108:109], v154 offset0:4 offset1:5
	;; [unrolled: 1-line block ×3, first 2 shown]
	ds_read_b32 v82, v156
	ds_read2_b32 v[88:89], v84 offset1:1
	v_add_u32_e32 v84, 0x2088, v154
	ds_read2_b32 v[96:97], v84 offset1:1
	v_add_u32_e32 v84, 0x2090, v154
	;; [unrolled: 2-line block ×3, first 2 shown]
	v_add_u32_e32 v90, 0x4100, v154
	ds_read2_b32 v[114:115], v84 offset1:1
	ds_read_b32 v84, v157
	ds_read2_b32 v[92:93], v90 offset1:1
	v_add_u32_e32 v90, 0x4108, v154
	ds_read2_b32 v[100:101], v90 offset1:1
	v_add_u32_e32 v90, 0x4110, v154
	;; [unrolled: 2-line block ×3, first 2 shown]
	v_add_u32_e32 v98, 0x6180, v154
	ds_read2_b32 v[118:119], v90 offset1:1
	ds_read_b32 v90, v158
	ds_read2_b32 v[98:99], v98 offset1:1
	v_add_u32_e32 v106, 0x6188, v154
	ds_read2_b32 v[106:107], v106 offset1:1
	v_add_u32_e32 v116, 0x6190, v154
	ds_read2_b32 v[116:117], v116 offset1:1
	v_mov_b32_e32 v159, 0
	v_mov_b32_e32 v172, 0
	;; [unrolled: 1-line block ×4, first 2 shown]
	s_waitcnt lgkmcnt(14)
	v_dot4c_i32_i8_e32 v159, v94, v160
	s_waitcnt lgkmcnt(12)
	v_dot4c_i32_i8_e32 v172, v88, v160
	;; [unrolled: 2-line block ×4, first 2 shown]
	v_add_u32_e32 v120, 0x6198, v154
	ds_read2_b32 v[120:121], v120 offset1:1
	v_dot4c_i32_i8_e32 v159, v95, v164
	v_dot4c_i32_i8_e32 v172, v89, v164
	v_dot4c_i32_i8_e32 v173, v93, v164
	v_dot4c_i32_i8_e32 v174, v99, v164
	v_dot4c_i32_i8_e32 v159, v102, v161
	v_dot4c_i32_i8_e32 v172, v96, v161
	v_dot4c_i32_i8_e32 v173, v100, v161
	s_waitcnt lgkmcnt(2)
	v_dot4c_i32_i8_e32 v174, v106, v161
	v_dot4c_i32_i8_e32 v159, v103, v165
	v_dot4c_i32_i8_e32 v172, v97, v165
	v_dot4c_i32_i8_e32 v173, v101, v165
	v_dot4c_i32_i8_e32 v174, v107, v165
	v_dot4c_i32_i8_e32 v159, v108, v162
	v_dot4c_i32_i8_e32 v172, v104, v162
	v_dot4c_i32_i8_e32 v173, v110, v162
	s_waitcnt lgkmcnt(1)
	v_dot4c_i32_i8_e32 v174, v116, v162
	;; [unrolled: 9-line block ×3, first 2 shown]
	v_dot4c_i32_i8_e32 v159, v113, v167
	v_dot4c_i32_i8_e32 v172, v115, v167
	;; [unrolled: 1-line block ×4, first 2 shown]
	ds_read_b128 v[160:163], v153 offset:1024
	ds_read_b128 v[164:167], v153 offset:1040
	v_mov_b32_e32 v170, 0
	v_pk_mul_f32 v[168:169], v[86:87], v[122:123] op_sel_hi:[0,1]
	s_add_i32 s4, s4, 4
	s_waitcnt lgkmcnt(1)
	v_dot4c_i32_i8_e32 v170, v94, v160
	s_waitcnt lgkmcnt(0)
	v_dot4c_i32_i8_e32 v170, v95, v164
	v_dot4c_i32_i8_e32 v170, v102, v161
	v_dot4c_i32_i8_e32 v170, v103, v165
	v_dot4c_i32_i8_e32 v170, v108, v162
	v_dot4c_i32_i8_e32 v170, v109, v166
	v_dot4c_i32_i8_e32 v170, v112, v163
	v_dot4c_i32_i8_e32 v170, v113, v167
	v_add_u32_e32 v158, 4, v158
	v_add_u32_e32 v157, 4, v157
	;; [unrolled: 1-line block ×3, first 2 shown]
	v_cvt_f32_i32_e32 v171, v170
	v_cvt_f32_i32_e32 v170, v159
	v_mov_b32_e32 v159, 0
	v_dot4c_i32_i8_e32 v159, v88, v160
	v_dot4c_i32_i8_e32 v159, v89, v164
	;; [unrolled: 1-line block ×8, first 2 shown]
	v_pk_fma_f32 v[46:47], v[168:169], v[170:171], v[46:47]
	v_cvt_f32_i32_e32 v170, v172
	v_pk_mul_f32 v[168:169], v[82:83], v[122:123] op_sel_hi:[0,1]
	v_cvt_f32_i32_e32 v171, v159
	v_mov_b32_e32 v159, 0
	v_dot4c_i32_i8_e32 v159, v92, v160
	v_dot4c_i32_i8_e32 v159, v93, v164
	;; [unrolled: 1-line block ×8, first 2 shown]
	v_pk_fma_f32 v[38:39], v[168:169], v[170:171], v[38:39]
	v_pk_mul_f32 v[168:169], v[84:85], v[122:123] op_sel_hi:[0,1]
	v_pk_mul_f32 v[122:123], v[90:91], v[122:123] op_sel_hi:[0,1]
	v_cvt_f32_i32_e32 v171, v159
	v_mov_b32_e32 v159, 0
	v_dot4c_i32_i8_e32 v159, v98, v160
	v_dot4c_i32_i8_e32 v159, v99, v164
	;; [unrolled: 1-line block ×8, first 2 shown]
	v_cvt_f32_i32_e32 v160, v174
	v_cvt_f32_i32_e32 v170, v173
	v_mov_b32_e32 v172, 0
	v_cvt_f32_i32_e32 v161, v159
	v_mov_b32_e32 v159, 0
	v_mov_b32_e32 v173, 0
	;; [unrolled: 1-line block ×3, first 2 shown]
	v_pk_fma_f32 v[26:27], v[122:123], v[160:161], v[26:27]
	ds_read_b128 v[160:163], v153 offset:2048
	ds_read_b128 v[164:167], v153 offset:2064
	ds_read2_b32 v[122:123], v83 offset0:64 offset1:96
	v_pk_fma_f32 v[28:29], v[168:169], v[170:171], v[28:29]
	v_mov_b32_e32 v170, 0
	s_waitcnt lgkmcnt(2)
	v_dot4c_i32_i8_e32 v159, v94, v160
	v_dot4c_i32_i8_e32 v172, v88, v160
	v_dot4c_i32_i8_e32 v173, v92, v160
	v_dot4c_i32_i8_e32 v174, v98, v160
	s_waitcnt lgkmcnt(1)
	v_dot4c_i32_i8_e32 v159, v95, v164
	v_dot4c_i32_i8_e32 v172, v89, v164
	;; [unrolled: 1-line block ×28, first 2 shown]
	ds_read_b128 v[160:163], v153 offset:3072
	ds_read_b128 v[164:167], v153 offset:3088
	s_waitcnt lgkmcnt(2)
	v_pk_mul_f32 v[168:169], v[86:87], v[122:123] op_sel_hi:[0,1]
	v_add_u32_e32 v155, 4, v155
	v_add_u32_e32 v154, 32, v154
	s_waitcnt lgkmcnt(1)
	v_dot4c_i32_i8_e32 v170, v94, v160
	s_waitcnt lgkmcnt(0)
	v_dot4c_i32_i8_e32 v170, v95, v164
	v_dot4c_i32_i8_e32 v170, v102, v161
	;; [unrolled: 1-line block ×7, first 2 shown]
	s_cmp_lt_u32 s4, 28
	s_nop 1
	v_cvt_f32_i32_e32 v171, v170
	v_cvt_f32_i32_e32 v170, v159
	v_mov_b32_e32 v159, 0
	v_dot4c_i32_i8_e32 v159, v88, v160
	v_dot4c_i32_i8_e32 v159, v89, v164
	;; [unrolled: 1-line block ×8, first 2 shown]
	v_pk_fma_f32 v[24:25], v[168:169], v[170:171], v[24:25]
	v_cvt_f32_i32_e32 v170, v172
	v_pk_mul_f32 v[168:169], v[82:83], v[122:123] op_sel_hi:[0,1]
	v_cvt_f32_i32_e32 v171, v159
	v_mov_b32_e32 v159, 0
	v_dot4c_i32_i8_e32 v159, v92, v160
	v_dot4c_i32_i8_e32 v159, v93, v164
	;; [unrolled: 1-line block ×8, first 2 shown]
	v_pk_fma_f32 v[22:23], v[168:169], v[170:171], v[22:23]
	v_pk_mul_f32 v[168:169], v[84:85], v[122:123] op_sel_hi:[0,1]
	v_pk_mul_f32 v[122:123], v[90:91], v[122:123] op_sel_hi:[0,1]
	v_cvt_f32_i32_e32 v171, v159
	v_mov_b32_e32 v159, 0
	v_dot4c_i32_i8_e32 v159, v98, v160
	v_dot4c_i32_i8_e32 v159, v99, v164
	;; [unrolled: 1-line block ×8, first 2 shown]
	v_cvt_f32_i32_e32 v160, v174
	v_cvt_f32_i32_e32 v170, v173
	v_mov_b32_e32 v172, 0
	v_cvt_f32_i32_e32 v161, v159
	v_mov_b32_e32 v159, 0
	v_mov_b32_e32 v173, 0
	;; [unrolled: 1-line block ×3, first 2 shown]
	v_pk_fma_f32 v[18:19], v[122:123], v[160:161], v[18:19]
	ds_read_b128 v[160:163], v153 offset:4096
	ds_read_b128 v[164:167], v153 offset:4112
	ds_read2_b32 v[122:123], v83 offset0:128 offset1:160
	v_pk_fma_f32 v[20:21], v[168:169], v[170:171], v[20:21]
	v_mov_b32_e32 v170, 0
	s_waitcnt lgkmcnt(2)
	v_dot4c_i32_i8_e32 v159, v94, v160
	v_dot4c_i32_i8_e32 v172, v88, v160
	;; [unrolled: 1-line block ×4, first 2 shown]
	s_waitcnt lgkmcnt(1)
	v_dot4c_i32_i8_e32 v159, v95, v164
	v_dot4c_i32_i8_e32 v172, v89, v164
	;; [unrolled: 1-line block ×28, first 2 shown]
	ds_read_b128 v[160:163], v153 offset:5120
	ds_read_b128 v[164:167], v153 offset:5136
	s_waitcnt lgkmcnt(2)
	v_pk_mul_f32 v[168:169], v[86:87], v[122:123] op_sel_hi:[0,1]
	s_waitcnt lgkmcnt(1)
	v_dot4c_i32_i8_e32 v170, v94, v160
	s_waitcnt lgkmcnt(0)
	v_dot4c_i32_i8_e32 v170, v95, v164
	v_dot4c_i32_i8_e32 v170, v102, v161
	;; [unrolled: 1-line block ×7, first 2 shown]
	s_nop 2
	v_cvt_f32_i32_e32 v171, v170
	v_cvt_f32_i32_e32 v170, v159
	v_mov_b32_e32 v159, 0
	v_dot4c_i32_i8_e32 v159, v88, v160
	v_dot4c_i32_i8_e32 v159, v89, v164
	;; [unrolled: 1-line block ×8, first 2 shown]
	v_pk_fma_f32 v[16:17], v[168:169], v[170:171], v[16:17]
	v_cvt_f32_i32_e32 v170, v172
	v_pk_mul_f32 v[168:169], v[82:83], v[122:123] op_sel_hi:[0,1]
	v_cvt_f32_i32_e32 v171, v159
	v_mov_b32_e32 v159, 0
	v_dot4c_i32_i8_e32 v159, v92, v160
	v_dot4c_i32_i8_e32 v159, v93, v164
	;; [unrolled: 1-line block ×8, first 2 shown]
	v_pk_fma_f32 v[14:15], v[168:169], v[170:171], v[14:15]
	v_cvt_f32_i32_e32 v170, v173
	v_pk_mul_f32 v[168:169], v[84:85], v[122:123] op_sel_hi:[0,1]
	v_cvt_f32_i32_e32 v171, v159
	v_mov_b32_e32 v159, 0
	v_dot4c_i32_i8_e32 v159, v98, v160
	v_dot4c_i32_i8_e32 v159, v99, v164
	;; [unrolled: 1-line block ×8, first 2 shown]
	v_cvt_f32_i32_e32 v160, v174
	v_pk_mul_f32 v[122:123], v[90:91], v[122:123] op_sel_hi:[0,1]
	v_pk_fma_f32 v[12:13], v[168:169], v[170:171], v[12:13]
	v_cvt_f32_i32_e32 v161, v159
	v_mov_b32_e32 v159, 0
	v_mov_b32_e32 v168, 0
	;; [unrolled: 1-line block ×3, first 2 shown]
	v_pk_fma_f32 v[10:11], v[122:123], v[160:161], v[10:11]
	ds_read_b128 v[160:163], v153 offset:6144
	ds_read_b128 v[164:167], v153 offset:6160
	ds_read2_b32 v[122:123], v83 offset0:192 offset1:224
	v_mov_b32_e32 v170, 0
	v_mov_b32_e32 v171, 0
	s_waitcnt lgkmcnt(2)
	v_dot4c_i32_i8_e32 v159, v94, v160
	v_dot4c_i32_i8_e32 v168, v88, v160
	;; [unrolled: 1-line block ×4, first 2 shown]
	s_waitcnt lgkmcnt(1)
	v_dot4c_i32_i8_e32 v159, v95, v164
	v_dot4c_i32_i8_e32 v168, v89, v164
	;; [unrolled: 1-line block ×28, first 2 shown]
	ds_read_b128 v[160:163], v153 offset:7168
	ds_read_b128 v[164:167], v153 offset:7184
	v_add_u32_e32 v153, 32, v153
	s_waitcnt lgkmcnt(1)
	v_dot4c_i32_i8_e32 v171, v94, v160
	s_waitcnt lgkmcnt(0)
	v_dot4c_i32_i8_e32 v171, v95, v164
	v_pk_mul_f32 v[94:95], v[86:87], v[122:123] op_sel_hi:[0,1]
	v_mov_b32_e32 v86, 0
	v_dot4c_i32_i8_e32 v86, v88, v160
	v_dot4c_i32_i8_e32 v86, v89, v164
	v_pk_mul_f32 v[88:89], v[82:83], v[122:123] op_sel_hi:[0,1]
	v_mov_b32_e32 v82, 0
	v_dot4c_i32_i8_e32 v82, v92, v160
	v_dot4c_i32_i8_e32 v82, v93, v164
	;; [unrolled: 1-line block ×16, first 2 shown]
	v_cvt_f32_i32_e32 v102, v159
	v_cvt_f32_i32_e32 v103, v171
	v_dot4c_i32_i8_e32 v86, v104, v162
	v_cvt_f32_i32_e32 v93, v82
	v_mov_b32_e32 v82, 0
	v_dot4c_i32_i8_e32 v86, v105, v166
	v_dot4c_i32_i8_e32 v82, v98, v160
	;; [unrolled: 1-line block ×6, first 2 shown]
	v_pk_fma_f32 v[8:9], v[94:95], v[102:103], v[8:9]
	v_cvt_f32_i32_e32 v94, v168
	v_cvt_f32_i32_e32 v95, v86
	v_dot4c_i32_i8_e32 v82, v107, v165
	v_cvt_f32_i32_e32 v92, v169
	v_dot4c_i32_i8_e32 v82, v116, v162
	v_dot4c_i32_i8_e32 v82, v117, v166
	;; [unrolled: 1-line block ×3, first 2 shown]
	v_pk_fma_f32 v[6:7], v[88:89], v[94:95], v[6:7]
	v_pk_mul_f32 v[88:89], v[84:85], v[122:123] op_sel_hi:[0,1]
	v_dot4c_i32_i8_e32 v82, v121, v167
	v_pk_fma_f32 v[4:5], v[88:89], v[92:93], v[4:5]
	v_cvt_f32_i32_e32 v92, v170
	v_pk_mul_f32 v[88:89], v[90:91], v[122:123] op_sel_hi:[0,1]
	v_cvt_f32_i32_e32 v93, v82
	v_add_u32_e32 v83, 4, v83
	v_pk_fma_f32 v[2:3], v[88:89], v[92:93], v[2:3]
	s_cbranch_scc1 .LBB141_10
; %bb.11:                               ;   in Loop: Header=BB141_6 Depth=1
	s_barrier
	s_branch .LBB141_5
.LBB141_12:
	v_mov_b32_e32 v30, v33
.LBB141_13:
	v_cmp_gt_u32_e32 vcc, s8, v35
	s_and_saveexec_b64 s[0:1], vcc
	s_cbranch_execz .LBB141_64
; %bb.14:
	v_add_u32_e32 v0, s14, v1
	v_mul_lo_u32 v32, v35, s10
	v_cmp_gt_u32_e32 vcc, s10, v0
	s_and_saveexec_b64 s[0:1], vcc
	s_cbranch_execz .LBB141_16
; %bb.15:
	v_cvt_f16_f32_e32 v1, v46
	v_add_u32_e32 v34, v0, v32
	v_mov_b32_e32 v35, 0
	s_waitcnt lgkmcnt(0)
	v_lshl_add_u64 v[34:35], v[34:35], 1, s[12:13]
	global_store_short v[34:35], v1, off
.LBB141_16:
	s_or_b64 exec, exec, s[0:1]
	v_add_u32_e32 v1, 32, v0
	v_cmp_gt_u32_e64 s[0:1], s10, v1
	s_and_saveexec_b64 s[2:3], s[0:1]
	s_cbranch_execz .LBB141_18
; %bb.17:
	v_cvt_f16_f32_e32 v31, v38
	v_add_u32_e32 v34, v1, v32
	v_mov_b32_e32 v35, 0
	s_waitcnt lgkmcnt(0)
	v_lshl_add_u64 v[34:35], v[34:35], 1, s[12:13]
	global_store_short v[34:35], v31, off
.LBB141_18:
	s_or_b64 exec, exec, s[2:3]
	v_add_u32_e32 v31, 64, v0
	v_cmp_gt_u32_e64 s[2:3], s10, v31
	s_and_saveexec_b64 s[4:5], s[2:3]
	;; [unrolled: 13-line block ×3, first 2 shown]
	s_cbranch_execz .LBB141_22
; %bb.21:
	v_cvt_f16_f32_e32 v26, v26
	v_add_u32_e32 v32, v28, v32
	v_mov_b32_e32 v33, 0
	s_waitcnt lgkmcnt(0)
	v_lshl_add_u64 v[32:33], v[32:33], 1, s[12:13]
	global_store_short v[32:33], v26, off
.LBB141_22:
	s_or_b64 exec, exec, s[6:7]
	v_add3_u32 v26, v30, s11, 8
	v_cmp_gt_u32_e64 s[6:7], s8, v26
	s_and_b64 exec, exec, s[6:7]
	s_cbranch_execz .LBB141_64
; %bb.23:
	v_mul_lo_u32 v26, v26, s10
	s_and_saveexec_b64 s[6:7], vcc
	s_cbranch_execnz .LBB141_65
; %bb.24:
	s_or_b64 exec, exec, s[6:7]
	s_and_saveexec_b64 s[6:7], s[0:1]
	s_cbranch_execnz .LBB141_66
.LBB141_25:
	s_or_b64 exec, exec, s[6:7]
	s_and_saveexec_b64 s[6:7], s[2:3]
	s_cbranch_execnz .LBB141_67
.LBB141_26:
	s_or_b64 exec, exec, s[6:7]
	s_and_saveexec_b64 s[6:7], s[4:5]
	s_cbranch_execz .LBB141_28
.LBB141_27:
	v_cvt_f16_f32_e32 v29, v27
	v_add_u32_e32 v26, v26, v28
	v_mov_b32_e32 v27, 0
	s_waitcnt lgkmcnt(0)
	v_lshl_add_u64 v[26:27], v[26:27], 1, s[12:13]
	global_store_short v[26:27], v29, off
.LBB141_28:
	s_or_b64 exec, exec, s[6:7]
	v_add3_u32 v26, v30, s11, 16
	v_cmp_gt_u32_e64 s[6:7], s8, v26
	s_and_b64 exec, exec, s[6:7]
	s_cbranch_execz .LBB141_64
; %bb.29:
	v_mul_lo_u32 v26, v26, s10
	s_and_saveexec_b64 s[6:7], vcc
	s_cbranch_execnz .LBB141_68
; %bb.30:
	s_or_b64 exec, exec, s[6:7]
	s_and_saveexec_b64 s[6:7], s[0:1]
	s_cbranch_execnz .LBB141_69
.LBB141_31:
	s_or_b64 exec, exec, s[6:7]
	s_and_saveexec_b64 s[6:7], s[2:3]
	s_cbranch_execnz .LBB141_70
.LBB141_32:
	s_or_b64 exec, exec, s[6:7]
	s_and_saveexec_b64 s[6:7], s[4:5]
	s_cbranch_execz .LBB141_34
.LBB141_33:
	v_cvt_f16_f32_e32 v18, v18
	v_add_u32_e32 v26, v26, v28
	v_mov_b32_e32 v27, 0
	s_waitcnt lgkmcnt(0)
	v_lshl_add_u64 v[26:27], v[26:27], 1, s[12:13]
	global_store_short v[26:27], v18, off
.LBB141_34:
	s_or_b64 exec, exec, s[6:7]
	v_add3_u32 v18, v30, s11, 24
	v_cmp_gt_u32_e64 s[6:7], s8, v18
	s_and_b64 exec, exec, s[6:7]
	s_cbranch_execz .LBB141_64
; %bb.35:
	v_mul_lo_u32 v18, v18, s10
	s_and_saveexec_b64 s[6:7], vcc
	s_cbranch_execnz .LBB141_71
; %bb.36:
	s_or_b64 exec, exec, s[6:7]
	s_and_saveexec_b64 s[6:7], s[0:1]
	s_cbranch_execnz .LBB141_72
.LBB141_37:
	s_or_b64 exec, exec, s[6:7]
	s_and_saveexec_b64 s[6:7], s[2:3]
	s_cbranch_execnz .LBB141_73
.LBB141_38:
	s_or_b64 exec, exec, s[6:7]
	s_and_saveexec_b64 s[6:7], s[4:5]
	s_cbranch_execz .LBB141_40
.LBB141_39:
	v_cvt_f16_f32_e32 v20, v19
	v_add_u32_e32 v18, v18, v28
	v_mov_b32_e32 v19, 0
	s_waitcnt lgkmcnt(0)
	v_lshl_add_u64 v[18:19], v[18:19], 1, s[12:13]
	global_store_short v[18:19], v20, off
.LBB141_40:
	s_or_b64 exec, exec, s[6:7]
	v_add3_u32 v18, v30, s11, 32
	v_cmp_gt_u32_e64 s[6:7], s8, v18
	s_and_b64 exec, exec, s[6:7]
	s_cbranch_execz .LBB141_64
; %bb.41:
	v_mul_lo_u32 v18, v18, s10
	s_and_saveexec_b64 s[6:7], vcc
	s_cbranch_execnz .LBB141_74
; %bb.42:
	s_or_b64 exec, exec, s[6:7]
	s_and_saveexec_b64 s[6:7], s[0:1]
	s_cbranch_execnz .LBB141_75
.LBB141_43:
	s_or_b64 exec, exec, s[6:7]
	s_and_saveexec_b64 s[6:7], s[2:3]
	s_cbranch_execnz .LBB141_76
.LBB141_44:
	s_or_b64 exec, exec, s[6:7]
	s_and_saveexec_b64 s[6:7], s[4:5]
	s_cbranch_execz .LBB141_46
.LBB141_45:
	v_cvt_f16_f32_e32 v10, v10
	v_add_u32_e32 v18, v18, v28
	v_mov_b32_e32 v19, 0
	s_waitcnt lgkmcnt(0)
	v_lshl_add_u64 v[18:19], v[18:19], 1, s[12:13]
	global_store_short v[18:19], v10, off
.LBB141_46:
	s_or_b64 exec, exec, s[6:7]
	v_add3_u32 v10, v30, s11, 40
	v_cmp_gt_u32_e64 s[6:7], s8, v10
	s_and_b64 exec, exec, s[6:7]
	s_cbranch_execz .LBB141_64
; %bb.47:
	v_mul_lo_u32 v10, v10, s10
	s_and_saveexec_b64 s[6:7], vcc
	s_cbranch_execnz .LBB141_77
; %bb.48:
	s_or_b64 exec, exec, s[6:7]
	s_and_saveexec_b64 s[6:7], s[0:1]
	s_cbranch_execnz .LBB141_78
.LBB141_49:
	s_or_b64 exec, exec, s[6:7]
	s_and_saveexec_b64 s[6:7], s[2:3]
	s_cbranch_execnz .LBB141_79
.LBB141_50:
	s_or_b64 exec, exec, s[6:7]
	s_and_saveexec_b64 s[6:7], s[4:5]
	s_cbranch_execz .LBB141_52
.LBB141_51:
	v_cvt_f16_f32_e32 v12, v11
	v_add_u32_e32 v10, v10, v28
	v_mov_b32_e32 v11, 0
	s_waitcnt lgkmcnt(0)
	v_lshl_add_u64 v[10:11], v[10:11], 1, s[12:13]
	global_store_short v[10:11], v12, off
.LBB141_52:
	s_or_b64 exec, exec, s[6:7]
	v_add3_u32 v10, v30, s11, 48
	v_cmp_gt_u32_e64 s[6:7], s8, v10
	s_and_b64 exec, exec, s[6:7]
	s_cbranch_execz .LBB141_64
; %bb.53:
	v_mul_lo_u32 v10, v10, s10
	s_and_saveexec_b64 s[6:7], vcc
	s_cbranch_execnz .LBB141_80
; %bb.54:
	s_or_b64 exec, exec, s[6:7]
	s_and_saveexec_b64 s[6:7], s[0:1]
	s_cbranch_execnz .LBB141_81
.LBB141_55:
	s_or_b64 exec, exec, s[6:7]
	s_and_saveexec_b64 s[6:7], s[2:3]
	s_cbranch_execnz .LBB141_82
.LBB141_56:
	s_or_b64 exec, exec, s[6:7]
	s_and_saveexec_b64 s[6:7], s[4:5]
	s_cbranch_execz .LBB141_58
.LBB141_57:
	v_cvt_f16_f32_e32 v2, v2
	v_add_u32_e32 v10, v10, v28
	v_mov_b32_e32 v11, 0
	s_waitcnt lgkmcnt(0)
	v_lshl_add_u64 v[10:11], v[10:11], 1, s[12:13]
	global_store_short v[10:11], v2, off
.LBB141_58:
	s_or_b64 exec, exec, s[6:7]
	v_add3_u32 v2, v30, s11, 56
	v_cmp_gt_u32_e64 s[6:7], s8, v2
	s_and_b64 exec, exec, s[6:7]
	s_cbranch_execz .LBB141_64
; %bb.59:
	v_mul_lo_u32 v2, v2, s10
	s_and_saveexec_b64 s[6:7], vcc
	s_cbranch_execnz .LBB141_83
; %bb.60:
	s_or_b64 exec, exec, s[6:7]
	s_and_saveexec_b64 s[6:7], s[0:1]
	s_cbranch_execnz .LBB141_84
.LBB141_61:
	s_or_b64 exec, exec, s[6:7]
	s_and_saveexec_b64 s[0:1], s[2:3]
	s_cbranch_execnz .LBB141_85
.LBB141_62:
	s_or_b64 exec, exec, s[0:1]
	s_and_b64 exec, exec, s[4:5]
	s_cbranch_execz .LBB141_64
.LBB141_63:
	v_cvt_f16_f32_e32 v3, v3
	v_add_u32_e32 v0, v2, v28
	v_mov_b32_e32 v1, 0
	s_waitcnt lgkmcnt(0)
	v_lshl_add_u64 v[0:1], v[0:1], 1, s[12:13]
	global_store_short v[0:1], v3, off
.LBB141_64:
	s_endpgm
.LBB141_65:
	v_cvt_f16_f32_e32 v34, v47
	v_add_u32_e32 v32, v26, v0
	v_mov_b32_e32 v33, 0
	s_waitcnt lgkmcnt(0)
	v_lshl_add_u64 v[32:33], v[32:33], 1, s[12:13]
	global_store_short v[32:33], v34, off
	s_or_b64 exec, exec, s[6:7]
	s_and_saveexec_b64 s[6:7], s[0:1]
	s_cbranch_execz .LBB141_25
.LBB141_66:
	v_cvt_f16_f32_e32 v34, v39
	v_add_u32_e32 v32, v26, v1
	v_mov_b32_e32 v33, 0
	s_waitcnt lgkmcnt(0)
	v_lshl_add_u64 v[32:33], v[32:33], 1, s[12:13]
	global_store_short v[32:33], v34, off
	s_or_b64 exec, exec, s[6:7]
	s_and_saveexec_b64 s[6:7], s[2:3]
	s_cbranch_execz .LBB141_26
.LBB141_67:
	v_cvt_f16_f32_e32 v29, v29
	v_add_u32_e32 v32, v26, v31
	v_mov_b32_e32 v33, 0
	s_waitcnt lgkmcnt(0)
	v_lshl_add_u64 v[32:33], v[32:33], 1, s[12:13]
	global_store_short v[32:33], v29, off
	s_or_b64 exec, exec, s[6:7]
	s_and_saveexec_b64 s[6:7], s[4:5]
	s_cbranch_execnz .LBB141_27
	s_branch .LBB141_28
.LBB141_68:
	v_cvt_f16_f32_e32 v24, v24
	v_add_u32_e32 v32, v26, v0
	v_mov_b32_e32 v33, 0
	s_waitcnt lgkmcnt(0)
	v_lshl_add_u64 v[32:33], v[32:33], 1, s[12:13]
	global_store_short v[32:33], v24, off
	s_or_b64 exec, exec, s[6:7]
	s_and_saveexec_b64 s[6:7], s[0:1]
	s_cbranch_execz .LBB141_31
.LBB141_69:
	v_cvt_f16_f32_e32 v22, v22
	v_add_u32_e32 v32, v26, v1
	v_mov_b32_e32 v33, 0
	s_waitcnt lgkmcnt(0)
	v_lshl_add_u64 v[32:33], v[32:33], 1, s[12:13]
	global_store_short v[32:33], v22, off
	s_or_b64 exec, exec, s[6:7]
	s_and_saveexec_b64 s[6:7], s[2:3]
	s_cbranch_execz .LBB141_32
.LBB141_70:
	v_cvt_f16_f32_e32 v20, v20
	v_add_u32_e32 v32, v26, v31
	v_mov_b32_e32 v33, 0
	s_waitcnt lgkmcnt(0)
	v_lshl_add_u64 v[32:33], v[32:33], 1, s[12:13]
	global_store_short v[32:33], v20, off
	s_or_b64 exec, exec, s[6:7]
	s_and_saveexec_b64 s[6:7], s[4:5]
	s_cbranch_execnz .LBB141_33
	s_branch .LBB141_34
.LBB141_71:
	v_cvt_f16_f32_e32 v20, v25
	v_add_u32_e32 v24, v18, v0
	v_mov_b32_e32 v25, 0
	s_waitcnt lgkmcnt(0)
	v_lshl_add_u64 v[24:25], v[24:25], 1, s[12:13]
	global_store_short v[24:25], v20, off
	s_or_b64 exec, exec, s[6:7]
	s_and_saveexec_b64 s[6:7], s[0:1]
	s_cbranch_execz .LBB141_37
.LBB141_72:
	v_cvt_f16_f32_e32 v20, v23
	v_add_u32_e32 v22, v18, v1
	v_mov_b32_e32 v23, 0
	s_waitcnt lgkmcnt(0)
	v_lshl_add_u64 v[22:23], v[22:23], 1, s[12:13]
	global_store_short v[22:23], v20, off
	s_or_b64 exec, exec, s[6:7]
	s_and_saveexec_b64 s[6:7], s[2:3]
	s_cbranch_execz .LBB141_38
.LBB141_73:
	v_cvt_f16_f32_e32 v22, v21
	v_add_u32_e32 v20, v18, v31
	v_mov_b32_e32 v21, 0
	s_waitcnt lgkmcnt(0)
	v_lshl_add_u64 v[20:21], v[20:21], 1, s[12:13]
	global_store_short v[20:21], v22, off
	s_or_b64 exec, exec, s[6:7]
	s_and_saveexec_b64 s[6:7], s[4:5]
	s_cbranch_execnz .LBB141_39
	s_branch .LBB141_40
.LBB141_74:
	v_cvt_f16_f32_e32 v16, v16
	v_add_u32_e32 v20, v18, v0
	v_mov_b32_e32 v21, 0
	s_waitcnt lgkmcnt(0)
	v_lshl_add_u64 v[20:21], v[20:21], 1, s[12:13]
	global_store_short v[20:21], v16, off
	s_or_b64 exec, exec, s[6:7]
	s_and_saveexec_b64 s[6:7], s[0:1]
	s_cbranch_execz .LBB141_43
.LBB141_75:
	v_cvt_f16_f32_e32 v14, v14
	v_add_u32_e32 v20, v18, v1
	v_mov_b32_e32 v21, 0
	s_waitcnt lgkmcnt(0)
	v_lshl_add_u64 v[20:21], v[20:21], 1, s[12:13]
	global_store_short v[20:21], v14, off
	s_or_b64 exec, exec, s[6:7]
	s_and_saveexec_b64 s[6:7], s[2:3]
	s_cbranch_execz .LBB141_44
.LBB141_76:
	v_cvt_f16_f32_e32 v12, v12
	v_add_u32_e32 v20, v18, v31
	v_mov_b32_e32 v21, 0
	s_waitcnt lgkmcnt(0)
	v_lshl_add_u64 v[20:21], v[20:21], 1, s[12:13]
	global_store_short v[20:21], v12, off
	s_or_b64 exec, exec, s[6:7]
	s_and_saveexec_b64 s[6:7], s[4:5]
	s_cbranch_execnz .LBB141_45
	s_branch .LBB141_46
.LBB141_77:
	v_cvt_f16_f32_e32 v12, v17
	v_add_u32_e32 v16, v10, v0
	v_mov_b32_e32 v17, 0
	s_waitcnt lgkmcnt(0)
	v_lshl_add_u64 v[16:17], v[16:17], 1, s[12:13]
	global_store_short v[16:17], v12, off
	s_or_b64 exec, exec, s[6:7]
	s_and_saveexec_b64 s[6:7], s[0:1]
	s_cbranch_execz .LBB141_49
.LBB141_78:
	v_cvt_f16_f32_e32 v12, v15
	v_add_u32_e32 v14, v10, v1
	v_mov_b32_e32 v15, 0
	s_waitcnt lgkmcnt(0)
	v_lshl_add_u64 v[14:15], v[14:15], 1, s[12:13]
	global_store_short v[14:15], v12, off
	s_or_b64 exec, exec, s[6:7]
	s_and_saveexec_b64 s[6:7], s[2:3]
	s_cbranch_execz .LBB141_50
.LBB141_79:
	v_cvt_f16_f32_e32 v14, v13
	v_add_u32_e32 v12, v10, v31
	v_mov_b32_e32 v13, 0
	s_waitcnt lgkmcnt(0)
	v_lshl_add_u64 v[12:13], v[12:13], 1, s[12:13]
	global_store_short v[12:13], v14, off
	s_or_b64 exec, exec, s[6:7]
	s_and_saveexec_b64 s[6:7], s[4:5]
	s_cbranch_execnz .LBB141_51
	s_branch .LBB141_52
.LBB141_80:
	v_cvt_f16_f32_e32 v8, v8
	v_add_u32_e32 v12, v10, v0
	v_mov_b32_e32 v13, 0
	s_waitcnt lgkmcnt(0)
	v_lshl_add_u64 v[12:13], v[12:13], 1, s[12:13]
	global_store_short v[12:13], v8, off
	s_or_b64 exec, exec, s[6:7]
	s_and_saveexec_b64 s[6:7], s[0:1]
	s_cbranch_execz .LBB141_55
.LBB141_81:
	v_cvt_f16_f32_e32 v6, v6
	v_add_u32_e32 v12, v10, v1
	v_mov_b32_e32 v13, 0
	s_waitcnt lgkmcnt(0)
	v_lshl_add_u64 v[12:13], v[12:13], 1, s[12:13]
	global_store_short v[12:13], v6, off
	s_or_b64 exec, exec, s[6:7]
	s_and_saveexec_b64 s[6:7], s[2:3]
	s_cbranch_execz .LBB141_56
.LBB141_82:
	v_cvt_f16_f32_e32 v4, v4
	v_add_u32_e32 v12, v10, v31
	v_mov_b32_e32 v13, 0
	s_waitcnt lgkmcnt(0)
	v_lshl_add_u64 v[12:13], v[12:13], 1, s[12:13]
	global_store_short v[12:13], v4, off
	s_or_b64 exec, exec, s[6:7]
	s_and_saveexec_b64 s[6:7], s[4:5]
	s_cbranch_execnz .LBB141_57
	s_branch .LBB141_58
.LBB141_83:
	v_cvt_f16_f32_e32 v4, v9
	v_add_u32_e32 v8, v2, v0
	v_mov_b32_e32 v9, 0
	s_waitcnt lgkmcnt(0)
	v_lshl_add_u64 v[8:9], v[8:9], 1, s[12:13]
	global_store_short v[8:9], v4, off
	s_or_b64 exec, exec, s[6:7]
	s_and_saveexec_b64 s[6:7], s[0:1]
	s_cbranch_execz .LBB141_61
.LBB141_84:
	v_cvt_f16_f32_e32 v4, v7
	v_add_u32_e32 v0, v2, v1
	v_mov_b32_e32 v1, 0
	s_waitcnt lgkmcnt(0)
	v_lshl_add_u64 v[0:1], v[0:1], 1, s[12:13]
	global_store_short v[0:1], v4, off
	s_or_b64 exec, exec, s[6:7]
	s_and_saveexec_b64 s[0:1], s[2:3]
	s_cbranch_execz .LBB141_62
.LBB141_85:
	v_cvt_f16_f32_e32 v4, v5
	v_add_u32_e32 v0, v2, v31
	v_mov_b32_e32 v1, 0
	s_waitcnt lgkmcnt(0)
	v_lshl_add_u64 v[0:1], v[0:1], 1, s[12:13]
	global_store_short v[0:1], v4, off
	s_or_b64 exec, exec, s[0:1]
	s_and_b64 exec, exec, s[4:5]
	s_cbranch_execnz .LBB141_63
	s_branch .LBB141_64
	.section	.rodata,"a",@progbits
	.p2align	6, 0x0
	.amdhsa_kernel _ZL12mul_mat_q5_0IN3c104HalfELb0EEvPKvS3_PT_iiiii
		.amdhsa_group_segment_fixed_size 46720
		.amdhsa_private_segment_fixed_size 0
		.amdhsa_kernarg_size 44
		.amdhsa_user_sgpr_count 2
		.amdhsa_user_sgpr_dispatch_ptr 0
		.amdhsa_user_sgpr_queue_ptr 0
		.amdhsa_user_sgpr_kernarg_segment_ptr 1
		.amdhsa_user_sgpr_dispatch_id 0
		.amdhsa_user_sgpr_kernarg_preload_length 0
		.amdhsa_user_sgpr_kernarg_preload_offset 0
		.amdhsa_user_sgpr_private_segment_size 0
		.amdhsa_uses_dynamic_stack 0
		.amdhsa_enable_private_segment 0
		.amdhsa_system_sgpr_workgroup_id_x 1
		.amdhsa_system_sgpr_workgroup_id_y 1
		.amdhsa_system_sgpr_workgroup_id_z 0
		.amdhsa_system_sgpr_workgroup_info 0
		.amdhsa_system_vgpr_workitem_id 1
		.amdhsa_next_free_vgpr 175
		.amdhsa_next_free_sgpr 20
		.amdhsa_accum_offset 176
		.amdhsa_reserve_vcc 1
		.amdhsa_float_round_mode_32 0
		.amdhsa_float_round_mode_16_64 0
		.amdhsa_float_denorm_mode_32 3
		.amdhsa_float_denorm_mode_16_64 3
		.amdhsa_dx10_clamp 1
		.amdhsa_ieee_mode 1
		.amdhsa_fp16_overflow 0
		.amdhsa_tg_split 0
		.amdhsa_exception_fp_ieee_invalid_op 0
		.amdhsa_exception_fp_denorm_src 0
		.amdhsa_exception_fp_ieee_div_zero 0
		.amdhsa_exception_fp_ieee_overflow 0
		.amdhsa_exception_fp_ieee_underflow 0
		.amdhsa_exception_fp_ieee_inexact 0
		.amdhsa_exception_int_div_zero 0
	.end_amdhsa_kernel
	.section	.text._ZL12mul_mat_q5_0IN3c104HalfELb0EEvPKvS3_PT_iiiii,"axG",@progbits,_ZL12mul_mat_q5_0IN3c104HalfELb0EEvPKvS3_PT_iiiii,comdat
.Lfunc_end141:
	.size	_ZL12mul_mat_q5_0IN3c104HalfELb0EEvPKvS3_PT_iiiii, .Lfunc_end141-_ZL12mul_mat_q5_0IN3c104HalfELb0EEvPKvS3_PT_iiiii
                                        ; -- End function
	.section	.AMDGPU.csdata,"",@progbits
; Kernel info:
; codeLenInByte = 14116
; NumSgprs: 26
; NumVgprs: 175
; NumAgprs: 0
; TotalNumVgprs: 175
; ScratchSize: 0
; MemoryBound: 0
; FloatMode: 240
; IeeeMode: 1
; LDSByteSize: 46720 bytes/workgroup (compile time only)
; SGPRBlocks: 3
; VGPRBlocks: 21
; NumSGPRsForWavesPerEU: 26
; NumVGPRsForWavesPerEU: 175
; AccumOffset: 176
; Occupancy: 1
; WaveLimiterHint : 0
; COMPUTE_PGM_RSRC2:SCRATCH_EN: 0
; COMPUTE_PGM_RSRC2:USER_SGPR: 2
; COMPUTE_PGM_RSRC2:TRAP_HANDLER: 0
; COMPUTE_PGM_RSRC2:TGID_X_EN: 1
; COMPUTE_PGM_RSRC2:TGID_Y_EN: 1
; COMPUTE_PGM_RSRC2:TGID_Z_EN: 0
; COMPUTE_PGM_RSRC2:TIDIG_COMP_CNT: 1
; COMPUTE_PGM_RSRC3_GFX90A:ACCUM_OFFSET: 43
; COMPUTE_PGM_RSRC3_GFX90A:TG_SPLIT: 0
	.section	.text._ZL12mul_mat_q5_0IN3c104HalfELb1EEvPKvS3_PT_iiiii,"axG",@progbits,_ZL12mul_mat_q5_0IN3c104HalfELb1EEvPKvS3_PT_iiiii,comdat
	.globl	_ZL12mul_mat_q5_0IN3c104HalfELb1EEvPKvS3_PT_iiiii ; -- Begin function _ZL12mul_mat_q5_0IN3c104HalfELb1EEvPKvS3_PT_iiiii
	.p2align	8
	.type	_ZL12mul_mat_q5_0IN3c104HalfELb1EEvPKvS3_PT_iiiii,@function
_ZL12mul_mat_q5_0IN3c104HalfELb1EEvPKvS3_PT_iiiii: ; @_ZL12mul_mat_q5_0IN3c104HalfELb1EEvPKvS3_PT_iiiii
; %bb.0:
	s_load_dwordx4 s[8:11], s[0:1], 0x18
	s_load_dword s14, s[0:1], 0x28
	s_lshl_b32 s15, s3, 6
	v_bfe_u32 v29, v0, 10, 10
	s_waitcnt lgkmcnt(0)
	s_cmp_gt_i32 s8, 31
	s_cbranch_scc1 .LBB142_2
; %bb.1:
	v_bfe_u32 v26, v0, 10, 10
	s_mov_b32 s4, 0
	v_and_b32_e32 v1, 0x3ff, v0
	v_add_u32_e32 v31, s15, v26
	s_mov_b32 s5, s4
	s_mov_b64 s[6:7], 0
	s_branch .LBB142_3
.LBB142_2:
	s_mov_b64 s[6:7], -1
                                        ; implicit-def: $sgpr4_sgpr5
                                        ; implicit-def: $vgpr26
                                        ; implicit-def: $vgpr1
                                        ; implicit-def: $vgpr31
.LBB142_3:
	s_load_dwordx2 s[12:13], s[0:1], 0x10
	s_lshl_b32 s16, s2, 7
	s_andn2_b64 vcc, exec, s[6:7]
	v_mov_b64_e32 v[2:3], s[4:5]
	v_mov_b64_e32 v[10:11], s[4:5]
	;; [unrolled: 1-line block ×16, first 2 shown]
	s_cbranch_vccnz .LBB142_13
; %bb.4:
	s_ashr_i32 s4, s8, 31
	s_lshr_b32 s4, s4, 27
	s_load_dwordx4 s[0:3], s[0:1], 0x0
	s_add_i32 s4, s8, s4
	s_ashr_i32 s6, s4, 5
	s_ashr_i32 s4, s11, 31
	s_lshr_b32 s4, s4, 27
	s_add_i32 s4, s11, s4
	s_mul_i32 s5, s6, s16
	s_ashr_i32 s4, s4, 5
	s_mul_hi_i32 s8, s5, 22
	s_mul_i32 s5, s5, 22
	s_waitcnt lgkmcnt(0)
	s_add_u32 s7, s0, s5
	s_addc_u32 s8, s1, s8
	s_not_b32 s0, s16
	s_add_i32 s5, s0, s9
	v_and_b32_e32 v1, 0x3ff, v0
	v_min_i32_e32 v3, s5, v29
	v_lshlrev_b32_e32 v4, 3, v1
	s_movk_i32 s1, 0x104
	v_add_u32_e32 v8, 8, v29
	v_mul_lo_u32 v28, v3, s6
	v_mad_u64_u32 v[30:31], s[18:19], v3, s1, v[4:5]
	v_min_i32_e32 v3, s5, v8
	v_add_u32_e32 v9, 16, v29
	v_mul_lo_u32 v32, v3, s6
	v_mad_u64_u32 v[34:35], s[18:19], v3, s1, v[4:5]
	v_min_i32_e32 v3, s5, v9
	;; [unrolled: 4-line block ×7, first 2 shown]
	v_mul_lo_u32 v58, v3, s6
	v_mad_u64_u32 v[60:61], s[18:19], v3, s1, v[4:5]
	v_add_u32_e32 v3, 64, v29
	v_min_i32_e32 v3, s5, v3
	v_mul_lo_u32 v62, v3, s6
	v_mad_u64_u32 v[64:65], s[18:19], v3, s1, v[4:5]
	v_add_u32_e32 v3, 0x48, v29
	v_min_i32_e32 v3, s5, v3
	;; [unrolled: 4-line block ×8, first 2 shown]
	v_lshrrev_b32_e32 v33, 3, v1
	v_mul_lo_u32 v96, v3, s6
	v_mad_u64_u32 v[98:99], s[18:19], v3, s1, v[4:5]
	v_lshl_add_u32 v3, v29, 2, v33
	v_min_i32_e32 v4, s5, v3
	v_ashrrev_i32_e32 v5, 31, v4
	v_lshrrev_b32_e32 v5, 30, v5
	v_and_b32_e32 v100, 7, v1
	v_mul_lo_u32 v102, v4, s6
	v_add_u32_e32 v5, v4, v5
	v_lshlrev_b32_e32 v16, 5, v4
	v_add_u32_e32 v4, 32, v3
	v_and_b32_e32 v5, -4, v5
	v_lshlrev_b32_e32 v6, 2, v100
	s_mov_b32 s9, 0xa200
	v_min_i32_e32 v4, s5, v4
	v_add3_u32 v15, v5, v6, s9
	v_ashrrev_i32_e32 v5, 31, v4
	v_lshrrev_b32_e32 v5, 30, v5
	v_mul_lo_u32 v104, v4, s6
	v_add_u32_e32 v5, v4, v5
	v_lshlrev_b32_e32 v18, 5, v4
	v_add_u32_e32 v4, 64, v3
	v_and_b32_e32 v5, -4, v5
	v_min_i32_e32 v4, s5, v4
	v_add3_u32 v17, v5, v6, s9
	v_ashrrev_i32_e32 v5, 31, v4
	v_add_u32_e32 v3, 0x60, v3
	v_lshrrev_b32_e32 v5, 30, v5
	v_min_i32_e32 v3, s5, v3
	v_mul_lo_u32 v106, v4, s6
	v_add_u32_e32 v5, v4, v5
	v_lshlrev_b32_e32 v20, 5, v4
	v_ashrrev_i32_e32 v4, 31, v3
	v_lshrrev_b32_e32 v4, 30, v4
	v_add_u32_e32 v4, v3, v4
	v_lshrrev_b32_e32 v0, 2, v1
	v_and_b32_e32 v5, -4, v5
	v_mul_lo_u32 v108, v3, s6
	v_and_b32_e32 v4, -4, v4
	v_lshlrev_b32_e32 v22, 5, v3
	v_lshlrev_b32_e32 v3, 2, v1
	v_mov_b32_e32 v27, 0
	v_add3_u32 v19, v5, v6, s9
	v_add3_u32 v21, v4, v6, s9
	v_and_b32_e32 v6, 28, v3
	v_lshl_add_u32 v3, v29, 3, v0
	v_mov_b32_e32 v7, v27
	v_and_b32_e32 v3, 63, v3
	v_and_b32_e32 v2, 3, v1
	s_add_i32 s5, s10, -1
	v_lshl_add_u64 v[110:111], s[2:3], 0, v[6:7]
	v_or_b32_e32 v6, s15, v3
	v_lshlrev_b32_e32 v26, 2, v2
	v_min_i32_e32 v6, s5, v6
	v_add_u32_e32 v31, s15, v29
	v_mad_u64_u32 v[112:113], s[18:19], v6, s4, v[2:3]
	v_lshl_or_b32 v2, v3, 4, v26
	v_cvt_f64_i32_e32 v[4:5], s5
	v_add_u32_e32 v35, 0xb280, v2
	v_cvt_f64_u32_e32 v[2:3], v31
	v_and_b32_e32 v23, 31, v1
	v_min_f64 v[2:3], v[2:3], v[4:5]
	v_cvt_i32_f64_e32 v2, v[2:3]
	v_lshlrev_b32_e32 v6, 2, v23
	v_lshlrev_b32_e32 v7, 7, v29
	v_mul_lo_u32 v37, s4, v2
	v_or_b32_e32 v2, v7, v6
	v_add_u32_e32 v39, 0x8200, v2
	v_add_u32_e32 v2, 8, v31
	v_cvt_f64_u32_e32 v[2:3], v2
	v_min_f64 v[2:3], v[2:3], v[4:5]
	v_cvt_i32_f64_e32 v2, v[2:3]
	v_mul_lo_u32 v41, s4, v2
	v_lshl_or_b32 v2, v8, 7, v6
	v_add_u32_e32 v43, 0x8200, v2
	v_add_u32_e32 v2, 16, v31
	v_cvt_f64_u32_e32 v[2:3], v2
	v_min_f64 v[2:3], v[2:3], v[4:5]
	v_cvt_i32_f64_e32 v2, v[2:3]
	v_mul_lo_u32 v45, s4, v2
	v_lshl_or_b32 v2, v9, 7, v6
	;; [unrolled: 7-line block ×7, first 2 shown]
	v_add_u32_e32 v71, 0x8200, v2
	v_add_u32_e32 v2, 32, v1
	v_lshlrev_b32_e32 v5, 5, v1
	v_lshrrev_b32_e32 v75, 3, v2
	v_and_b32_e32 v2, 0x1fc, v2
	v_add_u32_e32 v2, v5, v2
	s_mov_b32 s0, 0
	v_add_u32_e32 v3, 64, v1
	v_add_u32_e32 v4, 0x60, v1
	;; [unrolled: 1-line block ×4, first 2 shown]
	v_mov_b32_e32 v2, 0x80
	v_and_b32_e32 v4, 0x1fc, v4
	v_and_b32_e32 v3, 0x1fc, v3
	;; [unrolled: 1-line block ×3, first 2 shown]
	v_mad_u32_u24 v101, v1, s1, v2
	s_mov_b32 s1, s0
	v_add_u32_e32 v4, v5, v4
	v_add_u32_e32 v3, v5, v3
	;; [unrolled: 1-line block ×3, first 2 shown]
	v_mov_b32_e32 v6, 0xb280
	v_mov_b64_e32 v[90:91], s[0:1]
	v_mul_u32_u24_e32 v73, 0x104, v1
	v_add_u32_e32 v77, 0xae00, v4
	v_add_u32_e32 v79, 0xaa00, v3
	;; [unrolled: 1-line block ×4, first 2 shown]
	v_lshl_add_u32 v89, v29, 4, v6
	v_add_u32_e32 v93, 0xae10, v4
	v_add_u32_e32 v95, 0xaa10, v3
	;; [unrolled: 1-line block ×3, first 2 shown]
	s_movk_i32 s1, 0x1f00
	s_movk_i32 s9, 0xf000
	;; [unrolled: 1-line block ×3, first 2 shown]
	v_add_u32_e32 v103, v15, v16
	v_add_u32_e32 v105, v17, v18
	v_add_u32_e32 v107, v19, v20
	v_add_u32_e32 v109, v21, v22
	v_mov_b32_e32 v113, 8
	v_mov_b64_e32 v[24:25], v[90:91]
	v_mov_b64_e32 v[16:17], v[90:91]
	;; [unrolled: 1-line block ×15, first 2 shown]
	s_branch .LBB142_6
.LBB142_5:                              ;   in Loop: Header=BB142_6 Depth=1
	s_add_i32 s0, s0, 8
	s_cmp_ge_i32 s0, s6
	s_cbranch_scc1 .LBB142_12
.LBB142_6:                              ; =>This Loop Header: Depth=1
                                        ;     Child Loop BB142_7 Depth 2
                                        ;     Child Loop BB142_10 Depth 2
	s_mul_i32 s4, s0, 22
	s_mul_hi_u32 s5, s0, 22
	s_add_u32 s4, s7, s4
	s_addc_u32 s5, s8, s5
	v_mad_u64_u32 v[114:115], s[18:19], v0, 22, s[4:5]
	v_mad_i64_i32 v[116:117], s[18:19], v28, 22, v[114:115]
	v_lshl_add_u64 v[118:119], v[116:117], 0, v[26:27]
	v_mad_i64_i32 v[124:125], s[18:19], v40, 22, v[114:115]
	v_mad_i64_i32 v[120:121], s[18:19], v32, 22, v[114:115]
	;; [unrolled: 1-line block ×3, first 2 shown]
	global_load_dword v132, v[124:125], off offset:2
	global_load_dword v126, v[122:123], off offset:2
	;; [unrolled: 1-line block ×4, first 2 shown]
	s_nop 0
	global_load_dword v118, v[118:119], off offset:6
	v_lshl_add_u64 v[116:117], v[120:121], 0, v[26:27]
	global_load_dword v119, v[116:117], off offset:6
	v_lshl_add_u64 v[116:117], v[122:123], 0, v[26:27]
	;; [unrolled: 2-line block ×3, first 2 shown]
	global_load_dword v134, v[116:117], off offset:6
	v_mov_b32_e32 v156, v85
	v_mov_b32_e32 v157, v81
	;; [unrolled: 1-line block ×4, first 2 shown]
	s_waitcnt vmcnt(5)
	v_ashrrev_i32_e32 v120, v26, v127
	s_waitcnt vmcnt(4)
	v_ashrrev_i32_e32 v116, v26, v128
	v_lshlrev_b32_e32 v122, 4, v116
	v_lshlrev_b32_e32 v123, 11, v116
	;; [unrolled: 1-line block ×4, first 2 shown]
	v_lshrrev_b32_e32 v127, 12, v116
	v_lshrrev_b32_e32 v128, 5, v116
	v_lshlrev_b32_e32 v129, 2, v116
	s_waitcnt vmcnt(3)
	v_and_b32_e32 v117, 0xf0f0f0f, v118
	v_lshrrev_b32_e32 v118, 4, v118
	v_lshlrev_b32_e32 v116, 9, v116
	v_lshlrev_b32_e32 v130, 4, v120
	;; [unrolled: 1-line block ×5, first 2 shown]
	v_and_b32_e32 v122, 16, v122
	v_and_b32_e32 v123, 0x1000, v123
	;; [unrolled: 1-line block ×7, first 2 shown]
	s_waitcnt vmcnt(2)
	v_and_b32_e32 v121, 0xf0f0f0f, v119
	v_and_b32_e32 v118, 0xf0f0f0f, v118
	;; [unrolled: 1-line block ×7, first 2 shown]
	v_or3_b32 v122, v122, v117, v123
	v_or3_b32 v117, v117, v124, v125
	;; [unrolled: 1-line block ×5, first 2 shown]
	v_and_b32_e32 v125, 0x1f00, v122
	v_lshlrev_b16_e32 v122, 8, v122
	v_and_b32_sdwa v127, v117, s1 dst_sel:DWORD dst_unused:UNUSED_PAD src0_sel:WORD_1 src1_sel:DWORD
	v_lshlrev_b16_sdwa v117, v113, v117 dst_sel:DWORD dst_unused:UNUSED_PAD src0_sel:DWORD src1_sel:WORD_1
	v_or3_b32 v116, v123, v116, v118
	v_and_b32_e32 v118, 0x1f00, v124
	v_lshlrev_b16_e32 v123, 8, v124
	v_and_b32_sdwa v124, v121, s1 dst_sel:DWORD dst_unused:UNUSED_PAD src0_sel:WORD_1 src1_sel:DWORD
	v_lshlrev_b16_sdwa v121, v113, v121 dst_sel:DWORD dst_unused:UNUSED_PAD src0_sel:DWORD src1_sel:WORD_1
	v_add_u16_e32 v122, 0xf000, v122
	v_add_u16_e32 v117, 0xf000, v117
	v_lshlrev_b16_e32 v129, 8, v116
	v_and_b32_sdwa v130, v116, s11 dst_sel:DWORD dst_unused:UNUSED_PAD src0_sel:WORD_1 src1_sel:DWORD
	v_and_b32_e32 v128, 0x1f00, v116
	v_lshlrev_b16_sdwa v116, v113, v116 dst_sel:DWORD dst_unused:UNUSED_PAD src0_sel:DWORD src1_sel:WORD_1
	v_add_u16_e32 v123, 0xf000, v123
	v_add_u16_e32 v121, 0xf000, v121
	v_or_b32_sdwa v122, v125, v122 dst_sel:DWORD dst_unused:UNUSED_PAD src0_sel:DWORD src1_sel:BYTE_1
	v_or_b32_sdwa v117, v127, v117 dst_sel:DWORD dst_unused:UNUSED_PAD src0_sel:DWORD src1_sel:BYTE_1
	v_add_i16 v125, v129, s9 clamp
	v_add_i16 v127, v130, s9 clamp
	;; [unrolled: 1-line block ×3, first 2 shown]
	v_or_b32_sdwa v118, v118, v123 dst_sel:DWORD dst_unused:UNUSED_PAD src0_sel:DWORD src1_sel:BYTE_1
	v_or_b32_sdwa v121, v124, v121 dst_sel:DWORD dst_unused:UNUSED_PAD src0_sel:DWORD src1_sel:BYTE_1
	v_add_u16_e32 v122, 0xf000, v122
	v_add_u16_sdwa v117, v117, s9 dst_sel:WORD_1 dst_unused:UNUSED_PAD src0_sel:DWORD src1_sel:DWORD
	v_or_b32_sdwa v123, v128, v125 dst_sel:DWORD dst_unused:UNUSED_PAD src0_sel:DWORD src1_sel:BYTE_1
	v_and_b32_e32 v124, 0xffffff00, v127
	v_or_b32_e32 v117, v122, v117
	v_add_u16_e32 v122, 0xf000, v123
	v_or_b32_sdwa v116, v116, v124 dst_sel:WORD_1 dst_unused:UNUSED_PAD src0_sel:BYTE_1 src1_sel:DWORD
	v_add_u16_e32 v118, 0xf000, v118
	v_add_u16_sdwa v121, v121, s9 dst_sel:WORD_1 dst_unused:UNUSED_PAD src0_sel:DWORD src1_sel:DWORD
	v_or_b32_e32 v116, v122, v116
	v_or_b32_e32 v118, v118, v121
	ds_write2_b32 v30, v117, v116 offset1:1
	v_lshrrev_b32_e32 v116, 4, v119
	v_lshrrev_b32_e32 v117, 12, v120
	;; [unrolled: 1-line block ×3, first 2 shown]
	v_lshlrev_b32_e32 v121, 2, v120
	v_and_b32_e32 v117, 16, v117
	v_and_b32_e32 v119, 0x1000, v119
	;; [unrolled: 1-line block ×3, first 2 shown]
	v_lshlrev_b32_e32 v120, 9, v120
	v_and_b32_e32 v116, 0xf0f0f0f, v116
	v_and_b32_e32 v120, 0x10000000, v120
	v_or3_b32 v117, v119, v117, v121
	v_or3_b32 v116, v117, v120, v116
	v_lshlrev_b16_e32 v119, 8, v116
	v_and_b32_e32 v117, 0x1f00, v116
	v_add_i16 v119, v119, s9 clamp
	v_or_b32_sdwa v117, v117, v119 dst_sel:DWORD dst_unused:UNUSED_PAD src0_sel:DWORD src1_sel:BYTE_1
	v_and_b32_sdwa v119, v116, s11 dst_sel:DWORD dst_unused:UNUSED_PAD src0_sel:WORD_1 src1_sel:DWORD
	v_add_i16 v119, v119, s9 clamp
	v_lshlrev_b16_sdwa v116, v113, v116 dst_sel:DWORD dst_unused:UNUSED_PAD src0_sel:DWORD src1_sel:WORD_1
	v_and_b32_e32 v119, 0xffffff00, v119
	v_add_i16 v116, v116, s9 clamp
	v_add_u16_e32 v117, 0xf000, v117
	v_or_b32_sdwa v116, v116, v119 dst_sel:WORD_1 dst_unused:UNUSED_PAD src0_sel:BYTE_1 src1_sel:DWORD
	v_ashrrev_i32_e32 v135, v26, v126
	v_or_b32_e32 v116, v117, v116
	ds_write2_b32 v34, v118, v116 offset1:1
	v_lshlrev_b32_e32 v117, 4, v135
	v_lshlrev_b32_e32 v118, 11, v135
	s_waitcnt vmcnt(1)
	v_and_b32_e32 v116, 0xf0f0f0f, v133
	v_and_b32_e32 v117, 16, v117
	;; [unrolled: 1-line block ×3, first 2 shown]
	v_or3_b32 v117, v117, v116, v118
	v_lshlrev_b32_e32 v118, 18, v135
	v_lshlrev_b32_e32 v119, 25, v135
	v_and_b32_e32 v118, 0x100000, v118
	v_and_b32_e32 v119, 0x10000000, v119
	v_or3_b32 v136, v116, v118, v119
	v_and_b32_e32 v116, 0x1f00, v117
	v_lshlrev_b16_e32 v117, 8, v117
	v_add_u16_e32 v117, 0xf000, v117
	v_or_b32_sdwa v116, v116, v117 dst_sel:DWORD dst_unused:UNUSED_PAD src0_sel:DWORD src1_sel:BYTE_1
	v_add_u16_e32 v137, 0xf000, v116
	v_mad_i64_i32 v[116:117], s[18:19], v44, 22, v[114:115]
	v_mad_i64_i32 v[120:121], s[18:19], v50, 22, v[114:115]
	;; [unrolled: 1-line block ×3, first 2 shown]
	v_lshl_add_u64 v[118:119], v[116:117], 0, v[26:27]
	v_lshl_add_u64 v[122:123], v[120:121], 0, v[26:27]
	v_mad_i64_i32 v[124:125], s[18:19], v54, 22, v[114:115]
	v_lshl_add_u64 v[130:131], v[128:129], 0, v[26:27]
	v_lshl_add_u64 v[126:127], v[124:125], 0, v[26:27]
	global_load_dword v138, v[130:131], off offset:6
	global_load_dword v139, v[128:129], off offset:2
	;; [unrolled: 1-line block ×3, first 2 shown]
	s_nop 0
	global_load_dword v124, v[124:125], off offset:2
	s_nop 0
	global_load_dword v122, v[122:123], off offset:6
	;; [unrolled: 2-line block ×5, first 2 shown]
	v_lshlrev_b16_sdwa v119, v113, v136 dst_sel:DWORD dst_unused:UNUSED_PAD src0_sel:DWORD src1_sel:WORD_1
	v_and_b32_sdwa v117, v136, s1 dst_sel:DWORD dst_unused:UNUSED_PAD src0_sel:WORD_1 src1_sel:DWORD
	v_add_u16_e32 v119, 0xf000, v119
	v_lshrrev_b32_e32 v121, 12, v135
	v_lshrrev_b32_e32 v123, 5, v135
	v_lshlrev_b32_e32 v125, 2, v135
	v_or_b32_sdwa v117, v117, v119 dst_sel:DWORD dst_unused:UNUSED_PAD src0_sel:DWORD src1_sel:BYTE_1
	v_lshrrev_b32_e32 v119, 4, v133
	v_and_b32_e32 v121, 16, v121
	v_and_b32_e32 v123, 0x1000, v123
	;; [unrolled: 1-line block ×3, first 2 shown]
	v_lshlrev_b32_e32 v126, 9, v135
	v_and_b32_e32 v119, 0xf0f0f0f, v119
	v_and_b32_e32 v126, 0x10000000, v126
	v_or3_b32 v121, v123, v121, v125
	v_or3_b32 v119, v121, v126, v119
	v_lshlrev_b16_e32 v123, 8, v119
	v_and_b32_e32 v121, 0x1f00, v119
	v_add_i16 v123, v123, s9 clamp
	v_or_b32_sdwa v121, v121, v123 dst_sel:DWORD dst_unused:UNUSED_PAD src0_sel:DWORD src1_sel:BYTE_1
	v_and_b32_sdwa v123, v119, s11 dst_sel:DWORD dst_unused:UNUSED_PAD src0_sel:WORD_1 src1_sel:DWORD
	v_add_i16 v123, v123, s9 clamp
	v_lshlrev_b16_sdwa v119, v113, v119 dst_sel:DWORD dst_unused:UNUSED_PAD src0_sel:DWORD src1_sel:WORD_1
	v_and_b32_e32 v123, 0xffffff00, v123
	v_add_i16 v119, v119, s9 clamp
	v_add_u16_sdwa v117, v117, s9 dst_sel:WORD_1 dst_unused:UNUSED_PAD src0_sel:DWORD src1_sel:DWORD
	v_add_u16_e32 v121, 0xf000, v121
	v_or_b32_sdwa v119, v119, v123 dst_sel:WORD_1 dst_unused:UNUSED_PAD src0_sel:BYTE_1 src1_sel:DWORD
	v_or_b32_e32 v117, v137, v117
	v_or_b32_e32 v119, v121, v119
	ds_write2_b32 v38, v117, v119 offset1:1
	v_ashrrev_i32_e32 v117, v26, v132
	v_lshlrev_b32_e32 v121, 4, v117
	v_lshlrev_b32_e32 v123, 11, v117
	s_waitcnt vmcnt(8)
	v_and_b32_e32 v119, 0xf0f0f0f, v134
	v_and_b32_e32 v121, 16, v121
	;; [unrolled: 1-line block ×3, first 2 shown]
	v_or3_b32 v121, v121, v119, v123
	v_lshlrev_b32_e32 v123, 18, v117
	v_lshlrev_b32_e32 v125, 25, v117
	v_and_b32_e32 v123, 0x100000, v123
	v_and_b32_e32 v125, 0x10000000, v125
	v_or3_b32 v119, v119, v123, v125
	v_and_b32_e32 v123, 0x1f00, v121
	v_lshlrev_b16_e32 v121, 8, v121
	v_add_u16_e32 v121, 0xf000, v121
	v_or_b32_sdwa v121, v123, v121 dst_sel:DWORD dst_unused:UNUSED_PAD src0_sel:DWORD src1_sel:BYTE_1
	v_and_b32_sdwa v123, v119, s1 dst_sel:DWORD dst_unused:UNUSED_PAD src0_sel:WORD_1 src1_sel:DWORD
	v_lshlrev_b16_sdwa v119, v113, v119 dst_sel:DWORD dst_unused:UNUSED_PAD src0_sel:DWORD src1_sel:WORD_1
	v_add_u16_e32 v119, 0xf000, v119
	v_or_b32_sdwa v119, v123, v119 dst_sel:DWORD dst_unused:UNUSED_PAD src0_sel:DWORD src1_sel:BYTE_1
	v_add_u16_e32 v121, 0xf000, v121
	v_add_u16_sdwa v119, v119, s9 dst_sel:WORD_1 dst_unused:UNUSED_PAD src0_sel:DWORD src1_sel:DWORD
	v_lshrrev_b32_e32 v123, 12, v117
	v_lshrrev_b32_e32 v125, 5, v117
	v_lshlrev_b32_e32 v126, 2, v117
	v_or_b32_e32 v119, v121, v119
	v_lshrrev_b32_e32 v121, 4, v134
	v_and_b32_e32 v123, 16, v123
	v_and_b32_e32 v125, 0x1000, v125
	;; [unrolled: 1-line block ×3, first 2 shown]
	v_lshlrev_b32_e32 v117, 9, v117
	v_and_b32_e32 v121, 0xf0f0f0f, v121
	v_and_b32_e32 v117, 0x10000000, v117
	v_or3_b32 v123, v125, v123, v126
	v_or3_b32 v117, v123, v117, v121
	v_lshlrev_b16_e32 v123, 8, v117
	v_and_b32_e32 v121, 0x1f00, v117
	v_add_i16 v123, v123, s9 clamp
	v_or_b32_sdwa v121, v121, v123 dst_sel:DWORD dst_unused:UNUSED_PAD src0_sel:DWORD src1_sel:BYTE_1
	v_and_b32_sdwa v123, v117, s11 dst_sel:DWORD dst_unused:UNUSED_PAD src0_sel:WORD_1 src1_sel:DWORD
	v_add_i16 v123, v123, s9 clamp
	v_lshlrev_b16_sdwa v117, v113, v117 dst_sel:DWORD dst_unused:UNUSED_PAD src0_sel:DWORD src1_sel:WORD_1
	v_and_b32_e32 v123, 0xffffff00, v123
	v_add_i16 v117, v117, s9 clamp
	v_add_u16_e32 v121, 0xf000, v121
	v_or_b32_sdwa v117, v117, v123 dst_sel:WORD_1 dst_unused:UNUSED_PAD src0_sel:BYTE_1 src1_sel:DWORD
	s_waitcnt vmcnt(4)
	v_ashrrev_i32_e32 v132, v26, v124
	v_or_b32_e32 v117, v121, v117
	s_waitcnt vmcnt(0)
	v_ashrrev_i32_e32 v116, v26, v116
	ds_write2_b32 v42, v119, v117 offset1:1
	v_lshlrev_b32_e32 v119, 4, v116
	v_lshlrev_b32_e32 v121, 11, v116
	v_and_b32_e32 v117, 0xf0f0f0f, v118
	v_and_b32_e32 v119, 16, v119
	;; [unrolled: 1-line block ×3, first 2 shown]
	v_or3_b32 v119, v119, v117, v121
	v_lshlrev_b32_e32 v121, 18, v116
	v_lshlrev_b32_e32 v123, 25, v116
	v_and_b32_e32 v121, 0x100000, v121
	v_and_b32_e32 v123, 0x10000000, v123
	v_or3_b32 v117, v117, v121, v123
	v_and_b32_e32 v121, 0x1f00, v119
	v_lshlrev_b16_e32 v119, 8, v119
	v_add_u16_e32 v119, 0xf000, v119
	v_or_b32_sdwa v119, v121, v119 dst_sel:DWORD dst_unused:UNUSED_PAD src0_sel:DWORD src1_sel:BYTE_1
	v_and_b32_sdwa v121, v117, s1 dst_sel:DWORD dst_unused:UNUSED_PAD src0_sel:WORD_1 src1_sel:DWORD
	v_lshlrev_b16_sdwa v117, v113, v117 dst_sel:DWORD dst_unused:UNUSED_PAD src0_sel:DWORD src1_sel:WORD_1
	v_add_u16_e32 v117, 0xf000, v117
	v_or_b32_sdwa v117, v121, v117 dst_sel:DWORD dst_unused:UNUSED_PAD src0_sel:DWORD src1_sel:BYTE_1
	v_add_u16_e32 v119, 0xf000, v119
	v_add_u16_sdwa v117, v117, s9 dst_sel:WORD_1 dst_unused:UNUSED_PAD src0_sel:DWORD src1_sel:DWORD
	v_lshrrev_b32_e32 v121, 5, v116
	v_or_b32_e32 v117, v119, v117
	v_lshrrev_b32_e32 v119, 12, v116
	v_lshlrev_b32_e32 v123, 2, v116
	v_lshrrev_b32_e32 v118, 4, v118
	v_and_b32_e32 v119, 16, v119
	v_and_b32_e32 v121, 0x1000, v121
	;; [unrolled: 1-line block ×3, first 2 shown]
	v_lshlrev_b32_e32 v116, 9, v116
	v_and_b32_e32 v118, 0xf0f0f0f, v118
	v_and_b32_e32 v116, 0x10000000, v116
	v_or3_b32 v119, v121, v119, v123
	v_or3_b32 v116, v119, v116, v118
	v_lshlrev_b16_e32 v119, 8, v116
	v_and_b32_e32 v118, 0x1f00, v116
	v_add_i16 v119, v119, s9 clamp
	v_or_b32_sdwa v118, v118, v119 dst_sel:DWORD dst_unused:UNUSED_PAD src0_sel:DWORD src1_sel:BYTE_1
	v_and_b32_sdwa v119, v116, s11 dst_sel:DWORD dst_unused:UNUSED_PAD src0_sel:WORD_1 src1_sel:DWORD
	v_add_i16 v119, v119, s9 clamp
	v_lshlrev_b16_sdwa v116, v113, v116 dst_sel:DWORD dst_unused:UNUSED_PAD src0_sel:DWORD src1_sel:WORD_1
	v_and_b32_e32 v119, 0xffffff00, v119
	v_add_i16 v116, v116, s9 clamp
	v_add_u16_e32 v118, 0xf000, v118
	v_or_b32_sdwa v116, v116, v119 dst_sel:WORD_1 dst_unused:UNUSED_PAD src0_sel:BYTE_1 src1_sel:DWORD
	v_mad_i64_i32 v[128:129], s[18:19], v76, 22, v[114:115]
	v_or_b32_e32 v116, v118, v116
	ds_write2_b32 v46, v117, v116 offset1:1
	v_ashrrev_i32_e32 v116, v26, v120
	v_lshlrev_b32_e32 v118, 4, v116
	v_lshlrev_b32_e32 v119, 11, v116
	v_and_b32_e32 v117, 0xf0f0f0f, v122
	v_and_b32_e32 v118, 16, v118
	;; [unrolled: 1-line block ×3, first 2 shown]
	v_or3_b32 v118, v118, v117, v119
	v_lshlrev_b32_e32 v119, 18, v116
	v_lshlrev_b32_e32 v120, 25, v116
	v_and_b32_e32 v119, 0x100000, v119
	v_and_b32_e32 v120, 0x10000000, v120
	v_or3_b32 v117, v117, v119, v120
	v_and_b32_e32 v119, 0x1f00, v118
	v_lshlrev_b16_e32 v118, 8, v118
	v_add_u16_e32 v118, 0xf000, v118
	v_or_b32_sdwa v118, v119, v118 dst_sel:DWORD dst_unused:UNUSED_PAD src0_sel:DWORD src1_sel:BYTE_1
	v_and_b32_sdwa v119, v117, s1 dst_sel:DWORD dst_unused:UNUSED_PAD src0_sel:WORD_1 src1_sel:DWORD
	v_lshlrev_b16_sdwa v117, v113, v117 dst_sel:DWORD dst_unused:UNUSED_PAD src0_sel:DWORD src1_sel:WORD_1
	v_add_u16_e32 v117, 0xf000, v117
	v_or_b32_sdwa v117, v119, v117 dst_sel:DWORD dst_unused:UNUSED_PAD src0_sel:DWORD src1_sel:BYTE_1
	v_add_u16_e32 v118, 0xf000, v118
	v_add_u16_sdwa v117, v117, s9 dst_sel:WORD_1 dst_unused:UNUSED_PAD src0_sel:DWORD src1_sel:DWORD
	v_lshrrev_b32_e32 v119, 12, v116
	v_lshrrev_b32_e32 v120, 5, v116
	v_lshlrev_b32_e32 v121, 2, v116
	v_or_b32_e32 v117, v118, v117
	v_lshrrev_b32_e32 v118, 4, v122
	v_and_b32_e32 v119, 16, v119
	v_and_b32_e32 v120, 0x1000, v120
	;; [unrolled: 1-line block ×3, first 2 shown]
	v_lshlrev_b32_e32 v116, 9, v116
	v_and_b32_e32 v118, 0xf0f0f0f, v118
	v_and_b32_e32 v116, 0x10000000, v116
	v_or3_b32 v119, v120, v119, v121
	v_or3_b32 v116, v119, v116, v118
	v_lshlrev_b16_e32 v119, 8, v116
	v_and_b32_e32 v118, 0x1f00, v116
	v_add_i16 v119, v119, s9 clamp
	v_or_b32_sdwa v118, v118, v119 dst_sel:DWORD dst_unused:UNUSED_PAD src0_sel:DWORD src1_sel:BYTE_1
	v_and_b32_sdwa v119, v116, s11 dst_sel:DWORD dst_unused:UNUSED_PAD src0_sel:WORD_1 src1_sel:DWORD
	v_add_i16 v119, v119, s9 clamp
	v_lshlrev_b16_sdwa v116, v113, v116 dst_sel:DWORD dst_unused:UNUSED_PAD src0_sel:DWORD src1_sel:WORD_1
	v_and_b32_e32 v119, 0xffffff00, v119
	v_add_i16 v116, v116, s9 clamp
	v_add_u16_e32 v118, 0xf000, v118
	v_or_b32_sdwa v116, v116, v119 dst_sel:WORD_1 dst_unused:UNUSED_PAD src0_sel:BYTE_1 src1_sel:DWORD
	v_lshlrev_b32_e32 v119, 25, v132
	v_or_b32_e32 v116, v118, v116
	ds_write2_b32 v52, v117, v116 offset1:1
	v_lshlrev_b32_e32 v117, 4, v132
	v_lshlrev_b32_e32 v118, 11, v132
	v_and_b32_e32 v116, 0xf0f0f0f, v140
	v_and_b32_e32 v117, 16, v117
	;; [unrolled: 1-line block ×3, first 2 shown]
	v_or3_b32 v117, v117, v116, v118
	v_lshlrev_b32_e32 v118, 18, v132
	v_and_b32_e32 v118, 0x100000, v118
	v_and_b32_e32 v119, 0x10000000, v119
	v_or3_b32 v133, v116, v118, v119
	v_and_b32_e32 v116, 0x1f00, v117
	v_lshlrev_b16_e32 v117, 8, v117
	v_add_u16_e32 v117, 0xf000, v117
	v_or_b32_sdwa v116, v116, v117 dst_sel:DWORD dst_unused:UNUSED_PAD src0_sel:DWORD src1_sel:BYTE_1
	v_add_u16_e32 v134, 0xf000, v116
	v_mad_i64_i32 v[116:117], s[18:19], v62, 22, v[114:115]
	v_mad_i64_i32 v[120:121], s[18:19], v68, 22, v[114:115]
	v_lshl_add_u64 v[118:119], v[116:117], 0, v[26:27]
	v_lshl_add_u64 v[122:123], v[120:121], 0, v[26:27]
	v_mad_i64_i32 v[124:125], s[18:19], v72, 22, v[114:115]
	v_lshl_add_u64 v[130:131], v[128:129], 0, v[26:27]
	v_lshl_add_u64 v[126:127], v[124:125], 0, v[26:27]
	global_load_dword v130, v[130:131], off offset:6
	s_nop 0
	global_load_dword v131, v[128:129], off offset:2
	global_load_dword v135, v[126:127], off offset:6
	s_nop 0
	global_load_dword v124, v[124:125], off offset:2
	s_nop 0
	;; [unrolled: 2-line block ×5, first 2 shown]
	global_load_dword v116, v[116:117], off offset:2
	v_lshlrev_b16_sdwa v119, v113, v133 dst_sel:DWORD dst_unused:UNUSED_PAD src0_sel:DWORD src1_sel:WORD_1
	v_and_b32_sdwa v117, v133, s1 dst_sel:DWORD dst_unused:UNUSED_PAD src0_sel:WORD_1 src1_sel:DWORD
	v_add_u16_e32 v119, 0xf000, v119
	v_lshrrev_b32_e32 v121, 12, v132
	v_lshrrev_b32_e32 v123, 5, v132
	v_lshlrev_b32_e32 v125, 2, v132
	v_or_b32_sdwa v117, v117, v119 dst_sel:DWORD dst_unused:UNUSED_PAD src0_sel:DWORD src1_sel:BYTE_1
	v_lshrrev_b32_e32 v119, 4, v140
	v_and_b32_e32 v121, 16, v121
	v_and_b32_e32 v123, 0x1000, v123
	;; [unrolled: 1-line block ×3, first 2 shown]
	v_lshlrev_b32_e32 v126, 9, v132
	v_and_b32_e32 v119, 0xf0f0f0f, v119
	v_and_b32_e32 v126, 0x10000000, v126
	v_or3_b32 v121, v123, v121, v125
	v_or3_b32 v119, v121, v126, v119
	v_lshlrev_b16_e32 v123, 8, v119
	v_and_b32_e32 v121, 0x1f00, v119
	v_add_i16 v123, v123, s9 clamp
	v_or_b32_sdwa v121, v121, v123 dst_sel:DWORD dst_unused:UNUSED_PAD src0_sel:DWORD src1_sel:BYTE_1
	v_and_b32_sdwa v123, v119, s11 dst_sel:DWORD dst_unused:UNUSED_PAD src0_sel:WORD_1 src1_sel:DWORD
	v_add_i16 v123, v123, s9 clamp
	v_lshlrev_b16_sdwa v119, v113, v119 dst_sel:DWORD dst_unused:UNUSED_PAD src0_sel:DWORD src1_sel:WORD_1
	v_and_b32_e32 v123, 0xffffff00, v123
	v_add_i16 v119, v119, s9 clamp
	v_add_u16_sdwa v117, v117, s9 dst_sel:WORD_1 dst_unused:UNUSED_PAD src0_sel:DWORD src1_sel:DWORD
	v_add_u16_e32 v121, 0xf000, v121
	v_or_b32_sdwa v119, v119, v123 dst_sel:WORD_1 dst_unused:UNUSED_PAD src0_sel:BYTE_1 src1_sel:DWORD
	v_or_b32_e32 v117, v134, v117
	v_or_b32_e32 v119, v121, v119
	ds_write2_b32 v56, v117, v119 offset1:1
	v_ashrrev_i32_e32 v117, v26, v139
	v_lshlrev_b32_e32 v121, 4, v117
	v_lshlrev_b32_e32 v123, 11, v117
	v_and_b32_e32 v119, 0xf0f0f0f, v138
	v_and_b32_e32 v121, 16, v121
	;; [unrolled: 1-line block ×3, first 2 shown]
	v_or3_b32 v121, v121, v119, v123
	v_lshlrev_b32_e32 v123, 18, v117
	v_lshlrev_b32_e32 v125, 25, v117
	v_and_b32_e32 v123, 0x100000, v123
	v_and_b32_e32 v125, 0x10000000, v125
	v_or3_b32 v119, v119, v123, v125
	v_and_b32_e32 v123, 0x1f00, v121
	v_lshlrev_b16_e32 v121, 8, v121
	v_add_u16_e32 v121, 0xf000, v121
	v_or_b32_sdwa v121, v123, v121 dst_sel:DWORD dst_unused:UNUSED_PAD src0_sel:DWORD src1_sel:BYTE_1
	v_and_b32_sdwa v123, v119, s1 dst_sel:DWORD dst_unused:UNUSED_PAD src0_sel:WORD_1 src1_sel:DWORD
	v_lshlrev_b16_sdwa v119, v113, v119 dst_sel:DWORD dst_unused:UNUSED_PAD src0_sel:DWORD src1_sel:WORD_1
	v_add_u16_e32 v119, 0xf000, v119
	v_or_b32_sdwa v119, v123, v119 dst_sel:DWORD dst_unused:UNUSED_PAD src0_sel:DWORD src1_sel:BYTE_1
	v_add_u16_e32 v121, 0xf000, v121
	v_add_u16_sdwa v119, v119, s9 dst_sel:WORD_1 dst_unused:UNUSED_PAD src0_sel:DWORD src1_sel:DWORD
	v_lshrrev_b32_e32 v123, 12, v117
	v_lshrrev_b32_e32 v125, 5, v117
	v_lshlrev_b32_e32 v126, 2, v117
	v_or_b32_e32 v119, v121, v119
	v_lshrrev_b32_e32 v121, 4, v138
	v_and_b32_e32 v123, 16, v123
	v_and_b32_e32 v125, 0x1000, v125
	;; [unrolled: 1-line block ×3, first 2 shown]
	v_lshlrev_b32_e32 v117, 9, v117
	v_and_b32_e32 v121, 0xf0f0f0f, v121
	v_and_b32_e32 v117, 0x10000000, v117
	v_or3_b32 v123, v125, v123, v126
	v_or3_b32 v117, v123, v117, v121
	v_lshlrev_b16_e32 v123, 8, v117
	v_and_b32_e32 v121, 0x1f00, v117
	v_add_i16 v123, v123, s9 clamp
	v_or_b32_sdwa v121, v121, v123 dst_sel:DWORD dst_unused:UNUSED_PAD src0_sel:DWORD src1_sel:BYTE_1
	v_and_b32_sdwa v123, v117, s11 dst_sel:DWORD dst_unused:UNUSED_PAD src0_sel:WORD_1 src1_sel:DWORD
	v_add_i16 v123, v123, s9 clamp
	v_lshlrev_b16_sdwa v117, v113, v117 dst_sel:DWORD dst_unused:UNUSED_PAD src0_sel:DWORD src1_sel:WORD_1
	v_and_b32_e32 v123, 0xffffff00, v123
	v_add_i16 v117, v117, s9 clamp
	v_add_u16_e32 v121, 0xf000, v121
	v_or_b32_sdwa v117, v117, v123 dst_sel:WORD_1 dst_unused:UNUSED_PAD src0_sel:BYTE_1 src1_sel:DWORD
	s_waitcnt vmcnt(4)
	v_ashrrev_i32_e32 v132, v26, v124
	v_or_b32_e32 v117, v121, v117
	s_waitcnt vmcnt(0)
	v_ashrrev_i32_e32 v116, v26, v116
	ds_write2_b32 v60, v119, v117 offset1:1
	v_lshlrev_b32_e32 v119, 4, v116
	v_lshlrev_b32_e32 v121, 11, v116
	v_and_b32_e32 v117, 0xf0f0f0f, v118
	v_and_b32_e32 v119, 16, v119
	;; [unrolled: 1-line block ×3, first 2 shown]
	v_or3_b32 v119, v119, v117, v121
	v_lshlrev_b32_e32 v121, 18, v116
	v_lshlrev_b32_e32 v123, 25, v116
	v_and_b32_e32 v121, 0x100000, v121
	v_and_b32_e32 v123, 0x10000000, v123
	v_or3_b32 v117, v117, v121, v123
	v_and_b32_e32 v121, 0x1f00, v119
	v_lshlrev_b16_e32 v119, 8, v119
	v_add_u16_e32 v119, 0xf000, v119
	v_or_b32_sdwa v119, v121, v119 dst_sel:DWORD dst_unused:UNUSED_PAD src0_sel:DWORD src1_sel:BYTE_1
	v_and_b32_sdwa v121, v117, s1 dst_sel:DWORD dst_unused:UNUSED_PAD src0_sel:WORD_1 src1_sel:DWORD
	v_lshlrev_b16_sdwa v117, v113, v117 dst_sel:DWORD dst_unused:UNUSED_PAD src0_sel:DWORD src1_sel:WORD_1
	v_add_u16_e32 v117, 0xf000, v117
	v_or_b32_sdwa v117, v121, v117 dst_sel:DWORD dst_unused:UNUSED_PAD src0_sel:DWORD src1_sel:BYTE_1
	v_add_u16_e32 v119, 0xf000, v119
	v_add_u16_sdwa v117, v117, s9 dst_sel:WORD_1 dst_unused:UNUSED_PAD src0_sel:DWORD src1_sel:DWORD
	v_lshrrev_b32_e32 v121, 5, v116
	v_or_b32_e32 v117, v119, v117
	v_lshrrev_b32_e32 v119, 12, v116
	v_lshlrev_b32_e32 v123, 2, v116
	v_lshrrev_b32_e32 v118, 4, v118
	v_and_b32_e32 v119, 16, v119
	v_and_b32_e32 v121, 0x1000, v121
	v_and_b32_e32 v123, 0x100000, v123
	v_lshlrev_b32_e32 v116, 9, v116
	v_and_b32_e32 v118, 0xf0f0f0f, v118
	v_and_b32_e32 v116, 0x10000000, v116
	v_or3_b32 v119, v121, v119, v123
	v_or3_b32 v116, v119, v116, v118
	v_lshlrev_b16_e32 v119, 8, v116
	v_and_b32_e32 v118, 0x1f00, v116
	v_add_i16 v119, v119, s9 clamp
	v_or_b32_sdwa v118, v118, v119 dst_sel:DWORD dst_unused:UNUSED_PAD src0_sel:DWORD src1_sel:BYTE_1
	v_and_b32_sdwa v119, v116, s11 dst_sel:DWORD dst_unused:UNUSED_PAD src0_sel:WORD_1 src1_sel:DWORD
	v_add_i16 v119, v119, s9 clamp
	v_lshlrev_b16_sdwa v116, v113, v116 dst_sel:DWORD dst_unused:UNUSED_PAD src0_sel:DWORD src1_sel:WORD_1
	v_and_b32_e32 v119, 0xffffff00, v119
	v_add_i16 v116, v116, s9 clamp
	v_add_u16_e32 v118, 0xf000, v118
	v_or_b32_sdwa v116, v116, v119 dst_sel:WORD_1 dst_unused:UNUSED_PAD src0_sel:BYTE_1 src1_sel:DWORD
	v_mad_i64_i32 v[124:125], s[18:19], v92, 22, v[114:115]
	v_or_b32_e32 v116, v118, v116
	ds_write2_b32 v64, v117, v116 offset1:1
	v_ashrrev_i32_e32 v116, v26, v120
	v_lshlrev_b32_e32 v118, 4, v116
	v_lshlrev_b32_e32 v119, 11, v116
	v_and_b32_e32 v117, 0xf0f0f0f, v122
	v_and_b32_e32 v118, 16, v118
	;; [unrolled: 1-line block ×3, first 2 shown]
	v_or3_b32 v118, v118, v117, v119
	v_lshlrev_b32_e32 v119, 18, v116
	v_lshlrev_b32_e32 v120, 25, v116
	v_and_b32_e32 v119, 0x100000, v119
	v_and_b32_e32 v120, 0x10000000, v120
	v_or3_b32 v117, v117, v119, v120
	v_and_b32_e32 v119, 0x1f00, v118
	v_lshlrev_b16_e32 v118, 8, v118
	v_add_u16_e32 v118, 0xf000, v118
	v_or_b32_sdwa v118, v119, v118 dst_sel:DWORD dst_unused:UNUSED_PAD src0_sel:DWORD src1_sel:BYTE_1
	v_and_b32_sdwa v119, v117, s1 dst_sel:DWORD dst_unused:UNUSED_PAD src0_sel:WORD_1 src1_sel:DWORD
	v_lshlrev_b16_sdwa v117, v113, v117 dst_sel:DWORD dst_unused:UNUSED_PAD src0_sel:DWORD src1_sel:WORD_1
	v_add_u16_e32 v117, 0xf000, v117
	v_or_b32_sdwa v117, v119, v117 dst_sel:DWORD dst_unused:UNUSED_PAD src0_sel:DWORD src1_sel:BYTE_1
	v_add_u16_e32 v118, 0xf000, v118
	v_add_u16_sdwa v117, v117, s9 dst_sel:WORD_1 dst_unused:UNUSED_PAD src0_sel:DWORD src1_sel:DWORD
	v_lshrrev_b32_e32 v119, 12, v116
	v_lshrrev_b32_e32 v120, 5, v116
	v_lshlrev_b32_e32 v121, 2, v116
	v_or_b32_e32 v117, v118, v117
	v_lshrrev_b32_e32 v118, 4, v122
	v_and_b32_e32 v119, 16, v119
	v_and_b32_e32 v120, 0x1000, v120
	;; [unrolled: 1-line block ×3, first 2 shown]
	v_lshlrev_b32_e32 v116, 9, v116
	v_and_b32_e32 v118, 0xf0f0f0f, v118
	v_and_b32_e32 v116, 0x10000000, v116
	v_or3_b32 v119, v120, v119, v121
	v_or3_b32 v116, v119, v116, v118
	v_lshlrev_b16_e32 v119, 8, v116
	v_and_b32_e32 v118, 0x1f00, v116
	v_add_i16 v119, v119, s9 clamp
	v_or_b32_sdwa v118, v118, v119 dst_sel:DWORD dst_unused:UNUSED_PAD src0_sel:DWORD src1_sel:BYTE_1
	v_and_b32_sdwa v119, v116, s11 dst_sel:DWORD dst_unused:UNUSED_PAD src0_sel:WORD_1 src1_sel:DWORD
	v_add_i16 v119, v119, s9 clamp
	v_lshlrev_b16_sdwa v116, v113, v116 dst_sel:DWORD dst_unused:UNUSED_PAD src0_sel:DWORD src1_sel:WORD_1
	v_and_b32_e32 v119, 0xffffff00, v119
	v_add_i16 v116, v116, s9 clamp
	v_add_u16_e32 v118, 0xf000, v118
	v_or_b32_sdwa v116, v116, v119 dst_sel:WORD_1 dst_unused:UNUSED_PAD src0_sel:BYTE_1 src1_sel:DWORD
	v_lshlrev_b32_e32 v119, 25, v132
	v_or_b32_e32 v116, v118, v116
	ds_write2_b32 v70, v117, v116 offset1:1
	v_lshlrev_b32_e32 v117, 4, v132
	v_lshlrev_b32_e32 v118, 11, v132
	v_and_b32_e32 v116, 0xf0f0f0f, v135
	v_and_b32_e32 v117, 16, v117
	;; [unrolled: 1-line block ×3, first 2 shown]
	v_or3_b32 v117, v117, v116, v118
	v_lshlrev_b32_e32 v118, 18, v132
	v_and_b32_e32 v118, 0x100000, v118
	v_and_b32_e32 v119, 0x10000000, v119
	v_or3_b32 v133, v116, v118, v119
	v_and_b32_e32 v116, 0x1f00, v117
	v_lshlrev_b16_e32 v117, 8, v117
	v_add_u16_e32 v117, 0xf000, v117
	v_or_b32_sdwa v116, v116, v117 dst_sel:DWORD dst_unused:UNUSED_PAD src0_sel:DWORD src1_sel:BYTE_1
	v_add_u16_e32 v134, 0xf000, v116
	v_mad_i64_i32 v[116:117], s[18:19], v80, 22, v[114:115]
	v_mad_i64_i32 v[120:121], s[18:19], v86, 22, v[114:115]
	;; [unrolled: 1-line block ×3, first 2 shown]
	v_lshl_add_u64 v[118:119], v[116:117], 0, v[26:27]
	v_lshl_add_u64 v[122:123], v[120:121], 0, v[26:27]
	;; [unrolled: 1-line block ×4, first 2 shown]
	global_load_dword v136, v[128:129], off offset:6
	global_load_dword v137, v[114:115], off offset:2
	s_nop 0
	global_load_dword v114, v[126:127], off offset:6
	global_load_dword v115, v[124:125], off offset:2
	s_nop 0
	global_load_dword v122, v[122:123], off offset:6
	s_nop 0
	;; [unrolled: 2-line block ×4, first 2 shown]
	global_load_dword v116, v[116:117], off offset:2
	v_lshlrev_b16_sdwa v119, v113, v133 dst_sel:DWORD dst_unused:UNUSED_PAD src0_sel:DWORD src1_sel:WORD_1
	v_and_b32_sdwa v117, v133, s1 dst_sel:DWORD dst_unused:UNUSED_PAD src0_sel:WORD_1 src1_sel:DWORD
	v_add_u16_e32 v119, 0xf000, v119
	v_lshrrev_b32_e32 v121, 12, v132
	v_lshrrev_b32_e32 v123, 5, v132
	v_lshlrev_b32_e32 v124, 2, v132
	v_or_b32_sdwa v117, v117, v119 dst_sel:DWORD dst_unused:UNUSED_PAD src0_sel:DWORD src1_sel:BYTE_1
	v_lshrrev_b32_e32 v119, 4, v135
	v_and_b32_e32 v121, 16, v121
	v_and_b32_e32 v123, 0x1000, v123
	;; [unrolled: 1-line block ×3, first 2 shown]
	v_lshlrev_b32_e32 v125, 9, v132
	v_and_b32_e32 v119, 0xf0f0f0f, v119
	v_and_b32_e32 v125, 0x10000000, v125
	v_or3_b32 v121, v123, v121, v124
	v_or3_b32 v119, v121, v125, v119
	v_lshlrev_b16_e32 v123, 8, v119
	v_and_b32_e32 v121, 0x1f00, v119
	v_add_i16 v123, v123, s9 clamp
	v_or_b32_sdwa v121, v121, v123 dst_sel:DWORD dst_unused:UNUSED_PAD src0_sel:DWORD src1_sel:BYTE_1
	v_and_b32_sdwa v123, v119, s11 dst_sel:DWORD dst_unused:UNUSED_PAD src0_sel:WORD_1 src1_sel:DWORD
	v_add_i16 v123, v123, s9 clamp
	v_lshlrev_b16_sdwa v119, v113, v119 dst_sel:DWORD dst_unused:UNUSED_PAD src0_sel:DWORD src1_sel:WORD_1
	v_and_b32_e32 v123, 0xffffff00, v123
	v_add_i16 v119, v119, s9 clamp
	v_add_u16_sdwa v117, v117, s9 dst_sel:WORD_1 dst_unused:UNUSED_PAD src0_sel:DWORD src1_sel:DWORD
	v_add_u16_e32 v121, 0xf000, v121
	v_or_b32_sdwa v119, v119, v123 dst_sel:WORD_1 dst_unused:UNUSED_PAD src0_sel:BYTE_1 src1_sel:DWORD
	v_or_b32_e32 v117, v134, v117
	v_or_b32_e32 v119, v121, v119
	ds_write2_b32 v74, v117, v119 offset1:1
	v_ashrrev_i32_e32 v117, v26, v131
	v_lshlrev_b32_e32 v121, 4, v117
	v_lshlrev_b32_e32 v123, 11, v117
	v_and_b32_e32 v119, 0xf0f0f0f, v130
	v_and_b32_e32 v121, 16, v121
	;; [unrolled: 1-line block ×3, first 2 shown]
	v_or3_b32 v121, v121, v119, v123
	v_lshlrev_b32_e32 v123, 18, v117
	v_lshlrev_b32_e32 v124, 25, v117
	v_and_b32_e32 v123, 0x100000, v123
	v_and_b32_e32 v124, 0x10000000, v124
	v_or3_b32 v119, v119, v123, v124
	v_and_b32_e32 v123, 0x1f00, v121
	v_lshlrev_b16_e32 v121, 8, v121
	v_add_u16_e32 v121, 0xf000, v121
	v_or_b32_sdwa v121, v123, v121 dst_sel:DWORD dst_unused:UNUSED_PAD src0_sel:DWORD src1_sel:BYTE_1
	v_and_b32_sdwa v123, v119, s1 dst_sel:DWORD dst_unused:UNUSED_PAD src0_sel:WORD_1 src1_sel:DWORD
	v_lshlrev_b16_sdwa v119, v113, v119 dst_sel:DWORD dst_unused:UNUSED_PAD src0_sel:DWORD src1_sel:WORD_1
	v_add_u16_e32 v119, 0xf000, v119
	v_or_b32_sdwa v119, v123, v119 dst_sel:DWORD dst_unused:UNUSED_PAD src0_sel:DWORD src1_sel:BYTE_1
	v_add_u16_e32 v121, 0xf000, v121
	v_add_u16_sdwa v119, v119, s9 dst_sel:WORD_1 dst_unused:UNUSED_PAD src0_sel:DWORD src1_sel:DWORD
	v_lshrrev_b32_e32 v123, 12, v117
	v_lshrrev_b32_e32 v124, 5, v117
	v_lshlrev_b32_e32 v125, 2, v117
	v_or_b32_e32 v119, v121, v119
	v_lshrrev_b32_e32 v121, 4, v130
	v_and_b32_e32 v123, 16, v123
	v_and_b32_e32 v124, 0x1000, v124
	;; [unrolled: 1-line block ×3, first 2 shown]
	v_lshlrev_b32_e32 v117, 9, v117
	v_and_b32_e32 v121, 0xf0f0f0f, v121
	v_and_b32_e32 v117, 0x10000000, v117
	v_or3_b32 v123, v124, v123, v125
	v_or3_b32 v117, v123, v117, v121
	v_lshlrev_b16_e32 v123, 8, v117
	v_and_b32_e32 v121, 0x1f00, v117
	v_add_i16 v123, v123, s9 clamp
	v_or_b32_sdwa v121, v121, v123 dst_sel:DWORD dst_unused:UNUSED_PAD src0_sel:DWORD src1_sel:BYTE_1
	v_and_b32_sdwa v123, v117, s11 dst_sel:DWORD dst_unused:UNUSED_PAD src0_sel:WORD_1 src1_sel:DWORD
	v_add_i16 v123, v123, s9 clamp
	v_lshlrev_b16_sdwa v117, v113, v117 dst_sel:DWORD dst_unused:UNUSED_PAD src0_sel:DWORD src1_sel:WORD_1
	v_and_b32_e32 v123, 0xffffff00, v123
	v_add_i16 v117, v117, s9 clamp
	v_add_u16_e32 v121, 0xf000, v121
	v_or_b32_sdwa v117, v117, v123 dst_sel:WORD_1 dst_unused:UNUSED_PAD src0_sel:BYTE_1 src1_sel:DWORD
	s_waitcnt vmcnt(4)
	v_ashrrev_i32_e32 v115, v26, v115
	v_or_b32_e32 v117, v121, v117
	s_waitcnt vmcnt(0)
	v_ashrrev_i32_e32 v116, v26, v116
	ds_write2_b32 v78, v119, v117 offset1:1
	v_lshlrev_b32_e32 v119, 4, v116
	v_lshlrev_b32_e32 v121, 11, v116
	v_and_b32_e32 v117, 0xf0f0f0f, v118
	v_and_b32_e32 v119, 16, v119
	;; [unrolled: 1-line block ×3, first 2 shown]
	v_or3_b32 v119, v119, v117, v121
	v_lshlrev_b32_e32 v121, 18, v116
	v_lshlrev_b32_e32 v123, 25, v116
	v_and_b32_e32 v121, 0x100000, v121
	v_and_b32_e32 v123, 0x10000000, v123
	v_or3_b32 v117, v117, v121, v123
	v_and_b32_e32 v121, 0x1f00, v119
	v_lshlrev_b16_e32 v119, 8, v119
	v_add_u16_e32 v119, 0xf000, v119
	v_or_b32_sdwa v119, v121, v119 dst_sel:DWORD dst_unused:UNUSED_PAD src0_sel:DWORD src1_sel:BYTE_1
	v_and_b32_sdwa v121, v117, s1 dst_sel:DWORD dst_unused:UNUSED_PAD src0_sel:WORD_1 src1_sel:DWORD
	v_lshlrev_b16_sdwa v117, v113, v117 dst_sel:DWORD dst_unused:UNUSED_PAD src0_sel:DWORD src1_sel:WORD_1
	v_add_u16_e32 v117, 0xf000, v117
	v_or_b32_sdwa v117, v121, v117 dst_sel:DWORD dst_unused:UNUSED_PAD src0_sel:DWORD src1_sel:BYTE_1
	v_add_u16_e32 v119, 0xf000, v119
	v_add_u16_sdwa v117, v117, s9 dst_sel:WORD_1 dst_unused:UNUSED_PAD src0_sel:DWORD src1_sel:DWORD
	v_lshrrev_b32_e32 v121, 5, v116
	v_or_b32_e32 v117, v119, v117
	v_lshrrev_b32_e32 v119, 12, v116
	v_lshlrev_b32_e32 v123, 2, v116
	v_lshrrev_b32_e32 v118, 4, v118
	v_and_b32_e32 v119, 16, v119
	v_and_b32_e32 v121, 0x1000, v121
	;; [unrolled: 1-line block ×3, first 2 shown]
	v_lshlrev_b32_e32 v116, 9, v116
	v_and_b32_e32 v118, 0xf0f0f0f, v118
	v_and_b32_e32 v116, 0x10000000, v116
	v_or3_b32 v119, v121, v119, v123
	v_or3_b32 v116, v119, v116, v118
	v_lshlrev_b16_e32 v119, 8, v116
	v_and_b32_e32 v118, 0x1f00, v116
	v_add_i16 v119, v119, s9 clamp
	v_or_b32_sdwa v118, v118, v119 dst_sel:DWORD dst_unused:UNUSED_PAD src0_sel:DWORD src1_sel:BYTE_1
	v_and_b32_sdwa v119, v116, s11 dst_sel:DWORD dst_unused:UNUSED_PAD src0_sel:WORD_1 src1_sel:DWORD
	v_add_i16 v119, v119, s9 clamp
	v_lshlrev_b16_sdwa v116, v113, v116 dst_sel:DWORD dst_unused:UNUSED_PAD src0_sel:DWORD src1_sel:WORD_1
	v_and_b32_e32 v119, 0xffffff00, v119
	v_add_i16 v116, v116, s9 clamp
	v_add_u16_e32 v118, 0xf000, v118
	v_or_b32_sdwa v116, v116, v119 dst_sel:WORD_1 dst_unused:UNUSED_PAD src0_sel:BYTE_1 src1_sel:DWORD
	v_add_u32_e32 v130, s0, v33
	v_or_b32_e32 v116, v118, v116
	ds_write2_b32 v84, v117, v116 offset1:1
	v_ashrrev_i32_e32 v116, v26, v120
	v_lshlrev_b32_e32 v118, 4, v116
	v_lshlrev_b32_e32 v119, 11, v116
	v_and_b32_e32 v117, 0xf0f0f0f, v122
	v_and_b32_e32 v118, 16, v118
	;; [unrolled: 1-line block ×3, first 2 shown]
	v_or3_b32 v118, v118, v117, v119
	v_lshlrev_b32_e32 v119, 18, v116
	v_lshlrev_b32_e32 v120, 25, v116
	v_and_b32_e32 v119, 0x100000, v119
	v_and_b32_e32 v120, 0x10000000, v120
	v_or3_b32 v117, v117, v119, v120
	v_and_b32_e32 v119, 0x1f00, v118
	v_lshlrev_b16_e32 v118, 8, v118
	v_add_u16_e32 v118, 0xf000, v118
	v_or_b32_sdwa v118, v119, v118 dst_sel:DWORD dst_unused:UNUSED_PAD src0_sel:DWORD src1_sel:BYTE_1
	v_and_b32_sdwa v119, v117, s1 dst_sel:DWORD dst_unused:UNUSED_PAD src0_sel:WORD_1 src1_sel:DWORD
	v_lshlrev_b16_sdwa v117, v113, v117 dst_sel:DWORD dst_unused:UNUSED_PAD src0_sel:DWORD src1_sel:WORD_1
	v_add_u16_e32 v117, 0xf000, v117
	v_or_b32_sdwa v117, v119, v117 dst_sel:DWORD dst_unused:UNUSED_PAD src0_sel:DWORD src1_sel:BYTE_1
	v_add_u16_e32 v118, 0xf000, v118
	v_add_u16_sdwa v117, v117, s9 dst_sel:WORD_1 dst_unused:UNUSED_PAD src0_sel:DWORD src1_sel:DWORD
	v_lshrrev_b32_e32 v119, 12, v116
	v_lshrrev_b32_e32 v120, 5, v116
	v_lshlrev_b32_e32 v121, 2, v116
	v_or_b32_e32 v117, v118, v117
	v_lshrrev_b32_e32 v118, 4, v122
	v_and_b32_e32 v119, 16, v119
	v_and_b32_e32 v120, 0x1000, v120
	;; [unrolled: 1-line block ×3, first 2 shown]
	v_lshlrev_b32_e32 v116, 9, v116
	v_and_b32_e32 v118, 0xf0f0f0f, v118
	v_and_b32_e32 v116, 0x10000000, v116
	v_or3_b32 v119, v120, v119, v121
	v_or3_b32 v116, v119, v116, v118
	v_lshlrev_b16_e32 v119, 8, v116
	v_and_b32_e32 v118, 0x1f00, v116
	v_add_i16 v119, v119, s9 clamp
	v_or_b32_sdwa v118, v118, v119 dst_sel:DWORD dst_unused:UNUSED_PAD src0_sel:DWORD src1_sel:BYTE_1
	v_and_b32_sdwa v119, v116, s11 dst_sel:DWORD dst_unused:UNUSED_PAD src0_sel:WORD_1 src1_sel:DWORD
	v_add_i16 v119, v119, s9 clamp
	v_lshlrev_b16_sdwa v116, v113, v116 dst_sel:DWORD dst_unused:UNUSED_PAD src0_sel:DWORD src1_sel:WORD_1
	v_and_b32_e32 v119, 0xffffff00, v119
	v_add_i16 v116, v116, s9 clamp
	v_add_u16_e32 v118, 0xf000, v118
	v_or_b32_sdwa v116, v116, v119 dst_sel:WORD_1 dst_unused:UNUSED_PAD src0_sel:BYTE_1 src1_sel:DWORD
	v_lshlrev_b32_e32 v119, 25, v115
	v_or_b32_e32 v116, v118, v116
	ds_write2_b32 v88, v117, v116 offset1:1
	v_lshlrev_b32_e32 v117, 4, v115
	v_lshlrev_b32_e32 v118, 11, v115
	v_and_b32_e32 v116, 0xf0f0f0f, v114
	v_and_b32_e32 v117, 16, v117
	;; [unrolled: 1-line block ×3, first 2 shown]
	v_or3_b32 v117, v117, v116, v118
	v_lshlrev_b32_e32 v118, 18, v115
	v_and_b32_e32 v118, 0x100000, v118
	v_and_b32_e32 v119, 0x10000000, v119
	v_or3_b32 v116, v116, v118, v119
	v_and_b32_e32 v118, 0x1f00, v117
	v_lshlrev_b16_e32 v117, 8, v117
	v_lshrrev_b32_e32 v114, 4, v114
	v_add_u16_e32 v117, 0xf000, v117
	v_and_b32_e32 v135, 0xf0f0f0f, v114
	v_lshrrev_b32_e32 v114, 12, v115
	v_or_b32_sdwa v117, v118, v117 dst_sel:DWORD dst_unused:UNUSED_PAD src0_sel:DWORD src1_sel:BYTE_1
	v_and_b32_sdwa v118, v116, s1 dst_sel:DWORD dst_unused:UNUSED_PAD src0_sel:WORD_1 src1_sel:DWORD
	v_lshlrev_b16_sdwa v116, v113, v116 dst_sel:DWORD dst_unused:UNUSED_PAD src0_sel:DWORD src1_sel:WORD_1
	v_and_b32_e32 v138, 16, v114
	v_lshrrev_b32_e32 v114, 5, v115
	v_add_u16_e32 v116, 0xf000, v116
	v_and_b32_e32 v139, 0x1000, v114
	v_lshlrev_b32_e32 v114, 2, v115
	v_or_b32_sdwa v116, v118, v116 dst_sel:DWORD dst_unused:UNUSED_PAD src0_sel:DWORD src1_sel:BYTE_1
	v_and_b32_e32 v140, 0x100000, v114
	v_lshlrev_b32_e32 v114, 9, v115
	v_add_u16_e32 v117, 0xf000, v117
	v_add_u16_sdwa v116, v116, s9 dst_sel:WORD_1 dst_unused:UNUSED_PAD src0_sel:DWORD src1_sel:DWORD
	v_and_b32_e32 v141, 0x10000000, v114
	v_mad_u64_u32 v[114:115], s[4:5], v100, 22, s[4:5]
	v_or_b32_e32 v134, v117, v116
	v_mad_i64_i32 v[116:117], s[4:5], v102, 22, v[114:115]
	v_mad_i64_i32 v[118:119], s[4:5], v104, 22, v[114:115]
	;; [unrolled: 1-line block ×4, first 2 shown]
	global_load_ushort v142, v[116:117], off
	global_load_ushort v143, v[118:119], off
	;; [unrolled: 1-line block ×3, first 2 shown]
	s_nop 0
	global_load_ushort v114, v[114:115], off
	v_add_u32_e32 v116, v130, v37
	v_add_u32_e32 v118, v130, v41
	;; [unrolled: 1-line block ×6, first 2 shown]
	v_mad_i64_i32 v[116:117], s[4:5], v116, 36, v[110:111]
	v_mad_i64_i32 v[118:119], s[4:5], v118, 36, v[110:111]
	;; [unrolled: 1-line block ×5, first 2 shown]
	v_add_u32_e32 v126, v130, v59
	v_add_u32_e32 v128, v130, v63
	;; [unrolled: 1-line block ×3, first 2 shown]
	v_mad_i64_i32 v[126:127], s[4:5], v126, 36, v[110:111]
	v_mad_i64_i32 v[128:129], s[4:5], v128, 36, v[110:111]
	;; [unrolled: 1-line block ×3, first 2 shown]
	v_mad_u64_u32 v[132:133], s[4:5], v115, 36, s[2:3]
	global_load_dword v116, v[116:117], off offset:4
	s_nop 0
	global_load_dword v117, v[118:119], off offset:4
	s_nop 0
	global_load_dword v118, v[120:121], off offset:4
	global_load_dword v119, v[122:123], off offset:4
	s_nop 0
	global_load_dword v120, v[124:125], off offset:4
	global_load_dword v121, v[132:133], off
	global_load_dword v122, v[126:127], off offset:4
	global_load_dword v123, v[128:129], off offset:4
	s_nop 0
	global_load_dword v124, v[130:131], off offset:4
	v_or3_b32 v125, v139, v138, v140
	v_or3_b32 v125, v125, v141, v135
	v_lshlrev_b16_e32 v127, 8, v125
	v_and_b32_e32 v126, 0x1f00, v125
	v_add_i16 v127, v127, s9 clamp
	v_or_b32_sdwa v126, v126, v127 dst_sel:DWORD dst_unused:UNUSED_PAD src0_sel:DWORD src1_sel:BYTE_1
	v_and_b32_sdwa v127, v125, s11 dst_sel:DWORD dst_unused:UNUSED_PAD src0_sel:WORD_1 src1_sel:DWORD
	v_add_i16 v127, v127, s9 clamp
	v_lshlrev_b16_sdwa v125, v113, v125 dst_sel:DWORD dst_unused:UNUSED_PAD src0_sel:DWORD src1_sel:WORD_1
	v_and_b32_e32 v127, 0xffffff00, v127
	v_add_i16 v125, v125, s9 clamp
	v_add_u16_e32 v126, 0xf000, v126
	v_or_b32_sdwa v125, v125, v127 dst_sel:WORD_1 dst_unused:UNUSED_PAD src0_sel:BYTE_1 src1_sel:DWORD
	s_mov_b32 s4, -4
	v_or_b32_e32 v125, v126, v125
	ds_write2_b32 v94, v134, v125 offset1:1
	v_ashrrev_i32_e32 v125, v26, v137
	v_lshlrev_b32_e32 v127, 4, v125
	v_lshlrev_b32_e32 v128, 11, v125
	v_and_b32_e32 v126, 0xf0f0f0f, v136
	v_and_b32_e32 v127, 16, v127
	;; [unrolled: 1-line block ×3, first 2 shown]
	v_or3_b32 v127, v127, v126, v128
	v_lshlrev_b32_e32 v128, 18, v125
	v_lshlrev_b32_e32 v129, 25, v125
	v_and_b32_e32 v128, 0x100000, v128
	v_and_b32_e32 v129, 0x10000000, v129
	v_or3_b32 v126, v126, v128, v129
	v_and_b32_e32 v128, 0x1f00, v127
	v_lshlrev_b16_e32 v127, 8, v127
	v_add_u16_e32 v127, 0xf000, v127
	v_or_b32_sdwa v127, v128, v127 dst_sel:DWORD dst_unused:UNUSED_PAD src0_sel:DWORD src1_sel:BYTE_1
	v_and_b32_sdwa v128, v126, s1 dst_sel:DWORD dst_unused:UNUSED_PAD src0_sel:WORD_1 src1_sel:DWORD
	v_lshlrev_b16_sdwa v126, v113, v126 dst_sel:DWORD dst_unused:UNUSED_PAD src0_sel:DWORD src1_sel:WORD_1
	v_add_u16_e32 v126, 0xf000, v126
	v_or_b32_sdwa v126, v128, v126 dst_sel:DWORD dst_unused:UNUSED_PAD src0_sel:DWORD src1_sel:BYTE_1
	v_add_u16_e32 v127, 0xf000, v127
	v_add_u16_sdwa v126, v126, s9 dst_sel:WORD_1 dst_unused:UNUSED_PAD src0_sel:DWORD src1_sel:DWORD
	v_lshrrev_b32_e32 v128, 12, v125
	v_lshrrev_b32_e32 v129, 5, v125
	v_lshlrev_b32_e32 v130, 2, v125
	v_or_b32_e32 v126, v127, v126
	v_lshrrev_b32_e32 v127, 4, v136
	v_and_b32_e32 v128, 16, v128
	v_and_b32_e32 v129, 0x1000, v129
	;; [unrolled: 1-line block ×3, first 2 shown]
	v_lshlrev_b32_e32 v125, 9, v125
	v_and_b32_e32 v127, 0xf0f0f0f, v127
	v_and_b32_e32 v125, 0x10000000, v125
	v_or3_b32 v128, v129, v128, v130
	v_or3_b32 v125, v128, v125, v127
	v_lshlrev_b16_e32 v128, 8, v125
	v_and_b32_e32 v127, 0x1f00, v125
	v_add_i16 v128, v128, s9 clamp
	v_or_b32_sdwa v127, v127, v128 dst_sel:DWORD dst_unused:UNUSED_PAD src0_sel:DWORD src1_sel:BYTE_1
	v_and_b32_sdwa v128, v125, s11 dst_sel:DWORD dst_unused:UNUSED_PAD src0_sel:WORD_1 src1_sel:DWORD
	v_add_i16 v128, v128, s9 clamp
	v_lshlrev_b16_sdwa v125, v113, v125 dst_sel:DWORD dst_unused:UNUSED_PAD src0_sel:DWORD src1_sel:WORD_1
	v_and_b32_e32 v128, 0xffffff00, v128
	v_add_i16 v125, v125, s9 clamp
	v_add_u16_e32 v127, 0xf000, v127
	v_or_b32_sdwa v125, v125, v128 dst_sel:WORD_1 dst_unused:UNUSED_PAD src0_sel:BYTE_1 src1_sel:DWORD
	s_waitcnt vmcnt(9)
	v_cvt_f32_f16_e32 v114, v114
	v_or_b32_e32 v125, v127, v125
	ds_write2_b32 v98, v126, v125 offset1:1
	v_cvt_f32_f16_e32 v125, v142
	v_cvt_f32_f16_e32 v126, v143
	;; [unrolled: 1-line block ×3, first 2 shown]
	ds_write_b32 v103, v125
	ds_write_b32 v105, v126
	;; [unrolled: 1-line block ×4, first 2 shown]
	s_waitcnt vmcnt(8)
	ds_write_b32 v39, v116
	s_waitcnt vmcnt(7)
	ds_write_b32 v43, v117
	;; [unrolled: 2-line block ×5, first 2 shown]
	s_waitcnt vmcnt(3)
	v_cvt_f32_f16_e32 v114, v121
	s_waitcnt vmcnt(2)
	ds_write_b32 v61, v122
	s_waitcnt vmcnt(1)
	ds_write_b32 v65, v123
	;; [unrolled: 2-line block ×3, first 2 shown]
	ds_write_b32 v35, v114
	v_mov_b32_e32 v117, v89
	v_mov_b32_e32 v119, v87
	;; [unrolled: 1-line block ×3, first 2 shown]
	s_waitcnt lgkmcnt(0)
	s_barrier
.LBB142_7:                              ;   Parent Loop BB142_6 Depth=1
                                        ; =>  This Inner Loop Header: Depth=2
	v_add_u32_e32 v116, 0x2080, v123
	ds_read_b128 v[160:163], v119
	ds_read_b128 v[164:167], v119 offset:16
	ds_read2_b32 v[154:155], v117 offset1:32
	ds_read_b32 v118, v156
	ds_read2_b32 v[126:127], v123 offset1:1
	ds_read2_b32 v[134:135], v123 offset0:2 offset1:3
	ds_read2_b32 v[140:141], v123 offset0:4 offset1:5
	;; [unrolled: 1-line block ×3, first 2 shown]
	ds_read_b32 v114, v157
	ds_read2_b32 v[120:121], v116 offset1:1
	v_add_u32_e32 v116, 0x2088, v123
	ds_read2_b32 v[128:129], v116 offset1:1
	v_add_u32_e32 v116, 0x2090, v123
	;; [unrolled: 2-line block ×3, first 2 shown]
	v_add_u32_e32 v122, 0x4100, v123
	ds_read2_b32 v[146:147], v116 offset1:1
	ds_read_b32 v116, v158
	ds_read2_b32 v[124:125], v122 offset1:1
	v_add_u32_e32 v122, 0x4108, v123
	ds_read2_b32 v[132:133], v122 offset1:1
	v_add_u32_e32 v122, 0x4110, v123
	;; [unrolled: 2-line block ×3, first 2 shown]
	v_add_u32_e32 v130, 0x6180, v123
	ds_read2_b32 v[150:151], v122 offset1:1
	ds_read_b32 v122, v159
	ds_read2_b32 v[130:131], v130 offset1:1
	v_add_u32_e32 v138, 0x6188, v123
	ds_read2_b32 v[138:139], v138 offset1:1
	v_add_u32_e32 v148, 0x6190, v123
	ds_read2_b32 v[148:149], v148 offset1:1
	v_mov_b32_e32 v170, 0
	v_mov_b32_e32 v172, 0
	;; [unrolled: 1-line block ×4, first 2 shown]
	s_waitcnt lgkmcnt(14)
	v_dot4c_i32_i8_e32 v170, v126, v160
	s_waitcnt lgkmcnt(12)
	v_dot4c_i32_i8_e32 v172, v120, v160
	;; [unrolled: 2-line block ×4, first 2 shown]
	v_add_u32_e32 v152, 0x6198, v123
	ds_read2_b32 v[152:153], v152 offset1:1
	v_dot4c_i32_i8_e32 v170, v127, v164
	v_dot4c_i32_i8_e32 v172, v121, v164
	v_dot4c_i32_i8_e32 v173, v125, v164
	v_dot4c_i32_i8_e32 v174, v131, v164
	v_dot4c_i32_i8_e32 v170, v134, v161
	v_dot4c_i32_i8_e32 v172, v128, v161
	v_dot4c_i32_i8_e32 v173, v132, v161
	s_waitcnt lgkmcnt(2)
	v_dot4c_i32_i8_e32 v174, v138, v161
	v_dot4c_i32_i8_e32 v170, v135, v165
	v_dot4c_i32_i8_e32 v172, v129, v165
	v_dot4c_i32_i8_e32 v173, v133, v165
	v_dot4c_i32_i8_e32 v174, v139, v165
	v_dot4c_i32_i8_e32 v170, v140, v162
	v_dot4c_i32_i8_e32 v172, v136, v162
	v_dot4c_i32_i8_e32 v173, v142, v162
	s_waitcnt lgkmcnt(1)
	v_dot4c_i32_i8_e32 v174, v148, v162
	v_dot4c_i32_i8_e32 v170, v141, v166
	v_dot4c_i32_i8_e32 v172, v137, v166
	v_dot4c_i32_i8_e32 v173, v143, v166
	v_dot4c_i32_i8_e32 v174, v149, v166
	v_dot4c_i32_i8_e32 v170, v144, v163
	v_dot4c_i32_i8_e32 v172, v146, v163
	v_dot4c_i32_i8_e32 v173, v150, v163
	s_waitcnt lgkmcnt(0)
	v_dot4c_i32_i8_e32 v174, v152, v163
	v_dot4c_i32_i8_e32 v170, v145, v167
	v_dot4c_i32_i8_e32 v172, v147, v167
	;; [unrolled: 1-line block ×4, first 2 shown]
	ds_read_b128 v[160:163], v119 offset:1024
	ds_read_b128 v[164:167], v119 offset:1040
	v_mov_b32_e32 v171, 0
	v_cvt_f32_i32_e32 v170, v170
	v_pk_mul_f32 v[168:169], v[118:119], v[154:155] op_sel_hi:[0,1]
	s_waitcnt lgkmcnt(1)
	v_dot4c_i32_i8_e32 v171, v126, v160
	s_waitcnt lgkmcnt(0)
	v_dot4c_i32_i8_e32 v171, v127, v164
	v_dot4c_i32_i8_e32 v171, v134, v161
	;; [unrolled: 1-line block ×7, first 2 shown]
	s_add_i32 s4, s4, 4
	v_add_u32_e32 v159, 4, v159
	v_add_u32_e32 v158, 4, v158
	v_cvt_f32_i32_e32 v171, v171
	v_add_u32_e32 v157, 4, v157
	v_add_u32_e32 v156, 4, v156
	s_cmp_lt_u32 s4, 12
	v_pk_fma_f32 v[90:91], v[168:169], v[170:171], v[90:91]
	v_mov_b32_e32 v170, 0
	v_dot4c_i32_i8_e32 v170, v120, v160
	v_dot4c_i32_i8_e32 v170, v121, v164
	;; [unrolled: 1-line block ×8, first 2 shown]
	v_pk_mul_f32 v[168:169], v[114:115], v[154:155] op_sel_hi:[0,1]
	s_nop 1
	v_cvt_f32_i32_e32 v171, v170
	v_cvt_f32_i32_e32 v170, v172
	v_mov_b32_e32 v172, 0
	v_pk_fma_f32 v[82:83], v[168:169], v[170:171], v[82:83]
	v_mov_b32_e32 v170, 0
	v_dot4c_i32_i8_e32 v170, v124, v160
	v_dot4c_i32_i8_e32 v170, v125, v164
	v_dot4c_i32_i8_e32 v170, v132, v161
	v_dot4c_i32_i8_e32 v170, v133, v165
	v_dot4c_i32_i8_e32 v170, v142, v162
	v_dot4c_i32_i8_e32 v170, v143, v166
	v_dot4c_i32_i8_e32 v170, v150, v163
	v_dot4c_i32_i8_e32 v170, v151, v167
	v_pk_mul_f32 v[168:169], v[116:117], v[154:155] op_sel_hi:[0,1]
	v_pk_mul_f32 v[154:155], v[122:123], v[154:155] op_sel_hi:[0,1]
	s_nop 0
	v_cvt_f32_i32_e32 v171, v170
	v_cvt_f32_i32_e32 v170, v173
	v_mov_b32_e32 v173, 0
	v_pk_fma_f32 v[66:67], v[168:169], v[170:171], v[66:67]
	v_mov_b32_e32 v168, 0
	v_dot4c_i32_i8_e32 v168, v130, v160
	v_dot4c_i32_i8_e32 v168, v131, v164
	;; [unrolled: 1-line block ×8, first 2 shown]
	v_cvt_f32_i32_e32 v160, v174
	v_mov_b32_e32 v170, 0
	v_mov_b32_e32 v174, 0
	v_cvt_f32_i32_e32 v161, v168
	v_mov_b32_e32 v171, 0
	v_pk_fma_f32 v[48:49], v[154:155], v[160:161], v[48:49]
	ds_read_b128 v[160:163], v119 offset:2048
	ds_read_b128 v[164:167], v119 offset:2064
	ds_read2_b32 v[154:155], v117 offset0:64 offset1:96
	s_waitcnt lgkmcnt(2)
	v_dot4c_i32_i8_e32 v170, v126, v160
	v_dot4c_i32_i8_e32 v172, v120, v160
	;; [unrolled: 1-line block ×4, first 2 shown]
	s_waitcnt lgkmcnt(1)
	v_dot4c_i32_i8_e32 v170, v127, v164
	v_dot4c_i32_i8_e32 v172, v121, v164
	;; [unrolled: 1-line block ×28, first 2 shown]
	ds_read_b128 v[160:163], v119 offset:3072
	ds_read_b128 v[164:167], v119 offset:3088
	v_cvt_f32_i32_e32 v170, v170
	s_waitcnt lgkmcnt(2)
	v_pk_mul_f32 v[168:169], v[118:119], v[154:155] op_sel_hi:[0,1]
	s_waitcnt lgkmcnt(1)
	v_dot4c_i32_i8_e32 v171, v126, v160
	s_waitcnt lgkmcnt(0)
	v_dot4c_i32_i8_e32 v171, v127, v164
	v_dot4c_i32_i8_e32 v171, v134, v161
	;; [unrolled: 1-line block ×7, first 2 shown]
	s_nop 2
	v_cvt_f32_i32_e32 v171, v171
	v_pk_fma_f32 v[24:25], v[168:169], v[170:171], v[24:25]
	v_mov_b32_e32 v170, 0
	v_dot4c_i32_i8_e32 v170, v120, v160
	v_dot4c_i32_i8_e32 v170, v121, v164
	;; [unrolled: 1-line block ×8, first 2 shown]
	v_pk_mul_f32 v[168:169], v[114:115], v[154:155] op_sel_hi:[0,1]
	s_nop 1
	v_cvt_f32_i32_e32 v171, v170
	v_cvt_f32_i32_e32 v170, v172
	v_mov_b32_e32 v172, 0
	v_pk_fma_f32 v[22:23], v[168:169], v[170:171], v[22:23]
	v_mov_b32_e32 v170, 0
	v_dot4c_i32_i8_e32 v170, v124, v160
	v_dot4c_i32_i8_e32 v170, v125, v164
	;; [unrolled: 1-line block ×8, first 2 shown]
	v_pk_mul_f32 v[168:169], v[116:117], v[154:155] op_sel_hi:[0,1]
	v_pk_mul_f32 v[154:155], v[122:123], v[154:155] op_sel_hi:[0,1]
	s_nop 0
	v_cvt_f32_i32_e32 v171, v170
	v_cvt_f32_i32_e32 v170, v173
	v_mov_b32_e32 v173, 0
	v_pk_fma_f32 v[20:21], v[168:169], v[170:171], v[20:21]
	v_mov_b32_e32 v168, 0
	v_dot4c_i32_i8_e32 v168, v130, v160
	v_dot4c_i32_i8_e32 v168, v131, v164
	;; [unrolled: 1-line block ×8, first 2 shown]
	v_cvt_f32_i32_e32 v160, v174
	v_mov_b32_e32 v170, 0
	v_mov_b32_e32 v174, 0
	v_cvt_f32_i32_e32 v161, v168
	v_mov_b32_e32 v171, 0
	v_pk_fma_f32 v[18:19], v[154:155], v[160:161], v[18:19]
	ds_read_b128 v[160:163], v119 offset:4096
	ds_read_b128 v[164:167], v119 offset:4112
	ds_read2_b32 v[154:155], v117 offset0:128 offset1:160
	s_waitcnt lgkmcnt(2)
	v_dot4c_i32_i8_e32 v170, v126, v160
	v_dot4c_i32_i8_e32 v172, v120, v160
	;; [unrolled: 1-line block ×4, first 2 shown]
	s_waitcnt lgkmcnt(1)
	v_dot4c_i32_i8_e32 v170, v127, v164
	v_dot4c_i32_i8_e32 v172, v121, v164
	;; [unrolled: 1-line block ×28, first 2 shown]
	ds_read_b128 v[160:163], v119 offset:5120
	ds_read_b128 v[164:167], v119 offset:5136
	v_cvt_f32_i32_e32 v170, v170
	s_waitcnt lgkmcnt(2)
	v_pk_mul_f32 v[168:169], v[118:119], v[154:155] op_sel_hi:[0,1]
	s_waitcnt lgkmcnt(1)
	v_dot4c_i32_i8_e32 v171, v126, v160
	s_waitcnt lgkmcnt(0)
	v_dot4c_i32_i8_e32 v171, v127, v164
	v_dot4c_i32_i8_e32 v171, v134, v161
	v_dot4c_i32_i8_e32 v171, v135, v165
	v_dot4c_i32_i8_e32 v171, v140, v162
	v_dot4c_i32_i8_e32 v171, v141, v166
	v_dot4c_i32_i8_e32 v171, v144, v163
	v_dot4c_i32_i8_e32 v171, v145, v167
	s_nop 2
	v_cvt_f32_i32_e32 v171, v171
	v_pk_fma_f32 v[16:17], v[168:169], v[170:171], v[16:17]
	v_mov_b32_e32 v170, 0
	v_dot4c_i32_i8_e32 v170, v120, v160
	v_dot4c_i32_i8_e32 v170, v121, v164
	;; [unrolled: 1-line block ×8, first 2 shown]
	v_pk_mul_f32 v[168:169], v[114:115], v[154:155] op_sel_hi:[0,1]
	s_nop 1
	v_cvt_f32_i32_e32 v171, v170
	v_cvt_f32_i32_e32 v170, v172
	v_mov_b32_e32 v172, 0
	v_pk_fma_f32 v[14:15], v[168:169], v[170:171], v[14:15]
	v_mov_b32_e32 v170, 0
	v_dot4c_i32_i8_e32 v170, v124, v160
	v_dot4c_i32_i8_e32 v170, v125, v164
	;; [unrolled: 1-line block ×8, first 2 shown]
	v_pk_mul_f32 v[168:169], v[116:117], v[154:155] op_sel_hi:[0,1]
	v_pk_mul_f32 v[154:155], v[122:123], v[154:155] op_sel_hi:[0,1]
	s_nop 0
	v_cvt_f32_i32_e32 v171, v170
	v_cvt_f32_i32_e32 v170, v173
	v_pk_fma_f32 v[12:13], v[168:169], v[170:171], v[12:13]
	v_mov_b32_e32 v168, 0
	v_dot4c_i32_i8_e32 v168, v130, v160
	v_dot4c_i32_i8_e32 v168, v131, v164
	;; [unrolled: 1-line block ×8, first 2 shown]
	v_cvt_f32_i32_e32 v160, v174
	v_mov_b32_e32 v169, 0
	v_mov_b32_e32 v170, 0
	v_cvt_f32_i32_e32 v161, v168
	v_mov_b32_e32 v168, 0
	v_mov_b32_e32 v171, 0
	v_pk_fma_f32 v[10:11], v[154:155], v[160:161], v[10:11]
	ds_read_b128 v[160:163], v119 offset:6144
	ds_read_b128 v[164:167], v119 offset:6160
	ds_read2_b32 v[154:155], v117 offset0:192 offset1:224
	s_waitcnt lgkmcnt(2)
	v_dot4c_i32_i8_e32 v168, v126, v160
	v_dot4c_i32_i8_e32 v169, v120, v160
	;; [unrolled: 1-line block ×4, first 2 shown]
	s_waitcnt lgkmcnt(1)
	v_dot4c_i32_i8_e32 v168, v127, v164
	v_dot4c_i32_i8_e32 v169, v121, v164
	;; [unrolled: 1-line block ×28, first 2 shown]
	ds_read_b128 v[160:163], v119 offset:7168
	ds_read_b128 v[164:167], v119 offset:7184
	s_waitcnt lgkmcnt(1)
	v_dot4c_i32_i8_e32 v172, v126, v160
	s_waitcnt lgkmcnt(0)
	v_dot4c_i32_i8_e32 v172, v127, v164
	v_pk_mul_f32 v[126:127], v[118:119], v[154:155] op_sel_hi:[0,1]
	v_mov_b32_e32 v118, 0
	v_dot4c_i32_i8_e32 v118, v120, v160
	v_dot4c_i32_i8_e32 v118, v121, v164
	v_pk_mul_f32 v[120:121], v[114:115], v[154:155] op_sel_hi:[0,1]
	v_mov_b32_e32 v114, 0
	v_dot4c_i32_i8_e32 v114, v124, v160
	v_dot4c_i32_i8_e32 v114, v125, v164
	;; [unrolled: 1-line block ×16, first 2 shown]
	v_cvt_f32_i32_e32 v134, v168
	v_cvt_f32_i32_e32 v135, v172
	v_dot4c_i32_i8_e32 v118, v136, v162
	v_cvt_f32_i32_e32 v125, v114
	v_mov_b32_e32 v114, 0
	v_dot4c_i32_i8_e32 v118, v137, v166
	v_dot4c_i32_i8_e32 v114, v130, v160
	v_dot4c_i32_i8_e32 v118, v146, v163
	v_dot4c_i32_i8_e32 v114, v131, v164
	v_dot4c_i32_i8_e32 v118, v147, v167
	v_dot4c_i32_i8_e32 v114, v138, v161
	v_pk_fma_f32 v[8:9], v[126:127], v[134:135], v[8:9]
	v_cvt_f32_i32_e32 v126, v169
	v_cvt_f32_i32_e32 v127, v118
	v_dot4c_i32_i8_e32 v114, v139, v165
	v_cvt_f32_i32_e32 v124, v170
	v_dot4c_i32_i8_e32 v114, v148, v162
	v_dot4c_i32_i8_e32 v114, v149, v166
	;; [unrolled: 1-line block ×3, first 2 shown]
	v_pk_fma_f32 v[6:7], v[120:121], v[126:127], v[6:7]
	v_pk_mul_f32 v[120:121], v[116:117], v[154:155] op_sel_hi:[0,1]
	v_dot4c_i32_i8_e32 v114, v153, v167
	v_pk_fma_f32 v[4:5], v[120:121], v[124:125], v[4:5]
	v_cvt_f32_i32_e32 v124, v171
	v_pk_mul_f32 v[120:121], v[122:123], v[154:155] op_sel_hi:[0,1]
	v_cvt_f32_i32_e32 v125, v114
	v_add_u32_e32 v123, 32, v123
	v_add_u32_e32 v119, 32, v119
	;; [unrolled: 1-line block ×3, first 2 shown]
	v_pk_fma_f32 v[2:3], v[120:121], v[124:125], v[2:3]
	s_cbranch_scc1 .LBB142_7
; %bb.8:                                ;   in Loop: Header=BB142_6 Depth=1
	s_or_b32 s4, s0, 4
	s_cmp_ge_i32 s4, s6
	s_barrier
	s_cbranch_scc1 .LBB142_5
; %bb.9:                                ;   in Loop: Header=BB142_6 Depth=1
	v_add_u32_e32 v114, s0, v75
	v_add_u32_e32 v116, v114, v37
	;; [unrolled: 1-line block ×9, first 2 shown]
	v_mad_i64_i32 v[130:131], s[4:5], v114, 36, v[110:111]
	v_add_u32_e32 v114, 4, v115
	v_mad_i64_i32 v[116:117], s[4:5], v116, 36, v[110:111]
	v_mad_i64_i32 v[118:119], s[4:5], v118, 36, v[110:111]
	v_mad_i64_i32 v[120:121], s[4:5], v120, 36, v[110:111]
	v_mad_i64_i32 v[122:123], s[4:5], v122, 36, v[110:111]
	v_mad_i64_i32 v[124:125], s[4:5], v124, 36, v[110:111]
	v_mad_i64_i32 v[126:127], s[4:5], v126, 36, v[110:111]
	v_mad_u64_u32 v[114:115], s[4:5], v114, 36, s[2:3]
	v_mad_i64_i32 v[128:129], s[4:5], v128, 36, v[110:111]
	global_load_dword v114, v[114:115], off
	s_nop 0
	global_load_dword v116, v[116:117], off offset:4
	s_nop 0
	global_load_dword v118, v[118:119], off offset:4
	;; [unrolled: 2-line block ×6, first 2 shown]
	global_load_dword v125, v[128:129], off offset:4
                                        ; kill: killed $vgpr128_vgpr129
                                        ; kill: killed $vgpr126_vgpr127
	s_nop 0
	global_load_dword v126, v[130:131], off offset:4
	s_mov_b32 s4, 12
	v_mov_b32_e32 v115, v89
	v_mov_b32_e32 v117, v87
	;; [unrolled: 1-line block ×7, first 2 shown]
	s_waitcnt vmcnt(8)
	v_cvt_f32_f16_e32 v114, v114
	s_waitcnt vmcnt(7)
	ds_write_b32 v39, v116
	s_waitcnt vmcnt(6)
	ds_write_b32 v43, v118
	s_waitcnt vmcnt(5)
	ds_write_b32 v47, v120
	s_waitcnt vmcnt(4)
	ds_write_b32 v53, v121
	s_waitcnt vmcnt(3)
	ds_write_b32 v57, v122
	s_waitcnt vmcnt(2)
	ds_write_b32 v61, v124
	s_waitcnt vmcnt(1)
	ds_write_b32 v65, v125
	s_waitcnt vmcnt(0)
	ds_write_b32 v71, v126
	ds_write_b32 v35, v114
	s_waitcnt lgkmcnt(0)
	s_barrier
.LBB142_10:                             ;   Parent Loop BB142_6 Depth=1
                                        ; =>  This Inner Loop Header: Depth=2
	v_add_u32_e32 v116, 0x2080, v119
	ds_read_b128 v[160:163], v117
	ds_read_b128 v[164:167], v117 offset:16
	ds_read2_b32 v[154:155], v115 offset1:32
	ds_read_b32 v118, v123
	ds_read2_b32 v[126:127], v119 offset1:1
	ds_read2_b32 v[134:135], v119 offset0:2 offset1:3
	ds_read2_b32 v[140:141], v119 offset0:4 offset1:5
	ds_read2_b32 v[144:145], v119 offset0:6 offset1:7
	ds_read_b32 v114, v156
	ds_read2_b32 v[120:121], v116 offset1:1
	v_add_u32_e32 v116, 0x2088, v119
	ds_read2_b32 v[128:129], v116 offset1:1
	v_add_u32_e32 v116, 0x2090, v119
	ds_read2_b32 v[136:137], v116 offset1:1
	v_add_u32_e32 v116, 0x2098, v119
	v_add_u32_e32 v122, 0x4100, v119
	ds_read2_b32 v[146:147], v116 offset1:1
	ds_read_b32 v116, v157
	ds_read2_b32 v[124:125], v122 offset1:1
	v_add_u32_e32 v122, 0x4108, v119
	ds_read2_b32 v[132:133], v122 offset1:1
	v_add_u32_e32 v122, 0x4110, v119
	;; [unrolled: 2-line block ×3, first 2 shown]
	v_add_u32_e32 v130, 0x6180, v119
	ds_read2_b32 v[150:151], v122 offset1:1
	ds_read_b32 v122, v158
	ds_read2_b32 v[130:131], v130 offset1:1
	v_add_u32_e32 v138, 0x6188, v119
	ds_read2_b32 v[138:139], v138 offset1:1
	v_add_u32_e32 v148, 0x6190, v119
	ds_read2_b32 v[148:149], v148 offset1:1
	v_mov_b32_e32 v159, 0
	v_mov_b32_e32 v172, 0
	;; [unrolled: 1-line block ×4, first 2 shown]
	s_waitcnt lgkmcnt(14)
	v_dot4c_i32_i8_e32 v159, v126, v160
	s_waitcnt lgkmcnt(12)
	v_dot4c_i32_i8_e32 v172, v120, v160
	;; [unrolled: 2-line block ×4, first 2 shown]
	v_add_u32_e32 v152, 0x6198, v119
	ds_read2_b32 v[152:153], v152 offset1:1
	v_dot4c_i32_i8_e32 v159, v127, v164
	v_dot4c_i32_i8_e32 v172, v121, v164
	v_dot4c_i32_i8_e32 v173, v125, v164
	v_dot4c_i32_i8_e32 v174, v131, v164
	v_dot4c_i32_i8_e32 v159, v134, v161
	v_dot4c_i32_i8_e32 v172, v128, v161
	v_dot4c_i32_i8_e32 v173, v132, v161
	s_waitcnt lgkmcnt(2)
	v_dot4c_i32_i8_e32 v174, v138, v161
	v_dot4c_i32_i8_e32 v159, v135, v165
	v_dot4c_i32_i8_e32 v172, v129, v165
	v_dot4c_i32_i8_e32 v173, v133, v165
	v_dot4c_i32_i8_e32 v174, v139, v165
	v_dot4c_i32_i8_e32 v159, v140, v162
	v_dot4c_i32_i8_e32 v172, v136, v162
	v_dot4c_i32_i8_e32 v173, v142, v162
	s_waitcnt lgkmcnt(1)
	v_dot4c_i32_i8_e32 v174, v148, v162
	;; [unrolled: 9-line block ×3, first 2 shown]
	v_dot4c_i32_i8_e32 v159, v145, v167
	v_dot4c_i32_i8_e32 v172, v147, v167
	;; [unrolled: 1-line block ×4, first 2 shown]
	ds_read_b128 v[160:163], v117 offset:1024
	ds_read_b128 v[164:167], v117 offset:1040
	v_mov_b32_e32 v170, 0
	v_pk_mul_f32 v[168:169], v[118:119], v[154:155] op_sel_hi:[0,1]
	s_add_i32 s4, s4, 4
	s_waitcnt lgkmcnt(1)
	v_dot4c_i32_i8_e32 v170, v126, v160
	s_waitcnt lgkmcnt(0)
	v_dot4c_i32_i8_e32 v170, v127, v164
	v_dot4c_i32_i8_e32 v170, v134, v161
	;; [unrolled: 1-line block ×7, first 2 shown]
	v_add_u32_e32 v158, 4, v158
	v_add_u32_e32 v157, 4, v157
	;; [unrolled: 1-line block ×3, first 2 shown]
	v_cvt_f32_i32_e32 v171, v170
	v_cvt_f32_i32_e32 v170, v159
	v_mov_b32_e32 v159, 0
	v_dot4c_i32_i8_e32 v159, v120, v160
	v_dot4c_i32_i8_e32 v159, v121, v164
	;; [unrolled: 1-line block ×8, first 2 shown]
	v_pk_fma_f32 v[90:91], v[168:169], v[170:171], v[90:91]
	v_cvt_f32_i32_e32 v170, v172
	v_pk_mul_f32 v[168:169], v[114:115], v[154:155] op_sel_hi:[0,1]
	v_cvt_f32_i32_e32 v171, v159
	v_mov_b32_e32 v159, 0
	v_dot4c_i32_i8_e32 v159, v124, v160
	v_dot4c_i32_i8_e32 v159, v125, v164
	;; [unrolled: 1-line block ×8, first 2 shown]
	v_pk_fma_f32 v[82:83], v[168:169], v[170:171], v[82:83]
	v_pk_mul_f32 v[168:169], v[116:117], v[154:155] op_sel_hi:[0,1]
	v_pk_mul_f32 v[154:155], v[122:123], v[154:155] op_sel_hi:[0,1]
	v_cvt_f32_i32_e32 v171, v159
	v_mov_b32_e32 v159, 0
	v_dot4c_i32_i8_e32 v159, v130, v160
	v_dot4c_i32_i8_e32 v159, v131, v164
	;; [unrolled: 1-line block ×8, first 2 shown]
	v_cvt_f32_i32_e32 v160, v174
	v_cvt_f32_i32_e32 v170, v173
	v_mov_b32_e32 v172, 0
	v_cvt_f32_i32_e32 v161, v159
	v_mov_b32_e32 v159, 0
	v_mov_b32_e32 v173, 0
	;; [unrolled: 1-line block ×3, first 2 shown]
	v_pk_fma_f32 v[48:49], v[154:155], v[160:161], v[48:49]
	ds_read_b128 v[160:163], v117 offset:2048
	ds_read_b128 v[164:167], v117 offset:2064
	ds_read2_b32 v[154:155], v115 offset0:64 offset1:96
	v_pk_fma_f32 v[66:67], v[168:169], v[170:171], v[66:67]
	v_mov_b32_e32 v170, 0
	s_waitcnt lgkmcnt(2)
	v_dot4c_i32_i8_e32 v159, v126, v160
	v_dot4c_i32_i8_e32 v172, v120, v160
	;; [unrolled: 1-line block ×4, first 2 shown]
	s_waitcnt lgkmcnt(1)
	v_dot4c_i32_i8_e32 v159, v127, v164
	v_dot4c_i32_i8_e32 v172, v121, v164
	;; [unrolled: 1-line block ×28, first 2 shown]
	ds_read_b128 v[160:163], v117 offset:3072
	ds_read_b128 v[164:167], v117 offset:3088
	s_waitcnt lgkmcnt(2)
	v_pk_mul_f32 v[168:169], v[118:119], v[154:155] op_sel_hi:[0,1]
	s_cmp_lt_u32 s4, 28
	s_waitcnt lgkmcnt(1)
	v_dot4c_i32_i8_e32 v170, v126, v160
	s_waitcnt lgkmcnt(0)
	v_dot4c_i32_i8_e32 v170, v127, v164
	v_dot4c_i32_i8_e32 v170, v134, v161
	;; [unrolled: 1-line block ×7, first 2 shown]
	s_nop 2
	v_cvt_f32_i32_e32 v171, v170
	v_cvt_f32_i32_e32 v170, v159
	v_mov_b32_e32 v159, 0
	v_dot4c_i32_i8_e32 v159, v120, v160
	v_dot4c_i32_i8_e32 v159, v121, v164
	;; [unrolled: 1-line block ×8, first 2 shown]
	v_pk_fma_f32 v[24:25], v[168:169], v[170:171], v[24:25]
	v_cvt_f32_i32_e32 v170, v172
	v_pk_mul_f32 v[168:169], v[114:115], v[154:155] op_sel_hi:[0,1]
	v_cvt_f32_i32_e32 v171, v159
	v_mov_b32_e32 v159, 0
	v_dot4c_i32_i8_e32 v159, v124, v160
	v_dot4c_i32_i8_e32 v159, v125, v164
	;; [unrolled: 1-line block ×8, first 2 shown]
	v_pk_fma_f32 v[22:23], v[168:169], v[170:171], v[22:23]
	v_pk_mul_f32 v[168:169], v[116:117], v[154:155] op_sel_hi:[0,1]
	v_pk_mul_f32 v[154:155], v[122:123], v[154:155] op_sel_hi:[0,1]
	v_cvt_f32_i32_e32 v171, v159
	v_mov_b32_e32 v159, 0
	v_dot4c_i32_i8_e32 v159, v130, v160
	v_dot4c_i32_i8_e32 v159, v131, v164
	;; [unrolled: 1-line block ×8, first 2 shown]
	v_cvt_f32_i32_e32 v160, v174
	v_cvt_f32_i32_e32 v170, v173
	v_mov_b32_e32 v172, 0
	v_cvt_f32_i32_e32 v161, v159
	v_mov_b32_e32 v159, 0
	v_mov_b32_e32 v173, 0
	;; [unrolled: 1-line block ×3, first 2 shown]
	v_pk_fma_f32 v[18:19], v[154:155], v[160:161], v[18:19]
	ds_read_b128 v[160:163], v117 offset:4096
	ds_read_b128 v[164:167], v117 offset:4112
	ds_read2_b32 v[154:155], v115 offset0:128 offset1:160
	v_pk_fma_f32 v[20:21], v[168:169], v[170:171], v[20:21]
	v_mov_b32_e32 v170, 0
	s_waitcnt lgkmcnt(2)
	v_dot4c_i32_i8_e32 v159, v126, v160
	v_dot4c_i32_i8_e32 v172, v120, v160
	;; [unrolled: 1-line block ×4, first 2 shown]
	s_waitcnt lgkmcnt(1)
	v_dot4c_i32_i8_e32 v159, v127, v164
	v_dot4c_i32_i8_e32 v172, v121, v164
	;; [unrolled: 1-line block ×28, first 2 shown]
	ds_read_b128 v[160:163], v117 offset:5120
	ds_read_b128 v[164:167], v117 offset:5136
	s_waitcnt lgkmcnt(2)
	v_pk_mul_f32 v[168:169], v[118:119], v[154:155] op_sel_hi:[0,1]
	s_waitcnt lgkmcnt(1)
	v_dot4c_i32_i8_e32 v170, v126, v160
	s_waitcnt lgkmcnt(0)
	v_dot4c_i32_i8_e32 v170, v127, v164
	v_dot4c_i32_i8_e32 v170, v134, v161
	;; [unrolled: 1-line block ×7, first 2 shown]
	s_nop 2
	v_cvt_f32_i32_e32 v171, v170
	v_cvt_f32_i32_e32 v170, v159
	v_mov_b32_e32 v159, 0
	v_dot4c_i32_i8_e32 v159, v120, v160
	v_dot4c_i32_i8_e32 v159, v121, v164
	;; [unrolled: 1-line block ×8, first 2 shown]
	v_pk_fma_f32 v[16:17], v[168:169], v[170:171], v[16:17]
	v_cvt_f32_i32_e32 v170, v172
	v_pk_mul_f32 v[168:169], v[114:115], v[154:155] op_sel_hi:[0,1]
	v_cvt_f32_i32_e32 v171, v159
	v_mov_b32_e32 v159, 0
	v_dot4c_i32_i8_e32 v159, v124, v160
	v_dot4c_i32_i8_e32 v159, v125, v164
	;; [unrolled: 1-line block ×8, first 2 shown]
	v_pk_fma_f32 v[14:15], v[168:169], v[170:171], v[14:15]
	v_cvt_f32_i32_e32 v170, v173
	v_pk_mul_f32 v[168:169], v[116:117], v[154:155] op_sel_hi:[0,1]
	v_cvt_f32_i32_e32 v171, v159
	v_mov_b32_e32 v159, 0
	v_dot4c_i32_i8_e32 v159, v130, v160
	v_dot4c_i32_i8_e32 v159, v131, v164
	;; [unrolled: 1-line block ×8, first 2 shown]
	v_cvt_f32_i32_e32 v160, v174
	v_pk_mul_f32 v[154:155], v[122:123], v[154:155] op_sel_hi:[0,1]
	v_pk_fma_f32 v[12:13], v[168:169], v[170:171], v[12:13]
	v_cvt_f32_i32_e32 v161, v159
	v_mov_b32_e32 v159, 0
	v_mov_b32_e32 v168, 0
	;; [unrolled: 1-line block ×3, first 2 shown]
	v_pk_fma_f32 v[10:11], v[154:155], v[160:161], v[10:11]
	ds_read_b128 v[160:163], v117 offset:6144
	ds_read_b128 v[164:167], v117 offset:6160
	ds_read2_b32 v[154:155], v115 offset0:192 offset1:224
	v_mov_b32_e32 v170, 0
	v_mov_b32_e32 v171, 0
	s_waitcnt lgkmcnt(2)
	v_dot4c_i32_i8_e32 v159, v126, v160
	v_dot4c_i32_i8_e32 v168, v120, v160
	;; [unrolled: 1-line block ×4, first 2 shown]
	s_waitcnt lgkmcnt(1)
	v_dot4c_i32_i8_e32 v159, v127, v164
	v_dot4c_i32_i8_e32 v168, v121, v164
	;; [unrolled: 1-line block ×28, first 2 shown]
	ds_read_b128 v[160:163], v117 offset:7168
	ds_read_b128 v[164:167], v117 offset:7184
	s_waitcnt lgkmcnt(1)
	v_dot4c_i32_i8_e32 v171, v126, v160
	s_waitcnt lgkmcnt(0)
	v_dot4c_i32_i8_e32 v171, v127, v164
	v_pk_mul_f32 v[126:127], v[118:119], v[154:155] op_sel_hi:[0,1]
	v_mov_b32_e32 v118, 0
	v_dot4c_i32_i8_e32 v118, v120, v160
	v_dot4c_i32_i8_e32 v118, v121, v164
	v_pk_mul_f32 v[120:121], v[114:115], v[154:155] op_sel_hi:[0,1]
	v_mov_b32_e32 v114, 0
	v_dot4c_i32_i8_e32 v114, v124, v160
	v_dot4c_i32_i8_e32 v114, v125, v164
	;; [unrolled: 1-line block ×16, first 2 shown]
	v_cvt_f32_i32_e32 v134, v159
	v_cvt_f32_i32_e32 v135, v171
	v_dot4c_i32_i8_e32 v118, v136, v162
	v_cvt_f32_i32_e32 v125, v114
	v_mov_b32_e32 v114, 0
	v_dot4c_i32_i8_e32 v118, v137, v166
	v_dot4c_i32_i8_e32 v114, v130, v160
	;; [unrolled: 1-line block ×6, first 2 shown]
	v_pk_fma_f32 v[8:9], v[126:127], v[134:135], v[8:9]
	v_cvt_f32_i32_e32 v126, v168
	v_cvt_f32_i32_e32 v127, v118
	v_dot4c_i32_i8_e32 v114, v139, v165
	v_cvt_f32_i32_e32 v124, v169
	v_dot4c_i32_i8_e32 v114, v148, v162
	v_dot4c_i32_i8_e32 v114, v149, v166
	;; [unrolled: 1-line block ×3, first 2 shown]
	v_pk_fma_f32 v[6:7], v[120:121], v[126:127], v[6:7]
	v_pk_mul_f32 v[120:121], v[116:117], v[154:155] op_sel_hi:[0,1]
	v_dot4c_i32_i8_e32 v114, v153, v167
	v_pk_fma_f32 v[4:5], v[120:121], v[124:125], v[4:5]
	v_cvt_f32_i32_e32 v124, v170
	v_pk_mul_f32 v[120:121], v[122:123], v[154:155] op_sel_hi:[0,1]
	v_cvt_f32_i32_e32 v125, v114
	v_add_u32_e32 v123, 4, v123
	v_add_u32_e32 v119, 32, v119
	;; [unrolled: 1-line block ×3, first 2 shown]
	v_pk_fma_f32 v[2:3], v[120:121], v[124:125], v[2:3]
	v_add_u32_e32 v115, 4, v115
	s_cbranch_scc1 .LBB142_10
; %bb.11:                               ;   in Loop: Header=BB142_6 Depth=1
	s_barrier
	s_branch .LBB142_5
.LBB142_12:
	v_mov_b32_e32 v26, v29
.LBB142_13:
	v_cmp_gt_u32_e32 vcc, s10, v31
	s_and_saveexec_b64 s[0:1], vcc
	s_cbranch_execz .LBB142_64
; %bb.14:
	v_add_u32_e32 v0, s16, v1
	v_mul_lo_u32 v29, v31, s14
	v_cmp_gt_u32_e32 vcc, s14, v0
	s_and_saveexec_b64 s[0:1], vcc
	s_cbranch_execz .LBB142_16
; %bb.15:
	v_cvt_f16_f32_e32 v1, v90
	v_add_u32_e32 v30, v0, v29
	v_mov_b32_e32 v31, 0
	s_waitcnt lgkmcnt(0)
	v_lshl_add_u64 v[30:31], v[30:31], 1, s[12:13]
	global_store_short v[30:31], v1, off
.LBB142_16:
	s_or_b64 exec, exec, s[0:1]
	v_add_u32_e32 v1, 32, v0
	v_cmp_gt_u32_e64 s[0:1], s14, v1
	s_and_saveexec_b64 s[2:3], s[0:1]
	s_cbranch_execz .LBB142_18
; %bb.17:
	v_cvt_f16_f32_e32 v27, v82
	v_add_u32_e32 v30, v1, v29
	v_mov_b32_e32 v31, 0
	s_waitcnt lgkmcnt(0)
	v_lshl_add_u64 v[30:31], v[30:31], 1, s[12:13]
	global_store_short v[30:31], v27, off
.LBB142_18:
	s_or_b64 exec, exec, s[2:3]
	v_add_u32_e32 v27, 64, v0
	v_cmp_gt_u32_e64 s[2:3], s14, v27
	s_and_saveexec_b64 s[4:5], s[2:3]
	;; [unrolled: 13-line block ×3, first 2 shown]
	s_cbranch_execz .LBB142_22
; %bb.21:
	v_cvt_f16_f32_e32 v32, v48
	v_add_u32_e32 v30, v28, v29
	v_mov_b32_e32 v31, 0
	s_waitcnt lgkmcnt(0)
	v_lshl_add_u64 v[30:31], v[30:31], 1, s[12:13]
	global_store_short v[30:31], v32, off
.LBB142_22:
	s_or_b64 exec, exec, s[6:7]
	v_add3_u32 v29, v26, s15, 8
	v_cmp_gt_u32_e64 s[6:7], s10, v29
	s_and_b64 exec, exec, s[6:7]
	s_cbranch_execz .LBB142_64
; %bb.23:
	v_mul_lo_u32 v29, v29, s14
	s_and_saveexec_b64 s[6:7], vcc
	s_cbranch_execnz .LBB142_65
; %bb.24:
	s_or_b64 exec, exec, s[6:7]
	s_and_saveexec_b64 s[6:7], s[0:1]
	s_cbranch_execnz .LBB142_66
.LBB142_25:
	s_or_b64 exec, exec, s[6:7]
	s_and_saveexec_b64 s[6:7], s[2:3]
	s_cbranch_execnz .LBB142_67
.LBB142_26:
	s_or_b64 exec, exec, s[6:7]
	s_and_saveexec_b64 s[6:7], s[4:5]
	s_cbranch_execz .LBB142_28
.LBB142_27:
	v_cvt_f16_f32_e32 v32, v49
	v_add_u32_e32 v30, v29, v28
	v_mov_b32_e32 v31, 0
	s_waitcnt lgkmcnt(0)
	v_lshl_add_u64 v[30:31], v[30:31], 1, s[12:13]
	global_store_short v[30:31], v32, off
.LBB142_28:
	s_or_b64 exec, exec, s[6:7]
	v_add3_u32 v29, v26, s15, 16
	v_cmp_gt_u32_e64 s[6:7], s10, v29
	s_and_b64 exec, exec, s[6:7]
	s_cbranch_execz .LBB142_64
; %bb.29:
	v_mul_lo_u32 v29, v29, s14
	s_and_saveexec_b64 s[6:7], vcc
	s_cbranch_execnz .LBB142_68
; %bb.30:
	s_or_b64 exec, exec, s[6:7]
	s_and_saveexec_b64 s[6:7], s[0:1]
	s_cbranch_execnz .LBB142_69
.LBB142_31:
	s_or_b64 exec, exec, s[6:7]
	s_and_saveexec_b64 s[6:7], s[2:3]
	s_cbranch_execnz .LBB142_70
.LBB142_32:
	s_or_b64 exec, exec, s[6:7]
	s_and_saveexec_b64 s[6:7], s[4:5]
	s_cbranch_execz .LBB142_34
.LBB142_33:
	v_cvt_f16_f32_e32 v18, v18
	v_add_u32_e32 v30, v29, v28
	v_mov_b32_e32 v31, 0
	s_waitcnt lgkmcnt(0)
	v_lshl_add_u64 v[30:31], v[30:31], 1, s[12:13]
	global_store_short v[30:31], v18, off
.LBB142_34:
	s_or_b64 exec, exec, s[6:7]
	v_add3_u32 v18, v26, s15, 24
	v_cmp_gt_u32_e64 s[6:7], s10, v18
	s_and_b64 exec, exec, s[6:7]
	s_cbranch_execz .LBB142_64
; %bb.35:
	v_mul_lo_u32 v18, v18, s14
	s_and_saveexec_b64 s[6:7], vcc
	s_cbranch_execnz .LBB142_71
; %bb.36:
	s_or_b64 exec, exec, s[6:7]
	s_and_saveexec_b64 s[6:7], s[0:1]
	s_cbranch_execnz .LBB142_72
.LBB142_37:
	s_or_b64 exec, exec, s[6:7]
	s_and_saveexec_b64 s[6:7], s[2:3]
	s_cbranch_execnz .LBB142_73
.LBB142_38:
	s_or_b64 exec, exec, s[6:7]
	s_and_saveexec_b64 s[6:7], s[4:5]
	s_cbranch_execz .LBB142_40
.LBB142_39:
	v_cvt_f16_f32_e32 v20, v19
	v_add_u32_e32 v18, v18, v28
	v_mov_b32_e32 v19, 0
	s_waitcnt lgkmcnt(0)
	v_lshl_add_u64 v[18:19], v[18:19], 1, s[12:13]
	global_store_short v[18:19], v20, off
.LBB142_40:
	s_or_b64 exec, exec, s[6:7]
	v_add3_u32 v18, v26, s15, 32
	v_cmp_gt_u32_e64 s[6:7], s10, v18
	s_and_b64 exec, exec, s[6:7]
	s_cbranch_execz .LBB142_64
; %bb.41:
	v_mul_lo_u32 v18, v18, s14
	s_and_saveexec_b64 s[6:7], vcc
	s_cbranch_execnz .LBB142_74
; %bb.42:
	s_or_b64 exec, exec, s[6:7]
	s_and_saveexec_b64 s[6:7], s[0:1]
	s_cbranch_execnz .LBB142_75
.LBB142_43:
	s_or_b64 exec, exec, s[6:7]
	s_and_saveexec_b64 s[6:7], s[2:3]
	s_cbranch_execnz .LBB142_76
.LBB142_44:
	s_or_b64 exec, exec, s[6:7]
	s_and_saveexec_b64 s[6:7], s[4:5]
	s_cbranch_execz .LBB142_46
.LBB142_45:
	v_cvt_f16_f32_e32 v10, v10
	v_add_u32_e32 v18, v18, v28
	v_mov_b32_e32 v19, 0
	s_waitcnt lgkmcnt(0)
	v_lshl_add_u64 v[18:19], v[18:19], 1, s[12:13]
	global_store_short v[18:19], v10, off
.LBB142_46:
	s_or_b64 exec, exec, s[6:7]
	v_add3_u32 v10, v26, s15, 40
	v_cmp_gt_u32_e64 s[6:7], s10, v10
	s_and_b64 exec, exec, s[6:7]
	s_cbranch_execz .LBB142_64
; %bb.47:
	v_mul_lo_u32 v10, v10, s14
	s_and_saveexec_b64 s[6:7], vcc
	s_cbranch_execnz .LBB142_77
; %bb.48:
	s_or_b64 exec, exec, s[6:7]
	s_and_saveexec_b64 s[6:7], s[0:1]
	s_cbranch_execnz .LBB142_78
.LBB142_49:
	s_or_b64 exec, exec, s[6:7]
	s_and_saveexec_b64 s[6:7], s[2:3]
	s_cbranch_execnz .LBB142_79
.LBB142_50:
	s_or_b64 exec, exec, s[6:7]
	s_and_saveexec_b64 s[6:7], s[4:5]
	s_cbranch_execz .LBB142_52
.LBB142_51:
	v_cvt_f16_f32_e32 v12, v11
	v_add_u32_e32 v10, v10, v28
	v_mov_b32_e32 v11, 0
	s_waitcnt lgkmcnt(0)
	v_lshl_add_u64 v[10:11], v[10:11], 1, s[12:13]
	global_store_short v[10:11], v12, off
.LBB142_52:
	s_or_b64 exec, exec, s[6:7]
	v_add3_u32 v10, v26, s15, 48
	v_cmp_gt_u32_e64 s[6:7], s10, v10
	s_and_b64 exec, exec, s[6:7]
	s_cbranch_execz .LBB142_64
; %bb.53:
	v_mul_lo_u32 v10, v10, s14
	s_and_saveexec_b64 s[6:7], vcc
	s_cbranch_execnz .LBB142_80
; %bb.54:
	s_or_b64 exec, exec, s[6:7]
	s_and_saveexec_b64 s[6:7], s[0:1]
	s_cbranch_execnz .LBB142_81
.LBB142_55:
	s_or_b64 exec, exec, s[6:7]
	s_and_saveexec_b64 s[6:7], s[2:3]
	s_cbranch_execnz .LBB142_82
.LBB142_56:
	s_or_b64 exec, exec, s[6:7]
	s_and_saveexec_b64 s[6:7], s[4:5]
	s_cbranch_execz .LBB142_58
.LBB142_57:
	v_cvt_f16_f32_e32 v2, v2
	v_add_u32_e32 v10, v10, v28
	v_mov_b32_e32 v11, 0
	s_waitcnt lgkmcnt(0)
	v_lshl_add_u64 v[10:11], v[10:11], 1, s[12:13]
	global_store_short v[10:11], v2, off
.LBB142_58:
	s_or_b64 exec, exec, s[6:7]
	v_add3_u32 v2, v26, s15, 56
	v_cmp_gt_u32_e64 s[6:7], s10, v2
	s_and_b64 exec, exec, s[6:7]
	s_cbranch_execz .LBB142_64
; %bb.59:
	v_mul_lo_u32 v2, v2, s14
	s_and_saveexec_b64 s[6:7], vcc
	s_cbranch_execnz .LBB142_83
; %bb.60:
	s_or_b64 exec, exec, s[6:7]
	s_and_saveexec_b64 s[6:7], s[0:1]
	s_cbranch_execnz .LBB142_84
.LBB142_61:
	s_or_b64 exec, exec, s[6:7]
	s_and_saveexec_b64 s[0:1], s[2:3]
	s_cbranch_execnz .LBB142_85
.LBB142_62:
	s_or_b64 exec, exec, s[0:1]
	s_and_b64 exec, exec, s[4:5]
	s_cbranch_execz .LBB142_64
.LBB142_63:
	v_cvt_f16_f32_e32 v3, v3
	v_add_u32_e32 v0, v2, v28
	v_mov_b32_e32 v1, 0
	s_waitcnt lgkmcnt(0)
	v_lshl_add_u64 v[0:1], v[0:1], 1, s[12:13]
	global_store_short v[0:1], v3, off
.LBB142_64:
	s_endpgm
.LBB142_65:
	v_cvt_f16_f32_e32 v32, v91
	v_add_u32_e32 v30, v29, v0
	v_mov_b32_e32 v31, 0
	s_waitcnt lgkmcnt(0)
	v_lshl_add_u64 v[30:31], v[30:31], 1, s[12:13]
	global_store_short v[30:31], v32, off
	s_or_b64 exec, exec, s[6:7]
	s_and_saveexec_b64 s[6:7], s[0:1]
	s_cbranch_execz .LBB142_25
.LBB142_66:
	v_cvt_f16_f32_e32 v32, v83
	v_add_u32_e32 v30, v29, v1
	v_mov_b32_e32 v31, 0
	s_waitcnt lgkmcnt(0)
	v_lshl_add_u64 v[30:31], v[30:31], 1, s[12:13]
	global_store_short v[30:31], v32, off
	s_or_b64 exec, exec, s[6:7]
	s_and_saveexec_b64 s[6:7], s[2:3]
	s_cbranch_execz .LBB142_26
.LBB142_67:
	v_cvt_f16_f32_e32 v32, v67
	v_add_u32_e32 v30, v29, v27
	v_mov_b32_e32 v31, 0
	s_waitcnt lgkmcnt(0)
	v_lshl_add_u64 v[30:31], v[30:31], 1, s[12:13]
	global_store_short v[30:31], v32, off
	s_or_b64 exec, exec, s[6:7]
	s_and_saveexec_b64 s[6:7], s[4:5]
	s_cbranch_execnz .LBB142_27
	s_branch .LBB142_28
.LBB142_68:
	v_cvt_f16_f32_e32 v24, v24
	v_add_u32_e32 v30, v29, v0
	v_mov_b32_e32 v31, 0
	s_waitcnt lgkmcnt(0)
	v_lshl_add_u64 v[30:31], v[30:31], 1, s[12:13]
	global_store_short v[30:31], v24, off
	s_or_b64 exec, exec, s[6:7]
	s_and_saveexec_b64 s[6:7], s[0:1]
	s_cbranch_execz .LBB142_31
.LBB142_69:
	v_cvt_f16_f32_e32 v22, v22
	v_add_u32_e32 v30, v29, v1
	v_mov_b32_e32 v31, 0
	s_waitcnt lgkmcnt(0)
	v_lshl_add_u64 v[30:31], v[30:31], 1, s[12:13]
	global_store_short v[30:31], v22, off
	s_or_b64 exec, exec, s[6:7]
	s_and_saveexec_b64 s[6:7], s[2:3]
	s_cbranch_execz .LBB142_32
.LBB142_70:
	v_cvt_f16_f32_e32 v20, v20
	v_add_u32_e32 v30, v29, v27
	v_mov_b32_e32 v31, 0
	s_waitcnt lgkmcnt(0)
	v_lshl_add_u64 v[30:31], v[30:31], 1, s[12:13]
	global_store_short v[30:31], v20, off
	s_or_b64 exec, exec, s[6:7]
	s_and_saveexec_b64 s[6:7], s[4:5]
	s_cbranch_execnz .LBB142_33
	s_branch .LBB142_34
.LBB142_71:
	v_cvt_f16_f32_e32 v20, v25
	v_add_u32_e32 v24, v18, v0
	v_mov_b32_e32 v25, 0
	s_waitcnt lgkmcnt(0)
	v_lshl_add_u64 v[24:25], v[24:25], 1, s[12:13]
	global_store_short v[24:25], v20, off
	s_or_b64 exec, exec, s[6:7]
	s_and_saveexec_b64 s[6:7], s[0:1]
	s_cbranch_execz .LBB142_37
.LBB142_72:
	v_cvt_f16_f32_e32 v20, v23
	v_add_u32_e32 v22, v18, v1
	v_mov_b32_e32 v23, 0
	s_waitcnt lgkmcnt(0)
	v_lshl_add_u64 v[22:23], v[22:23], 1, s[12:13]
	global_store_short v[22:23], v20, off
	s_or_b64 exec, exec, s[6:7]
	s_and_saveexec_b64 s[6:7], s[2:3]
	s_cbranch_execz .LBB142_38
.LBB142_73:
	v_cvt_f16_f32_e32 v22, v21
	v_add_u32_e32 v20, v18, v27
	v_mov_b32_e32 v21, 0
	s_waitcnt lgkmcnt(0)
	v_lshl_add_u64 v[20:21], v[20:21], 1, s[12:13]
	global_store_short v[20:21], v22, off
	s_or_b64 exec, exec, s[6:7]
	s_and_saveexec_b64 s[6:7], s[4:5]
	s_cbranch_execnz .LBB142_39
	s_branch .LBB142_40
.LBB142_74:
	v_cvt_f16_f32_e32 v16, v16
	v_add_u32_e32 v20, v18, v0
	v_mov_b32_e32 v21, 0
	s_waitcnt lgkmcnt(0)
	v_lshl_add_u64 v[20:21], v[20:21], 1, s[12:13]
	global_store_short v[20:21], v16, off
	s_or_b64 exec, exec, s[6:7]
	s_and_saveexec_b64 s[6:7], s[0:1]
	s_cbranch_execz .LBB142_43
.LBB142_75:
	v_cvt_f16_f32_e32 v14, v14
	v_add_u32_e32 v20, v18, v1
	v_mov_b32_e32 v21, 0
	s_waitcnt lgkmcnt(0)
	v_lshl_add_u64 v[20:21], v[20:21], 1, s[12:13]
	global_store_short v[20:21], v14, off
	s_or_b64 exec, exec, s[6:7]
	s_and_saveexec_b64 s[6:7], s[2:3]
	s_cbranch_execz .LBB142_44
.LBB142_76:
	v_cvt_f16_f32_e32 v12, v12
	v_add_u32_e32 v20, v18, v27
	v_mov_b32_e32 v21, 0
	s_waitcnt lgkmcnt(0)
	v_lshl_add_u64 v[20:21], v[20:21], 1, s[12:13]
	global_store_short v[20:21], v12, off
	s_or_b64 exec, exec, s[6:7]
	s_and_saveexec_b64 s[6:7], s[4:5]
	s_cbranch_execnz .LBB142_45
	s_branch .LBB142_46
.LBB142_77:
	v_cvt_f16_f32_e32 v12, v17
	v_add_u32_e32 v16, v10, v0
	v_mov_b32_e32 v17, 0
	s_waitcnt lgkmcnt(0)
	v_lshl_add_u64 v[16:17], v[16:17], 1, s[12:13]
	global_store_short v[16:17], v12, off
	s_or_b64 exec, exec, s[6:7]
	s_and_saveexec_b64 s[6:7], s[0:1]
	s_cbranch_execz .LBB142_49
.LBB142_78:
	v_cvt_f16_f32_e32 v12, v15
	v_add_u32_e32 v14, v10, v1
	v_mov_b32_e32 v15, 0
	s_waitcnt lgkmcnt(0)
	v_lshl_add_u64 v[14:15], v[14:15], 1, s[12:13]
	global_store_short v[14:15], v12, off
	s_or_b64 exec, exec, s[6:7]
	s_and_saveexec_b64 s[6:7], s[2:3]
	s_cbranch_execz .LBB142_50
.LBB142_79:
	v_cvt_f16_f32_e32 v14, v13
	v_add_u32_e32 v12, v10, v27
	v_mov_b32_e32 v13, 0
	s_waitcnt lgkmcnt(0)
	v_lshl_add_u64 v[12:13], v[12:13], 1, s[12:13]
	global_store_short v[12:13], v14, off
	s_or_b64 exec, exec, s[6:7]
	s_and_saveexec_b64 s[6:7], s[4:5]
	s_cbranch_execnz .LBB142_51
	s_branch .LBB142_52
.LBB142_80:
	v_cvt_f16_f32_e32 v8, v8
	v_add_u32_e32 v12, v10, v0
	v_mov_b32_e32 v13, 0
	s_waitcnt lgkmcnt(0)
	v_lshl_add_u64 v[12:13], v[12:13], 1, s[12:13]
	global_store_short v[12:13], v8, off
	s_or_b64 exec, exec, s[6:7]
	s_and_saveexec_b64 s[6:7], s[0:1]
	s_cbranch_execz .LBB142_55
.LBB142_81:
	v_cvt_f16_f32_e32 v6, v6
	v_add_u32_e32 v12, v10, v1
	v_mov_b32_e32 v13, 0
	s_waitcnt lgkmcnt(0)
	v_lshl_add_u64 v[12:13], v[12:13], 1, s[12:13]
	global_store_short v[12:13], v6, off
	s_or_b64 exec, exec, s[6:7]
	s_and_saveexec_b64 s[6:7], s[2:3]
	s_cbranch_execz .LBB142_56
.LBB142_82:
	v_cvt_f16_f32_e32 v4, v4
	v_add_u32_e32 v12, v10, v27
	v_mov_b32_e32 v13, 0
	s_waitcnt lgkmcnt(0)
	v_lshl_add_u64 v[12:13], v[12:13], 1, s[12:13]
	global_store_short v[12:13], v4, off
	s_or_b64 exec, exec, s[6:7]
	s_and_saveexec_b64 s[6:7], s[4:5]
	s_cbranch_execnz .LBB142_57
	s_branch .LBB142_58
.LBB142_83:
	v_cvt_f16_f32_e32 v4, v9
	v_add_u32_e32 v8, v2, v0
	v_mov_b32_e32 v9, 0
	s_waitcnt lgkmcnt(0)
	v_lshl_add_u64 v[8:9], v[8:9], 1, s[12:13]
	global_store_short v[8:9], v4, off
	s_or_b64 exec, exec, s[6:7]
	s_and_saveexec_b64 s[6:7], s[0:1]
	s_cbranch_execz .LBB142_61
.LBB142_84:
	v_cvt_f16_f32_e32 v4, v7
	v_add_u32_e32 v0, v2, v1
	v_mov_b32_e32 v1, 0
	s_waitcnt lgkmcnt(0)
	v_lshl_add_u64 v[0:1], v[0:1], 1, s[12:13]
	global_store_short v[0:1], v4, off
	s_or_b64 exec, exec, s[6:7]
	s_and_saveexec_b64 s[0:1], s[2:3]
	s_cbranch_execz .LBB142_62
.LBB142_85:
	v_cvt_f16_f32_e32 v4, v5
	v_add_u32_e32 v0, v2, v27
	v_mov_b32_e32 v1, 0
	s_waitcnt lgkmcnt(0)
	v_lshl_add_u64 v[0:1], v[0:1], 1, s[12:13]
	global_store_short v[0:1], v4, off
	s_or_b64 exec, exec, s[0:1]
	s_and_b64 exec, exec, s[4:5]
	s_cbranch_execnz .LBB142_63
	s_branch .LBB142_64
	.section	.rodata,"a",@progbits
	.p2align	6, 0x0
	.amdhsa_kernel _ZL12mul_mat_q5_0IN3c104HalfELb1EEvPKvS3_PT_iiiii
		.amdhsa_group_segment_fixed_size 46720
		.amdhsa_private_segment_fixed_size 0
		.amdhsa_kernarg_size 44
		.amdhsa_user_sgpr_count 2
		.amdhsa_user_sgpr_dispatch_ptr 0
		.amdhsa_user_sgpr_queue_ptr 0
		.amdhsa_user_sgpr_kernarg_segment_ptr 1
		.amdhsa_user_sgpr_dispatch_id 0
		.amdhsa_user_sgpr_kernarg_preload_length 0
		.amdhsa_user_sgpr_kernarg_preload_offset 0
		.amdhsa_user_sgpr_private_segment_size 0
		.amdhsa_uses_dynamic_stack 0
		.amdhsa_enable_private_segment 0
		.amdhsa_system_sgpr_workgroup_id_x 1
		.amdhsa_system_sgpr_workgroup_id_y 1
		.amdhsa_system_sgpr_workgroup_id_z 0
		.amdhsa_system_sgpr_workgroup_info 0
		.amdhsa_system_vgpr_workitem_id 1
		.amdhsa_next_free_vgpr 175
		.amdhsa_next_free_sgpr 20
		.amdhsa_accum_offset 176
		.amdhsa_reserve_vcc 1
		.amdhsa_float_round_mode_32 0
		.amdhsa_float_round_mode_16_64 0
		.amdhsa_float_denorm_mode_32 3
		.amdhsa_float_denorm_mode_16_64 3
		.amdhsa_dx10_clamp 1
		.amdhsa_ieee_mode 1
		.amdhsa_fp16_overflow 0
		.amdhsa_tg_split 0
		.amdhsa_exception_fp_ieee_invalid_op 0
		.amdhsa_exception_fp_denorm_src 0
		.amdhsa_exception_fp_ieee_div_zero 0
		.amdhsa_exception_fp_ieee_overflow 0
		.amdhsa_exception_fp_ieee_underflow 0
		.amdhsa_exception_fp_ieee_inexact 0
		.amdhsa_exception_int_div_zero 0
	.end_amdhsa_kernel
	.section	.text._ZL12mul_mat_q5_0IN3c104HalfELb1EEvPKvS3_PT_iiiii,"axG",@progbits,_ZL12mul_mat_q5_0IN3c104HalfELb1EEvPKvS3_PT_iiiii,comdat
.Lfunc_end142:
	.size	_ZL12mul_mat_q5_0IN3c104HalfELb1EEvPKvS3_PT_iiiii, .Lfunc_end142-_ZL12mul_mat_q5_0IN3c104HalfELb1EEvPKvS3_PT_iiiii
                                        ; -- End function
	.section	.AMDGPU.csdata,"",@progbits
; Kernel info:
; codeLenInByte = 14448
; NumSgprs: 26
; NumVgprs: 175
; NumAgprs: 0
; TotalNumVgprs: 175
; ScratchSize: 0
; MemoryBound: 0
; FloatMode: 240
; IeeeMode: 1
; LDSByteSize: 46720 bytes/workgroup (compile time only)
; SGPRBlocks: 3
; VGPRBlocks: 21
; NumSGPRsForWavesPerEU: 26
; NumVGPRsForWavesPerEU: 175
; AccumOffset: 176
; Occupancy: 1
; WaveLimiterHint : 0
; COMPUTE_PGM_RSRC2:SCRATCH_EN: 0
; COMPUTE_PGM_RSRC2:USER_SGPR: 2
; COMPUTE_PGM_RSRC2:TRAP_HANDLER: 0
; COMPUTE_PGM_RSRC2:TGID_X_EN: 1
; COMPUTE_PGM_RSRC2:TGID_Y_EN: 1
; COMPUTE_PGM_RSRC2:TGID_Z_EN: 0
; COMPUTE_PGM_RSRC2:TIDIG_COMP_CNT: 1
; COMPUTE_PGM_RSRC3_GFX90A:ACCUM_OFFSET: 43
; COMPUTE_PGM_RSRC3_GFX90A:TG_SPLIT: 0
	.section	.text._ZL12mul_mat_q5_1IN3c104HalfELb0EEvPKvS3_PT_iiiii,"axG",@progbits,_ZL12mul_mat_q5_1IN3c104HalfELb0EEvPKvS3_PT_iiiii,comdat
	.globl	_ZL12mul_mat_q5_1IN3c104HalfELb0EEvPKvS3_PT_iiiii ; -- Begin function _ZL12mul_mat_q5_1IN3c104HalfELb0EEvPKvS3_PT_iiiii
	.p2align	8
	.type	_ZL12mul_mat_q5_1IN3c104HalfELb0EEvPKvS3_PT_iiiii,@function
_ZL12mul_mat_q5_1IN3c104HalfELb0EEvPKvS3_PT_iiiii: ; @_ZL12mul_mat_q5_1IN3c104HalfELb0EEvPKvS3_PT_iiiii
; %bb.0:
	s_load_dword s7, s[0:1], 0x18
	s_load_dwordx4 s[8:11], s[0:1], 0x20
	s_waitcnt lgkmcnt(0)
	s_lshl_b32 s11, s3, 6
	v_bfe_u32 v84, v0, 10, 10
	s_cmp_gt_i32 s7, 31
	s_cbranch_scc1 .LBB143_2
; %bb.1:
	v_bfe_u32 v2, v0, 10, 10
	v_and_b32_e32 v43, 0x3ff, v0
	v_add_u32_e32 v88, s11, v2
	s_mov_b64 s[4:5], 0
	s_mov_b32 s3, 0
	s_branch .LBB143_3
.LBB143_2:
	s_mov_b64 s[4:5], -1
                                        ; implicit-def: $sgpr3
                                        ; implicit-def: $vgpr2
                                        ; implicit-def: $vgpr43
                                        ; implicit-def: $vgpr88
.LBB143_3:
	s_load_dwordx2 s[12:13], s[0:1], 0x10
	s_lshl_b32 s6, s2, 7
	s_andn2_b64 vcc, exec, s[4:5]
	v_mov_b32_e32 v1, s3
	v_mov_b32_e32 v11, s3
	;; [unrolled: 1-line block ×32, first 2 shown]
	s_cbranch_vccnz .LBB143_13
; %bb.4:
	s_ashr_i32 s4, s7, 31
	s_load_dwordx4 s[0:3], s[0:1], 0x0
	s_lshr_b32 s4, s4, 27
	s_ashr_i32 s5, s9, 31
	s_add_i32 s14, s7, s4
	s_lshr_b32 s5, s5, 27
	s_ashr_i32 s4, s14, 5
	s_add_i32 s5, s9, s5
	s_ashr_i32 s15, s5, 5
	s_mul_i32 s5, s4, s6
	s_mul_hi_i32 s7, s5, 24
	s_mul_i32 s5, s5, 24
	s_waitcnt lgkmcnt(0)
	s_add_u32 s5, s0, s5
	s_addc_u32 s7, s1, s7
	v_mul_lo_u32 v4, s4, v84
	s_lshl_b32 s0, s4, 3
	v_add_u32_e32 v6, s0, v4
	v_add_u32_e32 v8, s0, v6
	;; [unrolled: 1-line block ×10, first 2 shown]
	v_and_b32_e32 v43, 0x3ff, v0
	v_add_u32_e32 v26, s0, v24
	v_lshlrev_b32_e32 v1, 3, v43
	s_movk_i32 s16, 0x104
	v_add_u32_e32 v28, s0, v26
	v_lshrrev_b32_e32 v110, 3, v43
	v_lshrrev_b32_e32 v0, 2, v43
	v_mad_u32_u24 v92, v84, s16, v1
	v_add_u32_e32 v30, s0, v28
	v_lshl_add_u32 v1, v84, 2, v110
	v_lshlrev_b32_e32 v21, 2, v43
	v_add_u32_e32 v32, s0, v30
	v_and_b32_e32 v36, 7, v43
	v_mul_lo_u32 v38, s4, v1
	v_and_b32_e32 v5, 0x7fc, v1
	v_lshlrev_b32_e32 v9, 5, v1
	v_add_u32_e32 v11, 32, v1
	v_add_u32_e32 v15, 64, v1
	;; [unrolled: 1-line block ×3, first 2 shown]
	v_and_b32_e32 v46, 28, v21
	v_lshl_add_u32 v21, v84, 3, v0
	v_add_u32_e32 v34, s0, v32
	v_lshlrev_b32_e32 v7, 2, v36
	s_mov_b32 s0, 0xa200
	v_and_b32_e32 v13, 0xffc, v11
	v_and_b32_e32 v17, 0xffc, v15
	;; [unrolled: 1-line block ×5, first 2 shown]
	v_add3_u32 v5, v5, v7, s0
	v_add3_u32 v13, v13, v7, s0
	;; [unrolled: 1-line block ×4, first 2 shown]
	v_add_u32_e32 v88, s11, v84
	s_add_i32 s0, s8, -1
	v_or_b32_e32 v23, s11, v21
	v_lshlrev_b32_e32 v2, 2, v48
	v_cvt_f64_i32_e32 v[50:51], s0
	v_min_i32_e32 v23, s0, v23
	v_cvt_f64_u32_e32 v[52:53], v88
	v_mad_u64_u32 v[48:49], s[0:1], v23, s15, v[48:49]
	v_lshl_or_b32 v21, v21, 4, v2
	v_min_f64 v[52:53], v[52:53], v[50:51]
	v_add_u32_e32 v23, 8, v88
	v_add_u32_e32 v113, 0xb280, v21
	v_cvt_i32_f64_e32 v21, v[52:53]
	v_cvt_f64_u32_e32 v[52:53], v23
	v_min_f64 v[52:53], v[52:53], v[50:51]
	v_cvt_i32_f64_e32 v23, v[52:53]
	v_mul_lo_u32 v116, s15, v23
	v_add_u32_e32 v23, 16, v88
	v_cvt_f64_u32_e32 v[52:53], v23
	v_min_f64 v[52:53], v[52:53], v[50:51]
	v_cvt_i32_f64_e32 v23, v[52:53]
	v_mul_lo_u32 v118, s15, v23
	v_add_u32_e32 v23, 24, v88
	;; [unrolled: 5-line block ×6, first 2 shown]
	v_and_b32_e32 v19, 31, v43
	v_mul_lo_u32 v114, s15, v21
	v_lshlrev_b32_e32 v21, 7, v84
	v_cvt_f64_u32_e32 v[52:53], v23
	v_lshl_or_b32 v19, v19, 2, v21
	v_min_f64 v[50:51], v[52:53], v[50:51]
	v_add_u32_e32 v115, 0x8200, v19
	v_add_u32_e32 v117, 0x8600, v19
	;; [unrolled: 1-line block ×7, first 2 shown]
	v_cvt_i32_f64_e32 v23, v[50:51]
	v_add_u32_e32 v129, 0x9e00, v19
	v_add_u32_e32 v19, 32, v43
	s_andn2_b32 s14, s14, 31
	v_mul_lo_u32 v128, s15, v23
	v_add_u32_e32 v23, 64, v43
	v_add_u32_e32 v25, 0x60, v43
	v_lshlrev_b32_e32 v27, 5, v43
	v_lshrrev_b32_e32 v131, 3, v19
	v_and_b32_e32 v19, 0x1fc, v19
	v_mov_b32_e32 v3, 0
	v_add_u32_e32 v40, s14, v38
	v_and_b32_e32 v25, 0x1fc, v25
	v_and_b32_e32 v23, 0x1fc, v23
	v_add_u32_e32 v19, v27, v19
	v_and_b32_e32 v29, 0xfc, v43
	v_lshlrev_b32_e32 v11, 5, v11
	v_add_u32_e32 v42, s14, v40
	v_lshlrev_b32_e32 v15, 5, v15
	v_lshlrev_b32_e32 v1, 5, v1
	v_mov_b32_e32 v47, v3
	v_add_u32_e32 v25, v27, v25
	v_add_u32_e32 v23, v27, v23
	;; [unrolled: 1-line block ×5, first 2 shown]
	v_mov_b32_e32 v21, 0xb280
	v_add_u32_e32 v140, 0xa610, v19
	v_mov_b32_e32 v19, 0x80
	s_mov_b32 s9, 0
	v_add_u32_e32 v93, 0x820, v92
	v_add_u32_e32 v94, 0x1040, v92
	;; [unrolled: 1-line block ×16, first 2 shown]
	v_lshl_add_u64 v[46:47], s[2:3], 0, v[46:47]
	v_mul_u32_u24_e32 v130, 0x104, v43
	v_add_u32_e32 v132, 0xae00, v25
	v_add_u32_e32 v133, 0xaa00, v23
	;; [unrolled: 1-line block ×3, first 2 shown]
	v_lshl_add_u32 v137, v84, 4, v21
	v_add_u32_e32 v138, 0xae10, v25
	v_add_u32_e32 v139, 0xaa10, v23
	;; [unrolled: 1-line block ×3, first 2 shown]
	v_mad_u32_u24 v142, v43, s16, v19
	v_add_u32_e32 v143, v5, v9
	v_add_u32_e32 v144, v13, v11
	;; [unrolled: 1-line block ×4, first 2 shown]
	v_mov_b32_e32 v112, v3
	v_mov_b32_e32 v91, v3
	;; [unrolled: 1-line block ×32, first 2 shown]
	s_branch .LBB143_6
.LBB143_5:                              ;   in Loop: Header=BB143_6 Depth=1
	s_add_i32 s9, s9, 8
	s_cmp_ge_i32 s9, s4
	s_cbranch_scc1 .LBB143_12
.LBB143_6:                              ; =>This Loop Header: Depth=1
                                        ;     Child Loop BB143_7 Depth 2
                                        ;     Child Loop BB143_10 Depth 2
	s_mul_i32 s0, s9, 24
	s_mul_hi_u32 s1, s9, 24
	s_add_u32 s0, s5, s0
	s_addc_u32 s1, s7, s1
	v_mad_u64_u32 v[50:51], s[14:15], v0, 24, s[0:1]
	v_mad_u64_u32 v[52:53], s[14:15], v4, 24, v[50:51]
	;; [unrolled: 1-line block ×3, first 2 shown]
	v_lshl_add_u64 v[54:55], v[52:53], 0, v[2:3]
	v_mad_u64_u32 v[56:57], s[14:15], v6, 24, v[50:51]
	v_mad_u64_u32 v[58:59], s[14:15], v8, 24, v[50:51]
	global_load_dword v68, v[60:61], off offset:4
	global_load_dword v69, v[58:59], off offset:4
	;; [unrolled: 1-line block ×5, first 2 shown]
	v_lshl_add_u64 v[52:53], v[56:57], 0, v[2:3]
	global_load_dword v73, v[52:53], off offset:8
	v_lshl_add_u64 v[52:53], v[58:59], 0, v[2:3]
	global_load_dword v74, v[52:53], off offset:8
	;; [unrolled: 2-line block ×3, first 2 shown]
	v_mad_u64_u32 v[58:59], s[14:15], v18, 24, v[50:51]
	v_mad_u64_u32 v[52:53], s[14:15], v12, 24, v[50:51]
	;; [unrolled: 1-line block ×4, first 2 shown]
	v_lshl_add_u64 v[66:67], v[58:59], 0, v[2:3]
	v_lshl_add_u64 v[60:61], v[52:53], 0, v[2:3]
	;; [unrolled: 1-line block ×4, first 2 shown]
	global_load_dword v76, v[66:67], off offset:8
	global_load_dword v77, v[58:59], off offset:4
	;; [unrolled: 1-line block ×6, first 2 shown]
	s_nop 0
	global_load_dword v54, v[60:61], off offset:8
	s_nop 0
	global_load_dword v52, v[52:53], off offset:4
	v_add_u32_e32 v147, s9, v48
	v_mov_b32_e32 v148, v137
	v_mov_b32_e32 v149, v136
	;; [unrolled: 1-line block ×7, first 2 shown]
	s_waitcnt vmcnt(13)
	v_ashrrev_i32_e32 v57, v2, v70
	s_waitcnt vmcnt(12)
	v_ashrrev_i32_e32 v53, v2, v71
	s_waitcnt vmcnt(11)
	v_lshrrev_b32_e32 v55, 4, v72
	v_lshlrev_b32_e32 v60, 4, v53
	v_lshlrev_b32_e32 v61, 11, v53
	v_lshrrev_b32_e32 v62, 12, v53
	v_lshrrev_b32_e32 v63, 5, v53
	v_and_b32_e32 v56, 0xf0f0f0f, v72
	v_and_b32_e32 v55, 0xf0f0f0f, v55
	v_lshlrev_b32_e32 v64, 2, v53
	v_lshlrev_b32_e32 v65, 18, v53
	;; [unrolled: 1-line block ×4, first 2 shown]
	v_and_b32_e32 v62, 16, v62
	v_and_b32_e32 v60, 16, v60
	;; [unrolled: 1-line block ×4, first 2 shown]
	s_waitcnt vmcnt(10)
	v_lshrrev_b32_e32 v58, 4, v73
	v_lshlrev_b32_e32 v67, 4, v57
	v_lshlrev_b32_e32 v70, 11, v57
	v_lshrrev_b32_e32 v71, 12, v57
	v_lshrrev_b32_e32 v72, 5, v57
	v_and_b32_e32 v65, 0x100000, v65
	v_and_b32_e32 v64, 0x100000, v64
	;; [unrolled: 1-line block ×4, first 2 shown]
	v_or3_b32 v56, v60, v56, v61
	v_or3_b32 v55, v62, v55, v63
	v_and_b32_e32 v59, 0xf0f0f0f, v73
	v_and_b32_e32 v58, 0xf0f0f0f, v58
	v_lshlrev_b32_e32 v73, 2, v57
	v_lshlrev_b32_e32 v82, 18, v57
	;; [unrolled: 1-line block ×4, first 2 shown]
	v_and_b32_e32 v71, 16, v71
	v_and_b32_e32 v67, 16, v67
	;; [unrolled: 1-line block ×4, first 2 shown]
	v_or3_b32 v55, v55, v64, v66
	v_or3_b32 v53, v56, v65, v53
	v_and_b32_e32 v82, 0x100000, v82
	v_and_b32_e32 v73, 0x100000, v73
	;; [unrolled: 1-line block ×3, first 2 shown]
	v_or3_b32 v59, v67, v59, v70
	v_or3_b32 v58, v71, v58, v72
	ds_write2_b32 v92, v53, v55 offset1:1
	v_and_b32_e32 v53, 0x10000000, v83
	v_or3_b32 v53, v58, v73, v53
	v_or3_b32 v55, v59, v82, v57
	ds_write2_b32 v93, v55, v53 offset1:1
	v_ashrrev_i32_e32 v53, v2, v69
	v_lshlrev_b32_e32 v55, 4, v53
	v_lshlrev_b32_e32 v56, 11, v53
	s_waitcnt vmcnt(9)
	v_lshrrev_b32_e32 v57, 4, v74
	v_lshrrev_b32_e32 v58, 12, v53
	;; [unrolled: 1-line block ×3, first 2 shown]
	v_and_b32_e32 v57, 0xf0f0f0f, v57
	v_and_b32_e32 v60, 0xf0f0f0f, v74
	v_and_b32_e32 v58, 16, v58
	v_and_b32_e32 v55, 16, v55
	v_and_b32_e32 v59, 0x1000, v59
	v_and_b32_e32 v56, 0x1000, v56
	v_or3_b32 v55, v55, v60, v56
	v_or3_b32 v56, v58, v57, v59
	v_lshlrev_b32_e32 v57, 2, v53
	v_lshlrev_b32_e32 v58, 18, v53
	;; [unrolled: 1-line block ×4, first 2 shown]
	v_and_b32_e32 v58, 0x100000, v58
	v_and_b32_e32 v57, 0x100000, v57
	;; [unrolled: 1-line block ×4, first 2 shown]
	v_or3_b32 v56, v56, v57, v59
	v_or3_b32 v53, v55, v58, v53
	ds_write2_b32 v94, v53, v56 offset1:1
	v_ashrrev_i32_e32 v53, v2, v68
	v_lshlrev_b32_e32 v55, 4, v53
	v_lshlrev_b32_e32 v56, 11, v53
	s_waitcnt vmcnt(8)
	v_lshrrev_b32_e32 v57, 4, v75
	v_lshrrev_b32_e32 v58, 12, v53
	;; [unrolled: 1-line block ×3, first 2 shown]
	v_and_b32_e32 v57, 0xf0f0f0f, v57
	v_and_b32_e32 v60, 0xf0f0f0f, v75
	;; [unrolled: 1-line block ×6, first 2 shown]
	v_or3_b32 v55, v55, v60, v56
	v_or3_b32 v56, v58, v57, v59
	v_lshlrev_b32_e32 v57, 2, v53
	v_lshlrev_b32_e32 v58, 18, v53
	;; [unrolled: 1-line block ×4, first 2 shown]
	v_and_b32_e32 v58, 0x100000, v58
	v_and_b32_e32 v57, 0x100000, v57
	;; [unrolled: 1-line block ×4, first 2 shown]
	v_or3_b32 v56, v56, v57, v59
	v_or3_b32 v53, v55, v58, v53
	s_waitcnt vmcnt(0)
	v_ashrrev_i32_e32 v52, v2, v52
	ds_write2_b32 v95, v53, v56 offset1:1
	v_lshlrev_b32_e32 v53, 4, v52
	v_lshlrev_b32_e32 v55, 11, v52
	v_lshrrev_b32_e32 v56, 4, v54
	v_and_b32_e32 v54, 0xf0f0f0f, v54
	v_and_b32_e32 v53, 16, v53
	;; [unrolled: 1-line block ×3, first 2 shown]
	v_lshrrev_b32_e32 v57, 12, v52
	v_lshrrev_b32_e32 v58, 5, v52
	v_or3_b32 v68, v53, v54, v55
	v_lshlrev_b32_e32 v53, 2, v52
	v_lshlrev_b32_e32 v54, 18, v52
	;; [unrolled: 1-line block ×4, first 2 shown]
	v_and_b32_e32 v56, 0xf0f0f0f, v56
	v_and_b32_e32 v57, 16, v57
	;; [unrolled: 1-line block ×5, first 2 shown]
	v_mad_u64_u32 v[52:53], s[14:15], v20, 24, v[50:51]
	v_mad_u64_u32 v[64:65], s[14:15], v26, 24, v[50:51]
	v_or3_b32 v69, v57, v56, v58
	v_and_b32_e32 v70, 0x100000, v54
	v_lshl_add_u64 v[54:55], v[52:53], 0, v[2:3]
	v_mad_u64_u32 v[56:57], s[14:15], v22, 24, v[50:51]
	v_mad_u64_u32 v[60:61], s[14:15], v24, 24, v[50:51]
	v_lshl_add_u64 v[66:67], v[64:65], 0, v[2:3]
	v_lshl_add_u64 v[58:59], v[56:57], 0, v[2:3]
	;; [unrolled: 1-line block ×3, first 2 shown]
	global_load_dword v66, v[66:67], off offset:8
	s_nop 0
	global_load_dword v67, v[64:65], off offset:4
	global_load_dword v74, v[62:63], off offset:8
	;; [unrolled: 1-line block ×5, first 2 shown]
	s_nop 0
	global_load_dword v54, v[54:55], off offset:8
	s_nop 0
	global_load_dword v52, v[52:53], off offset:4
	v_and_b32_e32 v53, 0x10000000, v72
	v_or3_b32 v53, v69, v71, v53
	v_or3_b32 v55, v68, v70, v73
	ds_write2_b32 v97, v55, v53 offset1:1
	v_ashrrev_i32_e32 v53, v2, v81
	v_lshlrev_b32_e32 v55, 4, v53
	v_lshlrev_b32_e32 v56, 11, v53
	v_lshrrev_b32_e32 v57, 4, v80
	v_lshrrev_b32_e32 v58, 12, v53
	v_lshrrev_b32_e32 v59, 5, v53
	v_and_b32_e32 v57, 0xf0f0f0f, v57
	v_and_b32_e32 v60, 0xf0f0f0f, v80
	v_and_b32_e32 v58, 16, v58
	v_and_b32_e32 v55, 16, v55
	v_and_b32_e32 v59, 0x1000, v59
	v_and_b32_e32 v56, 0x1000, v56
	v_or3_b32 v55, v55, v60, v56
	v_or3_b32 v56, v58, v57, v59
	v_lshlrev_b32_e32 v57, 2, v53
	v_lshlrev_b32_e32 v58, 18, v53
	v_lshlrev_b32_e32 v59, 9, v53
	v_lshlrev_b32_e32 v53, 25, v53
	v_and_b32_e32 v58, 0x100000, v58
	v_and_b32_e32 v57, 0x100000, v57
	v_and_b32_e32 v53, 0x10000000, v53
	v_and_b32_e32 v59, 0x10000000, v59
	v_or3_b32 v56, v56, v57, v59
	v_or3_b32 v53, v55, v58, v53
	ds_write2_b32 v98, v53, v56 offset1:1
	v_ashrrev_i32_e32 v53, v2, v79
	v_lshlrev_b32_e32 v55, 4, v53
	v_lshlrev_b32_e32 v56, 11, v53
	v_lshrrev_b32_e32 v57, 4, v78
	v_lshrrev_b32_e32 v58, 12, v53
	v_lshrrev_b32_e32 v59, 5, v53
	v_and_b32_e32 v57, 0xf0f0f0f, v57
	v_and_b32_e32 v60, 0xf0f0f0f, v78
	v_and_b32_e32 v58, 16, v58
	v_and_b32_e32 v55, 16, v55
	v_and_b32_e32 v59, 0x1000, v59
	v_and_b32_e32 v56, 0x1000, v56
	v_or3_b32 v55, v55, v60, v56
	v_or3_b32 v56, v58, v57, v59
	v_lshlrev_b32_e32 v57, 2, v53
	v_lshlrev_b32_e32 v58, 18, v53
	v_lshlrev_b32_e32 v59, 9, v53
	v_lshlrev_b32_e32 v53, 25, v53
	v_and_b32_e32 v58, 0x100000, v58
	v_and_b32_e32 v57, 0x100000, v57
	v_and_b32_e32 v53, 0x10000000, v53
	;; [unrolled: 25-line block ×3, first 2 shown]
	v_and_b32_e32 v59, 0x10000000, v59
	v_or3_b32 v56, v56, v57, v59
	v_or3_b32 v53, v55, v58, v53
	ds_write2_b32 v100, v53, v56 offset1:1
	s_waitcnt vmcnt(0)
	v_ashrrev_i32_e32 v52, v2, v52
	v_lshlrev_b32_e32 v53, 4, v52
	v_lshlrev_b32_e32 v55, 11, v52
	v_lshrrev_b32_e32 v56, 4, v54
	v_lshrrev_b32_e32 v57, 12, v52
	;; [unrolled: 1-line block ×3, first 2 shown]
	v_and_b32_e32 v54, 0xf0f0f0f, v54
	v_and_b32_e32 v53, 16, v53
	;; [unrolled: 1-line block ×6, first 2 shown]
	v_or3_b32 v68, v53, v54, v55
	v_lshlrev_b32_e32 v53, 2, v52
	v_lshlrev_b32_e32 v54, 18, v52
	;; [unrolled: 1-line block ×4, first 2 shown]
	v_or3_b32 v69, v57, v56, v58
	v_and_b32_e32 v71, 0x100000, v53
	v_and_b32_e32 v73, 0x10000000, v52
	v_mad_u64_u32 v[52:53], s[14:15], v28, 24, v[50:51]
	v_mad_u64_u32 v[56:57], s[14:15], v30, 24, v[50:51]
	;; [unrolled: 1-line block ×4, first 2 shown]
	v_and_b32_e32 v70, 0x100000, v54
	v_lshl_add_u64 v[54:55], v[52:53], 0, v[2:3]
	v_lshl_add_u64 v[64:65], v[50:51], 0, v[2:3]
	;; [unrolled: 1-line block ×4, first 2 shown]
	global_load_dword v76, v[64:65], off offset:8
	global_load_dword v77, v[50:51], off offset:4
	;; [unrolled: 1-line block ×4, first 2 shown]
	s_nop 0
	global_load_dword v50, v[58:59], off offset:8
	global_load_dword v51, v[56:57], off offset:4
	s_nop 0
	global_load_dword v54, v[54:55], off offset:8
	s_nop 0
	global_load_dword v52, v[52:53], off offset:4
	v_and_b32_e32 v53, 0x10000000, v72
	v_or3_b32 v53, v69, v71, v53
	v_or3_b32 v55, v68, v70, v73
	ds_write2_b32 v101, v55, v53 offset1:1
	v_ashrrev_i32_e32 v53, v2, v83
	v_lshlrev_b32_e32 v55, 4, v53
	v_lshlrev_b32_e32 v56, 11, v53
	v_lshrrev_b32_e32 v57, 4, v82
	v_lshrrev_b32_e32 v58, 12, v53
	v_lshrrev_b32_e32 v59, 5, v53
	v_and_b32_e32 v57, 0xf0f0f0f, v57
	v_and_b32_e32 v60, 0xf0f0f0f, v82
	v_and_b32_e32 v58, 16, v58
	v_and_b32_e32 v55, 16, v55
	v_and_b32_e32 v59, 0x1000, v59
	v_and_b32_e32 v56, 0x1000, v56
	v_or3_b32 v55, v55, v60, v56
	v_or3_b32 v56, v58, v57, v59
	v_lshlrev_b32_e32 v57, 2, v53
	v_lshlrev_b32_e32 v58, 18, v53
	v_lshlrev_b32_e32 v59, 9, v53
	v_lshlrev_b32_e32 v53, 25, v53
	v_and_b32_e32 v58, 0x100000, v58
	v_and_b32_e32 v57, 0x100000, v57
	v_and_b32_e32 v53, 0x10000000, v53
	v_and_b32_e32 v59, 0x10000000, v59
	v_or3_b32 v56, v56, v57, v59
	v_or3_b32 v53, v55, v58, v53
	ds_write2_b32 v102, v53, v56 offset1:1
	v_ashrrev_i32_e32 v53, v2, v75
	v_lshlrev_b32_e32 v55, 4, v53
	v_lshlrev_b32_e32 v56, 11, v53
	v_lshrrev_b32_e32 v57, 4, v74
	v_lshrrev_b32_e32 v58, 12, v53
	v_lshrrev_b32_e32 v59, 5, v53
	v_and_b32_e32 v57, 0xf0f0f0f, v57
	v_and_b32_e32 v60, 0xf0f0f0f, v74
	v_and_b32_e32 v58, 16, v58
	v_and_b32_e32 v55, 16, v55
	v_and_b32_e32 v59, 0x1000, v59
	v_and_b32_e32 v56, 0x1000, v56
	v_or3_b32 v55, v55, v60, v56
	v_or3_b32 v56, v58, v57, v59
	v_lshlrev_b32_e32 v57, 2, v53
	v_lshlrev_b32_e32 v58, 18, v53
	v_lshlrev_b32_e32 v59, 9, v53
	v_lshlrev_b32_e32 v53, 25, v53
	v_and_b32_e32 v58, 0x100000, v58
	v_and_b32_e32 v57, 0x100000, v57
	v_and_b32_e32 v53, 0x10000000, v53
	;; [unrolled: 25-line block ×3, first 2 shown]
	v_and_b32_e32 v59, 0x10000000, v59
	v_or3_b32 v56, v56, v57, v59
	v_or3_b32 v53, v55, v58, v53
	ds_write2_b32 v105, v53, v56 offset1:1
	s_waitcnt vmcnt(0)
	v_ashrrev_i32_e32 v52, v2, v52
	v_lshlrev_b32_e32 v53, 4, v52
	v_lshlrev_b32_e32 v55, 11, v52
	v_lshrrev_b32_e32 v56, 4, v54
	v_lshrrev_b32_e32 v57, 12, v52
	;; [unrolled: 1-line block ×3, first 2 shown]
	v_and_b32_e32 v56, 0xf0f0f0f, v56
	v_and_b32_e32 v54, 0xf0f0f0f, v54
	;; [unrolled: 1-line block ×6, first 2 shown]
	v_or3_b32 v53, v53, v54, v55
	v_or3_b32 v54, v57, v56, v58
	v_lshlrev_b32_e32 v55, 2, v52
	v_lshlrev_b32_e32 v56, 18, v52
	;; [unrolled: 1-line block ×4, first 2 shown]
	v_and_b32_e32 v56, 0x100000, v56
	v_and_b32_e32 v55, 0x100000, v55
	;; [unrolled: 1-line block ×4, first 2 shown]
	v_ashrrev_i32_e32 v66, v2, v51
	v_lshrrev_b32_e32 v51, 4, v50
	v_or3_b32 v54, v54, v55, v57
	v_or3_b32 v52, v53, v56, v52
	v_and_b32_e32 v71, 0xf0f0f0f, v51
	v_and_b32_e32 v72, 0xf0f0f0f, v50
	v_mad_u64_u32 v[50:51], s[0:1], v36, 24, s[0:1]
	ds_write2_b32 v106, v52, v54 offset1:1
	v_mad_u64_u32 v[52:53], s[0:1], v38, 24, v[50:51]
	v_mad_u64_u32 v[54:55], s[0:1], v40, 24, v[50:51]
	;; [unrolled: 1-line block ×4, first 2 shown]
	v_add_u32_e32 v64, s9, v110
	global_load_dword v73, v[52:53], off
	global_load_dword v74, v[54:55], off
	;; [unrolled: 1-line block ×4, first 2 shown]
	v_add_u32_e32 v50, v64, v114
	v_add_u32_e32 v52, v64, v116
	;; [unrolled: 1-line block ×5, first 2 shown]
	v_mad_i64_i32 v[50:51], s[0:1], v50, 36, v[46:47]
	v_mad_i64_i32 v[52:53], s[0:1], v52, 36, v[46:47]
	;; [unrolled: 1-line block ×5, first 2 shown]
	v_add_u32_e32 v60, v64, v124
	v_add_u32_e32 v62, v64, v126
	;; [unrolled: 1-line block ×3, first 2 shown]
	v_mad_i64_i32 v[60:61], s[0:1], v60, 36, v[46:47]
	v_mad_i64_i32 v[62:63], s[0:1], v62, 36, v[46:47]
	;; [unrolled: 1-line block ×3, first 2 shown]
	global_load_dword v81, v[50:51], off offset:4
	s_nop 0
	global_load_dword v52, v[52:53], off offset:4
	s_nop 0
	;; [unrolled: 2-line block ×3, first 2 shown]
	global_load_dword v54, v[56:57], off offset:4
	global_load_dword v55, v[58:59], off offset:4
	s_nop 0
	global_load_dword v56, v[60:61], off offset:4
	global_load_dword v57, v[62:63], off offset:4
	;; [unrolled: 1-line block ×3, first 2 shown]
	v_mad_u64_u32 v[50:51], s[0:1], v147, 36, s[2:3]
	global_load_dword v50, v[50:51], off
	v_lshlrev_b32_e32 v67, 4, v66
	v_lshlrev_b32_e32 v68, 11, v66
	v_lshrrev_b32_e32 v69, 12, v66
	v_lshrrev_b32_e32 v70, 5, v66
	v_and_b32_e32 v51, 16, v69
	v_and_b32_e32 v59, 16, v67
	;; [unrolled: 1-line block ×4, first 2 shown]
	v_or3_b32 v59, v59, v72, v61
	v_or3_b32 v51, v51, v71, v60
	v_lshlrev_b32_e32 v60, 2, v66
	v_lshlrev_b32_e32 v61, 18, v66
	;; [unrolled: 1-line block ×4, first 2 shown]
	v_and_b32_e32 v61, 0x100000, v61
	v_and_b32_e32 v60, 0x100000, v60
	;; [unrolled: 1-line block ×4, first 2 shown]
	v_or3_b32 v51, v51, v60, v62
	v_or3_b32 v59, v59, v61, v63
	ds_write2_b32 v107, v59, v51 offset1:1
	v_ashrrev_i32_e32 v51, v2, v79
	v_lshlrev_b32_e32 v59, 4, v51
	v_lshlrev_b32_e32 v60, 11, v51
	v_lshrrev_b32_e32 v61, 4, v78
	v_lshrrev_b32_e32 v62, 12, v51
	;; [unrolled: 1-line block ×3, first 2 shown]
	v_and_b32_e32 v61, 0xf0f0f0f, v61
	v_and_b32_e32 v64, 0xf0f0f0f, v78
	;; [unrolled: 1-line block ×6, first 2 shown]
	v_or3_b32 v59, v59, v64, v60
	v_or3_b32 v60, v62, v61, v63
	v_lshlrev_b32_e32 v61, 2, v51
	v_lshlrev_b32_e32 v62, 18, v51
	;; [unrolled: 1-line block ×4, first 2 shown]
	v_and_b32_e32 v62, 0x100000, v62
	v_and_b32_e32 v61, 0x100000, v61
	v_and_b32_e32 v51, 0x10000000, v51
	v_and_b32_e32 v63, 0x10000000, v63
	v_or3_b32 v60, v60, v61, v63
	v_or3_b32 v51, v59, v62, v51
	ds_write2_b32 v108, v51, v60 offset1:1
	v_ashrrev_i32_e32 v51, v2, v77
	v_lshlrev_b32_e32 v59, 4, v51
	v_lshlrev_b32_e32 v60, 11, v51
	v_lshrrev_b32_e32 v61, 4, v76
	v_lshrrev_b32_e32 v62, 12, v51
	;; [unrolled: 1-line block ×3, first 2 shown]
	v_and_b32_e32 v61, 0xf0f0f0f, v61
	v_and_b32_e32 v64, 0xf0f0f0f, v76
	;; [unrolled: 1-line block ×6, first 2 shown]
	v_or3_b32 v59, v59, v64, v60
	v_or3_b32 v60, v62, v61, v63
	v_lshlrev_b32_e32 v61, 2, v51
	v_lshlrev_b32_e32 v62, 18, v51
	;; [unrolled: 1-line block ×4, first 2 shown]
	v_and_b32_e32 v62, 0x100000, v62
	v_and_b32_e32 v61, 0x100000, v61
	;; [unrolled: 1-line block ×4, first 2 shown]
	v_or3_b32 v60, v60, v61, v63
	v_or3_b32 v51, v59, v62, v51
	s_mov_b32 s0, -4
	ds_write2_b32 v109, v51, v60 offset1:1
	s_waitcnt vmcnt(12)
	ds_write_b32 v143, v73
	s_waitcnt vmcnt(11)
	ds_write_b32 v144, v74
	;; [unrolled: 2-line block ×13, first 2 shown]
	s_waitcnt lgkmcnt(0)
	s_barrier
.LBB143_7:                              ;   Parent Loop BB143_6 Depth=1
                                        ; =>  This Inner Loop Header: Depth=2
	ds_read_b128 v[160:163], v149
	ds_read_b128 v[164:167], v149 offset:16
	ds_read2_b32 v[82:83], v148 offset1:32
	ds_read_b32 v155, v151
	ds_read2_b32 v[50:51], v150 offset1:1
	ds_read2_b32 v[54:55], v150 offset0:2 offset1:3
	ds_read2_b32 v[56:57], v150 offset0:4 offset1:5
	;; [unrolled: 1-line block ×3, first 2 shown]
	v_mov_b32_e32 v52, 0
	s_waitcnt lgkmcnt(3)
	v_dot4c_i32_i8_e32 v52, v50, v160
	v_dot4c_i32_i8_e32 v52, v51, v164
	s_waitcnt lgkmcnt(2)
	v_dot4c_i32_i8_e32 v52, v54, v161
	v_dot4c_i32_i8_e32 v52, v55, v165
	;; [unrolled: 3-line block ×4, first 2 shown]
	v_pk_mul_f16 v53, v82, v155
	v_add_u32_e32 v58, 0x2088, v150
	v_add_u32_e32 v63, 0x2090, v150
	v_cvt_f32_i32_e32 v52, v52
	v_mov_b32_e32 v62, 0
	v_add_u32_e32 v66, 0x4108, v150
	v_add_u32_e32 v70, 0x4110, v150
	v_fma_mix_f32 v52, v53, v52, v53 op_sel:[0,0,1] op_sel_hi:[1,0,1]
	v_mov_b32_e32 v72, 0
	v_add_f32_e32 v112, v112, v52
	v_add_u32_e32 v52, 0x2080, v150
	ds_read_b32 v156, v152
	ds_read2_b32 v[52:53], v52 offset1:1
	ds_read2_b32 v[58:59], v58 offset1:1
	;; [unrolled: 1-line block ×3, first 2 shown]
	v_add_u32_e32 v63, 0x2098, v150
	ds_read2_b32 v[68:69], v63 offset1:1
	s_waitcnt lgkmcnt(3)
	v_dot4c_i32_i8_e32 v62, v52, v160
	v_dot4c_i32_i8_e32 v62, v53, v164
	s_waitcnt lgkmcnt(2)
	v_dot4c_i32_i8_e32 v62, v58, v161
	v_dot4c_i32_i8_e32 v62, v59, v165
	;; [unrolled: 3-line block ×4, first 2 shown]
	v_pk_mul_f16 v63, v82, v156
	v_add_u32_e32 v73, 0x4118, v150
	v_add_u32_e32 v76, 0x6188, v150
	v_cvt_f32_i32_e32 v62, v62
	v_add_u32_e32 v78, 0x6190, v150
	v_mov_b32_e32 v159, 0
	v_add_u32_e32 v80, 0x6198, v150
	v_fma_mix_f32 v62, v63, v62, v63 op_sel:[0,0,1] op_sel_hi:[1,0,1]
	s_add_i32 s0, s0, 4
	v_add_f32_e32 v111, v111, v62
	v_add_u32_e32 v62, 0x4100, v150
	ds_read_b32 v157, v153
	ds_read2_b32 v[62:63], v62 offset1:1
	ds_read2_b32 v[66:67], v66 offset1:1
	;; [unrolled: 1-line block ×4, first 2 shown]
	s_waitcnt lgkmcnt(4)
	v_pk_mul_f16 v73, v82, v157
	s_waitcnt lgkmcnt(3)
	v_dot4c_i32_i8_e32 v72, v62, v160
	v_dot4c_i32_i8_e32 v72, v63, v164
	s_waitcnt lgkmcnt(2)
	v_dot4c_i32_i8_e32 v72, v66, v161
	v_dot4c_i32_i8_e32 v72, v67, v165
	;; [unrolled: 3-line block ×4, first 2 shown]
	v_add_u32_e32 v153, 4, v153
	v_add_u32_e32 v152, 4, v152
	;; [unrolled: 1-line block ×3, first 2 shown]
	v_cvt_f32_i32_e32 v72, v72
	s_cmp_lt_u32 s0, 12
	v_fma_mix_f32 v72, v73, v72, v73 op_sel:[0,0,1] op_sel_hi:[1,0,1]
	s_nop 0
	v_add_f32_e32 v104, v104, v72
	v_add_u32_e32 v72, 0x6180, v150
	ds_read_b32 v158, v154
	ds_read2_b32 v[72:73], v72 offset1:1
	ds_read2_b32 v[76:77], v76 offset1:1
	;; [unrolled: 1-line block ×4, first 2 shown]
	s_waitcnt lgkmcnt(4)
	v_pk_mul_f16 v82, v82, v158
	s_waitcnt lgkmcnt(3)
	v_dot4c_i32_i8_e32 v159, v72, v160
	v_dot4c_i32_i8_e32 v159, v73, v164
	s_waitcnt lgkmcnt(2)
	v_dot4c_i32_i8_e32 v159, v76, v161
	v_dot4c_i32_i8_e32 v159, v77, v165
	;; [unrolled: 3-line block ×4, first 2 shown]
	ds_read_b128 v[160:163], v149 offset:1024
	ds_read_b128 v[164:167], v149 offset:1040
	v_add_u32_e32 v154, 4, v154
	v_cvt_f32_i32_e32 v159, v159
	v_add_u32_e32 v150, 32, v150
	v_fma_mix_f32 v82, v82, v159, v82 op_sel:[0,0,1] op_sel_hi:[1,0,1]
	s_nop 0
	v_add_f32_e32 v96, v96, v82
	v_mov_b32_e32 v82, 0
	s_waitcnt lgkmcnt(1)
	v_dot4c_i32_i8_e32 v82, v50, v160
	s_waitcnt lgkmcnt(0)
	v_dot4c_i32_i8_e32 v82, v51, v164
	v_dot4c_i32_i8_e32 v82, v54, v161
	;; [unrolled: 1-line block ×7, first 2 shown]
	v_pk_mul_f16 v159, v155, v83
	s_nop 1
	v_cvt_f32_i32_e32 v82, v82
	v_fma_mix_f32 v82, v82, v159, v159 op_sel:[0,0,1] op_sel_hi:[0,1,1]
	v_add_f32_e32 v91, v91, v82
	v_mov_b32_e32 v82, 0
	v_dot4c_i32_i8_e32 v82, v52, v160
	v_dot4c_i32_i8_e32 v82, v53, v164
	;; [unrolled: 1-line block ×8, first 2 shown]
	v_pk_mul_f16 v159, v156, v83
	s_nop 1
	v_cvt_f32_i32_e32 v82, v82
	v_fma_mix_f32 v82, v82, v159, v159 op_sel:[0,0,1] op_sel_hi:[0,1,1]
	v_add_f32_e32 v90, v90, v82
	v_mov_b32_e32 v82, 0
	v_dot4c_i32_i8_e32 v82, v62, v160
	v_dot4c_i32_i8_e32 v82, v63, v164
	;; [unrolled: 1-line block ×8, first 2 shown]
	v_pk_mul_f16 v159, v157, v83
	v_pk_mul_f16 v83, v158, v83
	s_nop 0
	v_cvt_f32_i32_e32 v82, v82
	v_fma_mix_f32 v82, v82, v159, v159 op_sel:[0,0,1] op_sel_hi:[0,1,1]
	v_add_f32_e32 v89, v89, v82
	v_mov_b32_e32 v82, 0
	v_dot4c_i32_i8_e32 v82, v72, v160
	v_dot4c_i32_i8_e32 v82, v73, v164
	;; [unrolled: 1-line block ×8, first 2 shown]
	v_mov_b32_e32 v159, 0
	s_nop 1
	v_cvt_f32_i32_e32 v82, v82
	v_fma_mix_f32 v82, v82, v83, v83 op_sel:[0,0,1] op_sel_hi:[0,1,1]
	v_add_f32_e32 v87, v87, v82
	ds_read_b128 v[160:163], v149 offset:2048
	ds_read_b128 v[164:167], v149 offset:2064
	ds_read2_b32 v[82:83], v148 offset0:64 offset1:96
	s_waitcnt lgkmcnt(2)
	v_dot4c_i32_i8_e32 v159, v50, v160
	s_waitcnt lgkmcnt(1)
	v_dot4c_i32_i8_e32 v159, v51, v164
	v_dot4c_i32_i8_e32 v159, v54, v161
	v_dot4c_i32_i8_e32 v159, v55, v165
	v_dot4c_i32_i8_e32 v159, v56, v162
	v_dot4c_i32_i8_e32 v159, v57, v166
	v_dot4c_i32_i8_e32 v159, v60, v163
	v_dot4c_i32_i8_e32 v159, v61, v167
	s_waitcnt lgkmcnt(0)
	v_pk_mul_f16 v168, v155, v82
	s_nop 0
	v_cvt_f32_i32_e32 v159, v159
	v_fma_mix_f32 v159, v159, v168, v168 op_sel:[0,0,1] op_sel_hi:[0,1,1]
	v_add_f32_e32 v86, v86, v159
	v_mov_b32_e32 v159, 0
	v_dot4c_i32_i8_e32 v159, v52, v160
	v_dot4c_i32_i8_e32 v159, v53, v164
	;; [unrolled: 1-line block ×8, first 2 shown]
	v_pk_mul_f16 v168, v156, v82
	s_nop 1
	v_cvt_f32_i32_e32 v159, v159
	v_fma_mix_f32 v159, v159, v168, v168 op_sel:[0,0,1] op_sel_hi:[0,1,1]
	v_add_f32_e32 v85, v85, v159
	v_mov_b32_e32 v159, 0
	v_dot4c_i32_i8_e32 v159, v62, v160
	v_dot4c_i32_i8_e32 v159, v63, v164
	;; [unrolled: 1-line block ×8, first 2 shown]
	v_pk_mul_f16 v168, v157, v82
	v_pk_mul_f16 v82, v158, v82
	s_nop 0
	v_cvt_f32_i32_e32 v159, v159
	v_fma_mix_f32 v159, v159, v168, v168 op_sel:[0,0,1] op_sel_hi:[0,1,1]
	v_add_f32_e32 v49, v49, v159
	v_mov_b32_e32 v159, 0
	v_dot4c_i32_i8_e32 v159, v72, v160
	v_dot4c_i32_i8_e32 v159, v73, v164
	;; [unrolled: 1-line block ×8, first 2 shown]
	ds_read_b128 v[160:163], v149 offset:3072
	ds_read_b128 v[164:167], v149 offset:3088
	s_nop 0
	v_cvt_f32_i32_e32 v159, v159
	v_fma_mix_f32 v82, v159, v82, v82 op_sel:[0,0,1] op_sel_hi:[0,1,1]
	v_add_f32_e32 v45, v45, v82
	v_mov_b32_e32 v82, 0
	s_waitcnt lgkmcnt(1)
	v_dot4c_i32_i8_e32 v82, v50, v160
	s_waitcnt lgkmcnt(0)
	v_dot4c_i32_i8_e32 v82, v51, v164
	v_dot4c_i32_i8_e32 v82, v54, v161
	v_dot4c_i32_i8_e32 v82, v55, v165
	v_dot4c_i32_i8_e32 v82, v56, v162
	v_dot4c_i32_i8_e32 v82, v57, v166
	v_dot4c_i32_i8_e32 v82, v60, v163
	v_dot4c_i32_i8_e32 v82, v61, v167
	v_pk_mul_f16 v159, v155, v83
	s_nop 1
	v_cvt_f32_i32_e32 v82, v82
	v_fma_mix_f32 v82, v82, v159, v159 op_sel:[0,0,1] op_sel_hi:[0,1,1]
	v_add_f32_e32 v41, v41, v82
	v_mov_b32_e32 v82, 0
	v_dot4c_i32_i8_e32 v82, v52, v160
	v_dot4c_i32_i8_e32 v82, v53, v164
	;; [unrolled: 1-line block ×8, first 2 shown]
	v_pk_mul_f16 v159, v156, v83
	s_nop 1
	v_cvt_f32_i32_e32 v82, v82
	v_fma_mix_f32 v82, v82, v159, v159 op_sel:[0,0,1] op_sel_hi:[0,1,1]
	v_add_f32_e32 v39, v39, v82
	v_mov_b32_e32 v82, 0
	v_dot4c_i32_i8_e32 v82, v62, v160
	v_dot4c_i32_i8_e32 v82, v63, v164
	;; [unrolled: 1-line block ×8, first 2 shown]
	v_pk_mul_f16 v159, v157, v83
	v_pk_mul_f16 v83, v158, v83
	s_nop 0
	v_cvt_f32_i32_e32 v82, v82
	v_fma_mix_f32 v82, v82, v159, v159 op_sel:[0,0,1] op_sel_hi:[0,1,1]
	v_add_f32_e32 v37, v37, v82
	v_mov_b32_e32 v82, 0
	v_dot4c_i32_i8_e32 v82, v72, v160
	v_dot4c_i32_i8_e32 v82, v73, v164
	;; [unrolled: 1-line block ×8, first 2 shown]
	v_mov_b32_e32 v159, 0
	s_nop 1
	v_cvt_f32_i32_e32 v82, v82
	v_fma_mix_f32 v82, v82, v83, v83 op_sel:[0,0,1] op_sel_hi:[0,1,1]
	v_add_f32_e32 v35, v35, v82
	ds_read_b128 v[160:163], v149 offset:4096
	ds_read_b128 v[164:167], v149 offset:4112
	ds_read2_b32 v[82:83], v148 offset0:128 offset1:160
	s_waitcnt lgkmcnt(2)
	v_dot4c_i32_i8_e32 v159, v50, v160
	s_waitcnt lgkmcnt(1)
	v_dot4c_i32_i8_e32 v159, v51, v164
	v_dot4c_i32_i8_e32 v159, v54, v161
	;; [unrolled: 1-line block ×7, first 2 shown]
	s_waitcnt lgkmcnt(0)
	v_pk_mul_f16 v168, v155, v82
	s_nop 0
	v_cvt_f32_i32_e32 v159, v159
	v_fma_mix_f32 v159, v159, v168, v168 op_sel:[0,0,1] op_sel_hi:[0,1,1]
	v_add_f32_e32 v33, v33, v159
	v_mov_b32_e32 v159, 0
	v_dot4c_i32_i8_e32 v159, v52, v160
	v_dot4c_i32_i8_e32 v159, v53, v164
	;; [unrolled: 1-line block ×8, first 2 shown]
	v_pk_mul_f16 v168, v156, v82
	s_nop 1
	v_cvt_f32_i32_e32 v159, v159
	v_fma_mix_f32 v159, v159, v168, v168 op_sel:[0,0,1] op_sel_hi:[0,1,1]
	v_add_f32_e32 v31, v31, v159
	v_mov_b32_e32 v159, 0
	v_dot4c_i32_i8_e32 v159, v62, v160
	v_dot4c_i32_i8_e32 v159, v63, v164
	;; [unrolled: 1-line block ×8, first 2 shown]
	v_pk_mul_f16 v168, v157, v82
	v_pk_mul_f16 v82, v158, v82
	s_nop 0
	v_cvt_f32_i32_e32 v159, v159
	v_fma_mix_f32 v159, v159, v168, v168 op_sel:[0,0,1] op_sel_hi:[0,1,1]
	v_add_f32_e32 v29, v29, v159
	v_mov_b32_e32 v159, 0
	v_dot4c_i32_i8_e32 v159, v72, v160
	v_dot4c_i32_i8_e32 v159, v73, v164
	;; [unrolled: 1-line block ×8, first 2 shown]
	ds_read_b128 v[160:163], v149 offset:5120
	ds_read_b128 v[164:167], v149 offset:5136
	s_nop 0
	v_cvt_f32_i32_e32 v159, v159
	v_fma_mix_f32 v82, v159, v82, v82 op_sel:[0,0,1] op_sel_hi:[0,1,1]
	v_add_f32_e32 v27, v27, v82
	v_mov_b32_e32 v82, 0
	s_waitcnt lgkmcnt(1)
	v_dot4c_i32_i8_e32 v82, v50, v160
	s_waitcnt lgkmcnt(0)
	v_dot4c_i32_i8_e32 v82, v51, v164
	v_dot4c_i32_i8_e32 v82, v54, v161
	;; [unrolled: 1-line block ×7, first 2 shown]
	v_pk_mul_f16 v159, v155, v83
	s_nop 1
	v_cvt_f32_i32_e32 v82, v82
	v_fma_mix_f32 v82, v82, v159, v159 op_sel:[0,0,1] op_sel_hi:[0,1,1]
	v_add_f32_e32 v25, v25, v82
	v_mov_b32_e32 v82, 0
	v_dot4c_i32_i8_e32 v82, v52, v160
	v_dot4c_i32_i8_e32 v82, v53, v164
	;; [unrolled: 1-line block ×8, first 2 shown]
	v_pk_mul_f16 v159, v156, v83
	s_nop 1
	v_cvt_f32_i32_e32 v82, v82
	v_fma_mix_f32 v82, v82, v159, v159 op_sel:[0,0,1] op_sel_hi:[0,1,1]
	v_add_f32_e32 v23, v23, v82
	v_mov_b32_e32 v82, 0
	v_dot4c_i32_i8_e32 v82, v62, v160
	v_dot4c_i32_i8_e32 v82, v63, v164
	;; [unrolled: 1-line block ×8, first 2 shown]
	v_pk_mul_f16 v159, v157, v83
	v_pk_mul_f16 v83, v158, v83
	s_nop 0
	v_cvt_f32_i32_e32 v82, v82
	v_fma_mix_f32 v82, v82, v159, v159 op_sel:[0,0,1] op_sel_hi:[0,1,1]
	v_add_f32_e32 v21, v21, v82
	v_mov_b32_e32 v82, 0
	v_dot4c_i32_i8_e32 v82, v72, v160
	v_dot4c_i32_i8_e32 v82, v73, v164
	;; [unrolled: 1-line block ×8, first 2 shown]
	v_mov_b32_e32 v159, 0
	s_nop 1
	v_cvt_f32_i32_e32 v82, v82
	v_fma_mix_f32 v82, v82, v83, v83 op_sel:[0,0,1] op_sel_hi:[0,1,1]
	v_add_f32_e32 v19, v19, v82
	ds_read_b128 v[160:163], v149 offset:6144
	ds_read_b128 v[164:167], v149 offset:6160
	ds_read2_b32 v[82:83], v148 offset0:192 offset1:224
	v_add_u32_e32 v148, 4, v148
	s_waitcnt lgkmcnt(2)
	v_dot4c_i32_i8_e32 v159, v50, v160
	s_waitcnt lgkmcnt(1)
	v_dot4c_i32_i8_e32 v159, v51, v164
	v_dot4c_i32_i8_e32 v159, v54, v161
	;; [unrolled: 1-line block ×7, first 2 shown]
	s_waitcnt lgkmcnt(0)
	v_pk_mul_f16 v168, v155, v82
	s_nop 0
	v_cvt_f32_i32_e32 v159, v159
	v_fma_mix_f32 v159, v159, v168, v168 op_sel:[0,0,1] op_sel_hi:[0,1,1]
	v_add_f32_e32 v17, v17, v159
	v_mov_b32_e32 v159, 0
	v_dot4c_i32_i8_e32 v159, v52, v160
	v_dot4c_i32_i8_e32 v159, v53, v164
	;; [unrolled: 1-line block ×8, first 2 shown]
	v_pk_mul_f16 v168, v156, v82
	s_nop 1
	v_cvt_f32_i32_e32 v159, v159
	v_fma_mix_f32 v159, v159, v168, v168 op_sel:[0,0,1] op_sel_hi:[0,1,1]
	v_add_f32_e32 v15, v15, v159
	v_mov_b32_e32 v159, 0
	v_dot4c_i32_i8_e32 v159, v62, v160
	v_dot4c_i32_i8_e32 v159, v63, v164
	;; [unrolled: 1-line block ×8, first 2 shown]
	v_pk_mul_f16 v168, v157, v82
	v_pk_mul_f16 v82, v158, v82
	s_nop 0
	v_cvt_f32_i32_e32 v159, v159
	v_fma_mix_f32 v159, v159, v168, v168 op_sel:[0,0,1] op_sel_hi:[0,1,1]
	v_add_f32_e32 v13, v13, v159
	v_mov_b32_e32 v159, 0
	v_dot4c_i32_i8_e32 v159, v72, v160
	v_dot4c_i32_i8_e32 v159, v73, v164
	;; [unrolled: 1-line block ×8, first 2 shown]
	ds_read_b128 v[160:163], v149 offset:7168
	ds_read_b128 v[164:167], v149 offset:7184
	v_add_u32_e32 v149, 32, v149
	v_cvt_f32_i32_e32 v159, v159
	v_fma_mix_f32 v82, v159, v82, v82 op_sel:[0,0,1] op_sel_hi:[0,1,1]
	v_add_f32_e32 v11, v11, v82
	v_mov_b32_e32 v82, 0
	s_waitcnt lgkmcnt(1)
	v_dot4c_i32_i8_e32 v82, v50, v160
	s_waitcnt lgkmcnt(0)
	v_dot4c_i32_i8_e32 v82, v51, v164
	v_dot4c_i32_i8_e32 v82, v54, v161
	v_dot4c_i32_i8_e32 v82, v55, v165
	v_dot4c_i32_i8_e32 v82, v56, v162
	v_dot4c_i32_i8_e32 v82, v57, v166
	v_dot4c_i32_i8_e32 v82, v60, v163
	v_dot4c_i32_i8_e32 v82, v61, v167
	v_pk_mul_f16 v50, v155, v83
	s_nop 1
	v_cvt_f32_i32_e32 v51, v82
	v_fma_mix_f32 v50, v51, v50, v50 op_sel:[0,0,1] op_sel_hi:[0,1,1]
	v_add_f32_e32 v9, v9, v50
	v_mov_b32_e32 v50, 0
	v_dot4c_i32_i8_e32 v50, v52, v160
	v_dot4c_i32_i8_e32 v50, v53, v164
	v_dot4c_i32_i8_e32 v50, v58, v161
	v_dot4c_i32_i8_e32 v50, v59, v165
	v_dot4c_i32_i8_e32 v50, v64, v162
	v_dot4c_i32_i8_e32 v50, v65, v166
	v_dot4c_i32_i8_e32 v50, v68, v163
	v_dot4c_i32_i8_e32 v50, v69, v167
	v_pk_mul_f16 v51, v156, v83
	s_nop 1
	v_cvt_f32_i32_e32 v50, v50
	v_fma_mix_f32 v50, v50, v51, v51 op_sel:[0,0,1] op_sel_hi:[0,1,1]
	v_add_f32_e32 v7, v7, v50
	v_mov_b32_e32 v50, 0
	v_dot4c_i32_i8_e32 v50, v62, v160
	;; [unrolled: 14-line block ×3, first 2 shown]
	v_dot4c_i32_i8_e32 v50, v73, v164
	v_dot4c_i32_i8_e32 v50, v76, v161
	;; [unrolled: 1-line block ×7, first 2 shown]
	v_pk_mul_f16 v51, v158, v83
	s_nop 1
	v_cvt_f32_i32_e32 v50, v50
	v_fma_mix_f32 v50, v50, v51, v51 op_sel:[0,0,1] op_sel_hi:[0,1,1]
	v_add_f32_e32 v1, v1, v50
	s_cbranch_scc1 .LBB143_7
; %bb.8:                                ;   in Loop: Header=BB143_6 Depth=1
	s_or_b32 s0, s9, 4
	s_cmp_ge_i32 s0, s4
	s_barrier
	s_cbranch_scc1 .LBB143_5
; %bb.9:                                ;   in Loop: Header=BB143_6 Depth=1
	v_add_u32_e32 v64, s9, v131
	v_add_u32_e32 v50, v64, v114
	;; [unrolled: 1-line block ×6, first 2 shown]
	v_mad_i64_i32 v[50:51], s[0:1], v50, 36, v[46:47]
	v_mad_i64_i32 v[52:53], s[0:1], v52, 36, v[46:47]
	;; [unrolled: 1-line block ×5, first 2 shown]
	v_add_u32_e32 v60, v64, v124
	v_add_u32_e32 v62, v64, v126
	;; [unrolled: 1-line block ×3, first 2 shown]
	v_mad_i64_i32 v[60:61], s[0:1], v60, 36, v[46:47]
	v_mad_i64_i32 v[62:63], s[0:1], v62, 36, v[46:47]
	;; [unrolled: 1-line block ×3, first 2 shown]
	global_load_dword v66, v[50:51], off offset:4
	s_nop 0
	global_load_dword v52, v[52:53], off offset:4
	s_nop 0
	;; [unrolled: 2-line block ×3, first 2 shown]
	global_load_dword v54, v[56:57], off offset:4
	global_load_dword v55, v[58:59], off offset:4
	s_nop 0
	global_load_dword v56, v[60:61], off offset:4
                                        ; kill: killed $vgpr58_vgpr59
                                        ; kill: killed $vgpr60_vgpr61
	global_load_dword v57, v[62:63], off offset:4
	global_load_dword v58, v[64:65], off offset:4
	v_add_u32_e32 v50, 4, v147
	v_mad_u64_u32 v[50:51], s[0:1], v50, 36, s[2:3]
	global_load_dword v50, v[50:51], off
	s_mov_b32 s0, 12
	v_mov_b32_e32 v147, v137
	v_mov_b32_e32 v148, v136
	;; [unrolled: 1-line block ×7, first 2 shown]
	s_waitcnt vmcnt(8)
	ds_write_b32 v115, v66
	s_waitcnt vmcnt(7)
	ds_write_b32 v117, v52
	;; [unrolled: 2-line block ×9, first 2 shown]
	s_waitcnt lgkmcnt(0)
	s_barrier
.LBB143_10:                             ;   Parent Loop BB143_6 Depth=1
                                        ; =>  This Inner Loop Header: Depth=2
	ds_read_b128 v[158:161], v148
	ds_read_b128 v[162:165], v148 offset:16
	ds_read2_b32 v[82:83], v147 offset1:32
	ds_read_b32 v154, v150
	ds_read2_b32 v[50:51], v149 offset1:1
	ds_read2_b32 v[54:55], v149 offset0:2 offset1:3
	ds_read2_b32 v[56:57], v149 offset0:4 offset1:5
	ds_read2_b32 v[60:61], v149 offset0:6 offset1:7
	v_mov_b32_e32 v52, 0
	s_waitcnt lgkmcnt(3)
	v_dot4c_i32_i8_e32 v52, v50, v158
	v_dot4c_i32_i8_e32 v52, v51, v162
	s_waitcnt lgkmcnt(2)
	v_dot4c_i32_i8_e32 v52, v54, v159
	v_dot4c_i32_i8_e32 v52, v55, v163
	;; [unrolled: 3-line block ×4, first 2 shown]
	v_pk_mul_f16 v53, v82, v154
	v_add_u32_e32 v58, 0x2088, v149
	v_add_u32_e32 v63, 0x2090, v149
	v_cvt_f32_i32_e32 v52, v52
	v_mov_b32_e32 v62, 0
	v_add_u32_e32 v66, 0x4108, v149
	v_add_u32_e32 v70, 0x4110, v149
	v_fma_mix_f32 v52, v53, v52, v53 op_sel:[0,0,1] op_sel_hi:[1,0,1]
	v_mov_b32_e32 v72, 0
	v_add_f32_e32 v112, v112, v52
	v_add_u32_e32 v52, 0x2080, v149
	ds_read_b32 v155, v151
	ds_read2_b32 v[52:53], v52 offset1:1
	ds_read2_b32 v[58:59], v58 offset1:1
	;; [unrolled: 1-line block ×3, first 2 shown]
	v_add_u32_e32 v63, 0x2098, v149
	ds_read2_b32 v[68:69], v63 offset1:1
	s_waitcnt lgkmcnt(3)
	v_dot4c_i32_i8_e32 v62, v52, v158
	v_dot4c_i32_i8_e32 v62, v53, v162
	s_waitcnt lgkmcnt(2)
	v_dot4c_i32_i8_e32 v62, v58, v159
	v_dot4c_i32_i8_e32 v62, v59, v163
	;; [unrolled: 3-line block ×4, first 2 shown]
	v_pk_mul_f16 v63, v82, v155
	v_add_u32_e32 v73, 0x4118, v149
	v_add_u32_e32 v76, 0x6188, v149
	v_cvt_f32_i32_e32 v62, v62
	v_add_u32_e32 v78, 0x6190, v149
	v_mov_b32_e32 v166, 0
	v_add_u32_e32 v80, 0x6198, v149
	v_fma_mix_f32 v62, v63, v62, v63 op_sel:[0,0,1] op_sel_hi:[1,0,1]
	s_add_i32 s0, s0, 4
	v_add_f32_e32 v111, v111, v62
	v_add_u32_e32 v62, 0x4100, v149
	ds_read_b32 v156, v152
	ds_read2_b32 v[62:63], v62 offset1:1
	ds_read2_b32 v[66:67], v66 offset1:1
	;; [unrolled: 1-line block ×4, first 2 shown]
	s_waitcnt lgkmcnt(4)
	v_pk_mul_f16 v73, v82, v156
	s_waitcnt lgkmcnt(3)
	v_dot4c_i32_i8_e32 v72, v62, v158
	v_dot4c_i32_i8_e32 v72, v63, v162
	s_waitcnt lgkmcnt(2)
	v_dot4c_i32_i8_e32 v72, v66, v159
	v_dot4c_i32_i8_e32 v72, v67, v163
	;; [unrolled: 3-line block ×4, first 2 shown]
	v_add_u32_e32 v152, 4, v152
	v_add_u32_e32 v151, 4, v151
	;; [unrolled: 1-line block ×3, first 2 shown]
	v_cvt_f32_i32_e32 v72, v72
	s_cmp_lt_u32 s0, 28
	v_fma_mix_f32 v72, v73, v72, v73 op_sel:[0,0,1] op_sel_hi:[1,0,1]
	s_nop 0
	v_add_f32_e32 v104, v104, v72
	v_add_u32_e32 v72, 0x6180, v149
	ds_read_b32 v157, v153
	ds_read2_b32 v[72:73], v72 offset1:1
	ds_read2_b32 v[76:77], v76 offset1:1
	;; [unrolled: 1-line block ×4, first 2 shown]
	s_waitcnt lgkmcnt(4)
	v_pk_mul_f16 v82, v82, v157
	s_waitcnt lgkmcnt(3)
	v_dot4c_i32_i8_e32 v166, v72, v158
	v_dot4c_i32_i8_e32 v166, v73, v162
	s_waitcnt lgkmcnt(2)
	v_dot4c_i32_i8_e32 v166, v76, v159
	v_dot4c_i32_i8_e32 v166, v77, v163
	s_waitcnt lgkmcnt(1)
	v_dot4c_i32_i8_e32 v166, v78, v160
	v_dot4c_i32_i8_e32 v166, v79, v164
	s_waitcnt lgkmcnt(0)
	v_dot4c_i32_i8_e32 v166, v80, v161
	v_dot4c_i32_i8_e32 v166, v81, v165
	v_add_u32_e32 v153, 4, v153
	v_add_u32_e32 v149, 32, v149
	s_nop 0
	v_cvt_f32_i32_e32 v158, v166
	v_pk_mul_f16 v166, v154, v83
	v_fma_mix_f32 v82, v82, v158, v82 op_sel:[0,0,1] op_sel_hi:[1,0,1]
	ds_read_b128 v[158:161], v148 offset:1024
	ds_read_b128 v[162:165], v148 offset:1040
	v_add_f32_e32 v96, v96, v82
	v_mov_b32_e32 v82, 0
	s_waitcnt lgkmcnt(1)
	v_dot4c_i32_i8_e32 v82, v50, v158
	s_waitcnt lgkmcnt(0)
	v_dot4c_i32_i8_e32 v82, v51, v162
	v_dot4c_i32_i8_e32 v82, v54, v159
	;; [unrolled: 1-line block ×7, first 2 shown]
	s_nop 2
	v_cvt_f32_i32_e32 v82, v82
	v_fma_mix_f32 v82, v82, v166, v166 op_sel:[0,0,1] op_sel_hi:[0,1,1]
	v_add_f32_e32 v91, v91, v82
	v_mov_b32_e32 v82, 0
	v_dot4c_i32_i8_e32 v82, v52, v158
	v_dot4c_i32_i8_e32 v82, v53, v162
	v_dot4c_i32_i8_e32 v82, v58, v159
	v_dot4c_i32_i8_e32 v82, v59, v163
	v_dot4c_i32_i8_e32 v82, v64, v160
	v_dot4c_i32_i8_e32 v82, v65, v164
	v_dot4c_i32_i8_e32 v82, v68, v161
	v_dot4c_i32_i8_e32 v82, v69, v165
	v_pk_mul_f16 v166, v155, v83
	s_nop 1
	v_cvt_f32_i32_e32 v82, v82
	v_fma_mix_f32 v82, v82, v166, v166 op_sel:[0,0,1] op_sel_hi:[0,1,1]
	v_add_f32_e32 v90, v90, v82
	v_mov_b32_e32 v82, 0
	v_dot4c_i32_i8_e32 v82, v62, v158
	v_dot4c_i32_i8_e32 v82, v63, v162
	;; [unrolled: 1-line block ×8, first 2 shown]
	v_pk_mul_f16 v166, v156, v83
	v_pk_mul_f16 v83, v157, v83
	s_nop 0
	v_cvt_f32_i32_e32 v82, v82
	v_fma_mix_f32 v82, v82, v166, v166 op_sel:[0,0,1] op_sel_hi:[0,1,1]
	v_add_f32_e32 v89, v89, v82
	v_mov_b32_e32 v82, 0
	v_dot4c_i32_i8_e32 v82, v72, v158
	v_dot4c_i32_i8_e32 v82, v73, v162
	v_dot4c_i32_i8_e32 v82, v76, v159
	v_dot4c_i32_i8_e32 v82, v77, v163
	v_dot4c_i32_i8_e32 v82, v78, v160
	v_dot4c_i32_i8_e32 v82, v79, v164
	v_dot4c_i32_i8_e32 v82, v80, v161
	v_dot4c_i32_i8_e32 v82, v81, v165
	v_mov_b32_e32 v166, 0
	s_nop 1
	v_cvt_f32_i32_e32 v82, v82
	v_fma_mix_f32 v82, v82, v83, v83 op_sel:[0,0,1] op_sel_hi:[0,1,1]
	v_add_f32_e32 v87, v87, v82
	ds_read_b128 v[158:161], v148 offset:2048
	ds_read_b128 v[162:165], v148 offset:2064
	ds_read2_b32 v[82:83], v147 offset0:64 offset1:96
	s_waitcnt lgkmcnt(2)
	v_dot4c_i32_i8_e32 v166, v50, v158
	s_waitcnt lgkmcnt(1)
	v_dot4c_i32_i8_e32 v166, v51, v162
	v_dot4c_i32_i8_e32 v166, v54, v159
	;; [unrolled: 1-line block ×7, first 2 shown]
	s_waitcnt lgkmcnt(0)
	v_pk_mul_f16 v167, v154, v82
	s_nop 0
	v_cvt_f32_i32_e32 v166, v166
	v_fma_mix_f32 v166, v166, v167, v167 op_sel:[0,0,1] op_sel_hi:[0,1,1]
	v_add_f32_e32 v86, v86, v166
	v_mov_b32_e32 v166, 0
	v_dot4c_i32_i8_e32 v166, v52, v158
	v_dot4c_i32_i8_e32 v166, v53, v162
	;; [unrolled: 1-line block ×8, first 2 shown]
	v_pk_mul_f16 v167, v155, v82
	s_nop 1
	v_cvt_f32_i32_e32 v166, v166
	v_fma_mix_f32 v166, v166, v167, v167 op_sel:[0,0,1] op_sel_hi:[0,1,1]
	v_add_f32_e32 v85, v85, v166
	v_mov_b32_e32 v166, 0
	v_dot4c_i32_i8_e32 v166, v62, v158
	v_dot4c_i32_i8_e32 v166, v63, v162
	;; [unrolled: 1-line block ×8, first 2 shown]
	v_pk_mul_f16 v167, v156, v82
	v_pk_mul_f16 v82, v157, v82
	s_nop 0
	v_cvt_f32_i32_e32 v166, v166
	v_fma_mix_f32 v166, v166, v167, v167 op_sel:[0,0,1] op_sel_hi:[0,1,1]
	v_add_f32_e32 v49, v49, v166
	v_mov_b32_e32 v166, 0
	v_dot4c_i32_i8_e32 v166, v72, v158
	v_dot4c_i32_i8_e32 v166, v73, v162
	;; [unrolled: 1-line block ×8, first 2 shown]
	s_nop 2
	v_cvt_f32_i32_e32 v158, v166
	v_pk_mul_f16 v166, v154, v83
	v_fma_mix_f32 v82, v158, v82, v82 op_sel:[0,0,1] op_sel_hi:[0,1,1]
	ds_read_b128 v[158:161], v148 offset:3072
	ds_read_b128 v[162:165], v148 offset:3088
	v_add_f32_e32 v45, v45, v82
	v_mov_b32_e32 v82, 0
	s_waitcnt lgkmcnt(1)
	v_dot4c_i32_i8_e32 v82, v50, v158
	s_waitcnt lgkmcnt(0)
	v_dot4c_i32_i8_e32 v82, v51, v162
	v_dot4c_i32_i8_e32 v82, v54, v159
	;; [unrolled: 1-line block ×7, first 2 shown]
	s_nop 2
	v_cvt_f32_i32_e32 v82, v82
	v_fma_mix_f32 v82, v82, v166, v166 op_sel:[0,0,1] op_sel_hi:[0,1,1]
	v_add_f32_e32 v41, v41, v82
	v_mov_b32_e32 v82, 0
	v_dot4c_i32_i8_e32 v82, v52, v158
	v_dot4c_i32_i8_e32 v82, v53, v162
	;; [unrolled: 1-line block ×8, first 2 shown]
	v_pk_mul_f16 v166, v155, v83
	s_nop 1
	v_cvt_f32_i32_e32 v82, v82
	v_fma_mix_f32 v82, v82, v166, v166 op_sel:[0,0,1] op_sel_hi:[0,1,1]
	v_add_f32_e32 v39, v39, v82
	v_mov_b32_e32 v82, 0
	v_dot4c_i32_i8_e32 v82, v62, v158
	v_dot4c_i32_i8_e32 v82, v63, v162
	v_dot4c_i32_i8_e32 v82, v66, v159
	v_dot4c_i32_i8_e32 v82, v67, v163
	v_dot4c_i32_i8_e32 v82, v70, v160
	v_dot4c_i32_i8_e32 v82, v71, v164
	v_dot4c_i32_i8_e32 v82, v74, v161
	v_dot4c_i32_i8_e32 v82, v75, v165
	v_pk_mul_f16 v166, v156, v83
	v_pk_mul_f16 v83, v157, v83
	s_nop 0
	v_cvt_f32_i32_e32 v82, v82
	v_fma_mix_f32 v82, v82, v166, v166 op_sel:[0,0,1] op_sel_hi:[0,1,1]
	v_add_f32_e32 v37, v37, v82
	v_mov_b32_e32 v82, 0
	v_dot4c_i32_i8_e32 v82, v72, v158
	v_dot4c_i32_i8_e32 v82, v73, v162
	;; [unrolled: 1-line block ×8, first 2 shown]
	v_mov_b32_e32 v166, 0
	s_nop 1
	v_cvt_f32_i32_e32 v82, v82
	v_fma_mix_f32 v82, v82, v83, v83 op_sel:[0,0,1] op_sel_hi:[0,1,1]
	v_add_f32_e32 v35, v35, v82
	ds_read_b128 v[158:161], v148 offset:4096
	ds_read_b128 v[162:165], v148 offset:4112
	ds_read2_b32 v[82:83], v147 offset0:128 offset1:160
	s_waitcnt lgkmcnt(2)
	v_dot4c_i32_i8_e32 v166, v50, v158
	s_waitcnt lgkmcnt(1)
	v_dot4c_i32_i8_e32 v166, v51, v162
	v_dot4c_i32_i8_e32 v166, v54, v159
	;; [unrolled: 1-line block ×7, first 2 shown]
	s_waitcnt lgkmcnt(0)
	v_pk_mul_f16 v167, v154, v82
	s_nop 0
	v_cvt_f32_i32_e32 v166, v166
	v_fma_mix_f32 v166, v166, v167, v167 op_sel:[0,0,1] op_sel_hi:[0,1,1]
	v_add_f32_e32 v33, v33, v166
	v_mov_b32_e32 v166, 0
	v_dot4c_i32_i8_e32 v166, v52, v158
	v_dot4c_i32_i8_e32 v166, v53, v162
	;; [unrolled: 1-line block ×8, first 2 shown]
	v_pk_mul_f16 v167, v155, v82
	s_nop 1
	v_cvt_f32_i32_e32 v166, v166
	v_fma_mix_f32 v166, v166, v167, v167 op_sel:[0,0,1] op_sel_hi:[0,1,1]
	v_add_f32_e32 v31, v31, v166
	v_mov_b32_e32 v166, 0
	v_dot4c_i32_i8_e32 v166, v62, v158
	v_dot4c_i32_i8_e32 v166, v63, v162
	;; [unrolled: 1-line block ×8, first 2 shown]
	v_pk_mul_f16 v167, v156, v82
	v_pk_mul_f16 v82, v157, v82
	s_nop 0
	v_cvt_f32_i32_e32 v166, v166
	v_fma_mix_f32 v166, v166, v167, v167 op_sel:[0,0,1] op_sel_hi:[0,1,1]
	v_add_f32_e32 v29, v29, v166
	v_mov_b32_e32 v166, 0
	v_dot4c_i32_i8_e32 v166, v72, v158
	v_dot4c_i32_i8_e32 v166, v73, v162
	;; [unrolled: 1-line block ×8, first 2 shown]
	s_nop 2
	v_cvt_f32_i32_e32 v158, v166
	v_pk_mul_f16 v166, v154, v83
	v_fma_mix_f32 v82, v158, v82, v82 op_sel:[0,0,1] op_sel_hi:[0,1,1]
	ds_read_b128 v[158:161], v148 offset:5120
	ds_read_b128 v[162:165], v148 offset:5136
	v_add_f32_e32 v27, v27, v82
	v_mov_b32_e32 v82, 0
	s_waitcnt lgkmcnt(1)
	v_dot4c_i32_i8_e32 v82, v50, v158
	s_waitcnt lgkmcnt(0)
	v_dot4c_i32_i8_e32 v82, v51, v162
	v_dot4c_i32_i8_e32 v82, v54, v159
	;; [unrolled: 1-line block ×7, first 2 shown]
	s_nop 2
	v_cvt_f32_i32_e32 v82, v82
	v_fma_mix_f32 v82, v82, v166, v166 op_sel:[0,0,1] op_sel_hi:[0,1,1]
	v_add_f32_e32 v25, v25, v82
	v_mov_b32_e32 v82, 0
	v_dot4c_i32_i8_e32 v82, v52, v158
	v_dot4c_i32_i8_e32 v82, v53, v162
	;; [unrolled: 1-line block ×8, first 2 shown]
	v_pk_mul_f16 v166, v155, v83
	s_nop 1
	v_cvt_f32_i32_e32 v82, v82
	v_fma_mix_f32 v82, v82, v166, v166 op_sel:[0,0,1] op_sel_hi:[0,1,1]
	v_add_f32_e32 v23, v23, v82
	v_mov_b32_e32 v82, 0
	v_dot4c_i32_i8_e32 v82, v62, v158
	v_dot4c_i32_i8_e32 v82, v63, v162
	;; [unrolled: 1-line block ×8, first 2 shown]
	v_pk_mul_f16 v166, v156, v83
	v_pk_mul_f16 v83, v157, v83
	s_nop 0
	v_cvt_f32_i32_e32 v82, v82
	v_fma_mix_f32 v82, v82, v166, v166 op_sel:[0,0,1] op_sel_hi:[0,1,1]
	v_add_f32_e32 v21, v21, v82
	v_mov_b32_e32 v82, 0
	v_dot4c_i32_i8_e32 v82, v72, v158
	v_dot4c_i32_i8_e32 v82, v73, v162
	;; [unrolled: 1-line block ×8, first 2 shown]
	v_mov_b32_e32 v166, 0
	s_nop 1
	v_cvt_f32_i32_e32 v82, v82
	v_fma_mix_f32 v82, v82, v83, v83 op_sel:[0,0,1] op_sel_hi:[0,1,1]
	v_add_f32_e32 v19, v19, v82
	ds_read_b128 v[158:161], v148 offset:6144
	ds_read_b128 v[162:165], v148 offset:6160
	ds_read2_b32 v[82:83], v147 offset0:192 offset1:224
	v_add_u32_e32 v147, 4, v147
	s_waitcnt lgkmcnt(2)
	v_dot4c_i32_i8_e32 v166, v50, v158
	s_waitcnt lgkmcnt(1)
	v_dot4c_i32_i8_e32 v166, v51, v162
	v_dot4c_i32_i8_e32 v166, v54, v159
	;; [unrolled: 1-line block ×7, first 2 shown]
	s_waitcnt lgkmcnt(0)
	v_pk_mul_f16 v167, v154, v82
	s_nop 0
	v_cvt_f32_i32_e32 v166, v166
	v_fma_mix_f32 v166, v166, v167, v167 op_sel:[0,0,1] op_sel_hi:[0,1,1]
	v_add_f32_e32 v17, v17, v166
	v_mov_b32_e32 v166, 0
	v_dot4c_i32_i8_e32 v166, v52, v158
	v_dot4c_i32_i8_e32 v166, v53, v162
	;; [unrolled: 1-line block ×8, first 2 shown]
	v_pk_mul_f16 v167, v155, v82
	s_nop 1
	v_cvt_f32_i32_e32 v166, v166
	v_fma_mix_f32 v166, v166, v167, v167 op_sel:[0,0,1] op_sel_hi:[0,1,1]
	v_add_f32_e32 v15, v15, v166
	v_mov_b32_e32 v166, 0
	v_dot4c_i32_i8_e32 v166, v62, v158
	v_dot4c_i32_i8_e32 v166, v63, v162
	;; [unrolled: 1-line block ×8, first 2 shown]
	v_pk_mul_f16 v167, v156, v82
	v_pk_mul_f16 v82, v157, v82
	s_nop 0
	v_cvt_f32_i32_e32 v166, v166
	v_fma_mix_f32 v166, v166, v167, v167 op_sel:[0,0,1] op_sel_hi:[0,1,1]
	v_add_f32_e32 v13, v13, v166
	v_mov_b32_e32 v166, 0
	v_dot4c_i32_i8_e32 v166, v72, v158
	v_dot4c_i32_i8_e32 v166, v73, v162
	;; [unrolled: 1-line block ×8, first 2 shown]
	s_nop 2
	v_cvt_f32_i32_e32 v158, v166
	v_fma_mix_f32 v82, v158, v82, v82 op_sel:[0,0,1] op_sel_hi:[0,1,1]
	ds_read_b128 v[158:161], v148 offset:7168
	ds_read_b128 v[162:165], v148 offset:7184
	v_add_f32_e32 v11, v11, v82
	v_mov_b32_e32 v82, 0
	v_add_u32_e32 v148, 32, v148
	s_waitcnt lgkmcnt(1)
	v_dot4c_i32_i8_e32 v82, v50, v158
	s_waitcnt lgkmcnt(0)
	v_dot4c_i32_i8_e32 v82, v51, v162
	v_dot4c_i32_i8_e32 v82, v54, v159
	v_dot4c_i32_i8_e32 v82, v55, v163
	v_dot4c_i32_i8_e32 v82, v56, v160
	v_dot4c_i32_i8_e32 v82, v57, v164
	v_dot4c_i32_i8_e32 v82, v60, v161
	v_dot4c_i32_i8_e32 v82, v61, v165
	v_pk_mul_f16 v50, v154, v83
	s_nop 1
	v_cvt_f32_i32_e32 v51, v82
	v_fma_mix_f32 v50, v51, v50, v50 op_sel:[0,0,1] op_sel_hi:[0,1,1]
	v_add_f32_e32 v9, v9, v50
	v_mov_b32_e32 v50, 0
	v_dot4c_i32_i8_e32 v50, v52, v158
	v_dot4c_i32_i8_e32 v50, v53, v162
	v_dot4c_i32_i8_e32 v50, v58, v159
	v_dot4c_i32_i8_e32 v50, v59, v163
	v_dot4c_i32_i8_e32 v50, v64, v160
	v_dot4c_i32_i8_e32 v50, v65, v164
	v_dot4c_i32_i8_e32 v50, v68, v161
	v_dot4c_i32_i8_e32 v50, v69, v165
	v_pk_mul_f16 v51, v155, v83
	s_nop 1
	v_cvt_f32_i32_e32 v50, v50
	v_fma_mix_f32 v50, v50, v51, v51 op_sel:[0,0,1] op_sel_hi:[0,1,1]
	v_add_f32_e32 v7, v7, v50
	v_mov_b32_e32 v50, 0
	v_dot4c_i32_i8_e32 v50, v62, v158
	v_dot4c_i32_i8_e32 v50, v63, v162
	v_dot4c_i32_i8_e32 v50, v66, v159
	v_dot4c_i32_i8_e32 v50, v67, v163
	v_dot4c_i32_i8_e32 v50, v70, v160
	v_dot4c_i32_i8_e32 v50, v71, v164
	v_dot4c_i32_i8_e32 v50, v74, v161
	v_dot4c_i32_i8_e32 v50, v75, v165
	v_pk_mul_f16 v51, v156, v83
	s_nop 1
	v_cvt_f32_i32_e32 v50, v50
	v_fma_mix_f32 v50, v50, v51, v51 op_sel:[0,0,1] op_sel_hi:[0,1,1]
	v_add_f32_e32 v5, v5, v50
	v_mov_b32_e32 v50, 0
	v_dot4c_i32_i8_e32 v50, v72, v158
	v_dot4c_i32_i8_e32 v50, v73, v162
	v_dot4c_i32_i8_e32 v50, v76, v159
	;; [unrolled: 1-line block ×7, first 2 shown]
	v_pk_mul_f16 v51, v157, v83
	s_nop 1
	v_cvt_f32_i32_e32 v50, v50
	v_fma_mix_f32 v50, v50, v51, v51 op_sel:[0,0,1] op_sel_hi:[0,1,1]
	v_add_f32_e32 v1, v1, v50
	s_cbranch_scc1 .LBB143_10
; %bb.11:                               ;   in Loop: Header=BB143_6 Depth=1
	s_barrier
	s_branch .LBB143_5
.LBB143_12:
	v_mov_b32_e32 v2, v84
.LBB143_13:
	v_cmp_gt_u32_e32 vcc, s8, v88
	s_and_saveexec_b64 s[0:1], vcc
	s_cbranch_execz .LBB143_64
; %bb.14:
	v_add_u32_e32 v0, s6, v43
	v_mul_lo_u32 v8, v88, s10
	v_cmp_gt_u32_e32 vcc, s10, v0
	s_and_saveexec_b64 s[0:1], vcc
	s_cbranch_execz .LBB143_16
; %bb.15:
	v_cvt_f16_f32_e32 v3, v112
	v_add_u32_e32 v42, v0, v8
	v_mov_b32_e32 v43, 0
	s_waitcnt lgkmcnt(0)
	v_lshl_add_u64 v[42:43], v[42:43], 1, s[12:13]
	global_store_short v[42:43], v3, off
.LBB143_16:
	s_or_b64 exec, exec, s[0:1]
	v_add_u32_e32 v3, 32, v0
	v_cmp_gt_u32_e64 s[0:1], s10, v3
	s_and_saveexec_b64 s[2:3], s[0:1]
	s_cbranch_execz .LBB143_18
; %bb.17:
	v_cvt_f16_f32_e32 v4, v111
	v_add_u32_e32 v42, v3, v8
	v_mov_b32_e32 v43, 0
	s_waitcnt lgkmcnt(0)
	v_lshl_add_u64 v[42:43], v[42:43], 1, s[12:13]
	global_store_short v[42:43], v4, off
.LBB143_18:
	s_or_b64 exec, exec, s[2:3]
	v_add_u32_e32 v4, 64, v0
	v_cmp_gt_u32_e64 s[2:3], s10, v4
	s_and_saveexec_b64 s[4:5], s[2:3]
	s_cbranch_execz .LBB143_20
; %bb.19:
	v_cvt_f16_f32_e32 v6, v104
	v_add_u32_e32 v42, v4, v8
	v_mov_b32_e32 v43, 0
	s_waitcnt lgkmcnt(0)
	v_lshl_add_u64 v[42:43], v[42:43], 1, s[12:13]
	global_store_short v[42:43], v6, off
.LBB143_20:
	s_or_b64 exec, exec, s[4:5]
	v_add_u32_e32 v6, 0x60, v0
	v_cmp_gt_u32_e64 s[4:5], s10, v6
	s_and_saveexec_b64 s[6:7], s[4:5]
	s_cbranch_execz .LBB143_22
; %bb.21:
	v_cvt_f16_f32_e32 v10, v96
	v_add_u32_e32 v42, v6, v8
	v_mov_b32_e32 v43, 0
	s_waitcnt lgkmcnt(0)
	v_lshl_add_u64 v[42:43], v[42:43], 1, s[12:13]
	global_store_short v[42:43], v10, off
.LBB143_22:
	s_or_b64 exec, exec, s[6:7]
	v_add3_u32 v8, v2, s11, 8
	v_cmp_gt_u32_e64 s[6:7], s8, v8
	s_and_b64 exec, exec, s[6:7]
	s_cbranch_execz .LBB143_64
; %bb.23:
	v_mul_lo_u32 v8, v8, s10
	s_and_saveexec_b64 s[6:7], vcc
	s_cbranch_execnz .LBB143_65
; %bb.24:
	s_or_b64 exec, exec, s[6:7]
	s_and_saveexec_b64 s[6:7], s[0:1]
	s_cbranch_execnz .LBB143_66
.LBB143_25:
	s_or_b64 exec, exec, s[6:7]
	s_and_saveexec_b64 s[6:7], s[2:3]
	s_cbranch_execnz .LBB143_67
.LBB143_26:
	s_or_b64 exec, exec, s[6:7]
	s_and_saveexec_b64 s[6:7], s[4:5]
	s_cbranch_execz .LBB143_28
.LBB143_27:
	v_cvt_f16_f32_e32 v10, v87
	v_add_u32_e32 v42, v8, v6
	v_mov_b32_e32 v43, 0
	s_waitcnt lgkmcnt(0)
	v_lshl_add_u64 v[42:43], v[42:43], 1, s[12:13]
	global_store_short v[42:43], v10, off
.LBB143_28:
	s_or_b64 exec, exec, s[6:7]
	v_add3_u32 v8, v2, s11, 16
	v_cmp_gt_u32_e64 s[6:7], s8, v8
	s_and_b64 exec, exec, s[6:7]
	s_cbranch_execz .LBB143_64
; %bb.29:
	v_mul_lo_u32 v8, v8, s10
	s_and_saveexec_b64 s[6:7], vcc
	s_cbranch_execnz .LBB143_68
; %bb.30:
	s_or_b64 exec, exec, s[6:7]
	s_and_saveexec_b64 s[6:7], s[0:1]
	s_cbranch_execnz .LBB143_69
.LBB143_31:
	s_or_b64 exec, exec, s[6:7]
	s_and_saveexec_b64 s[6:7], s[2:3]
	s_cbranch_execnz .LBB143_70
.LBB143_32:
	s_or_b64 exec, exec, s[6:7]
	s_and_saveexec_b64 s[6:7], s[4:5]
	s_cbranch_execz .LBB143_34
.LBB143_33:
	v_cvt_f16_f32_e32 v10, v45
	v_add_u32_e32 v42, v8, v6
	v_mov_b32_e32 v43, 0
	s_waitcnt lgkmcnt(0)
	v_lshl_add_u64 v[42:43], v[42:43], 1, s[12:13]
	global_store_short v[42:43], v10, off
.LBB143_34:
	s_or_b64 exec, exec, s[6:7]
	v_add3_u32 v8, v2, s11, 24
	v_cmp_gt_u32_e64 s[6:7], s8, v8
	s_and_b64 exec, exec, s[6:7]
	s_cbranch_execz .LBB143_64
; %bb.35:
	v_mul_lo_u32 v8, v8, s10
	s_and_saveexec_b64 s[6:7], vcc
	s_cbranch_execnz .LBB143_71
; %bb.36:
	s_or_b64 exec, exec, s[6:7]
	s_and_saveexec_b64 s[6:7], s[0:1]
	s_cbranch_execnz .LBB143_72
.LBB143_37:
	s_or_b64 exec, exec, s[6:7]
	s_and_saveexec_b64 s[6:7], s[2:3]
	s_cbranch_execnz .LBB143_73
.LBB143_38:
	s_or_b64 exec, exec, s[6:7]
	s_and_saveexec_b64 s[6:7], s[4:5]
	s_cbranch_execz .LBB143_40
.LBB143_39:
	v_cvt_f16_f32_e32 v10, v35
	v_add_u32_e32 v34, v8, v6
	v_mov_b32_e32 v35, 0
	s_waitcnt lgkmcnt(0)
	v_lshl_add_u64 v[34:35], v[34:35], 1, s[12:13]
	global_store_short v[34:35], v10, off
.LBB143_40:
	s_or_b64 exec, exec, s[6:7]
	v_add3_u32 v8, v2, s11, 32
	v_cmp_gt_u32_e64 s[6:7], s8, v8
	s_and_b64 exec, exec, s[6:7]
	s_cbranch_execz .LBB143_64
; %bb.41:
	v_mul_lo_u32 v8, v8, s10
	s_and_saveexec_b64 s[6:7], vcc
	s_cbranch_execnz .LBB143_74
; %bb.42:
	s_or_b64 exec, exec, s[6:7]
	s_and_saveexec_b64 s[6:7], s[0:1]
	s_cbranch_execnz .LBB143_75
.LBB143_43:
	s_or_b64 exec, exec, s[6:7]
	s_and_saveexec_b64 s[6:7], s[2:3]
	s_cbranch_execnz .LBB143_76
.LBB143_44:
	s_or_b64 exec, exec, s[6:7]
	s_and_saveexec_b64 s[6:7], s[4:5]
	s_cbranch_execz .LBB143_46
.LBB143_45:
	v_cvt_f16_f32_e32 v10, v27
	v_add_u32_e32 v26, v8, v6
	v_mov_b32_e32 v27, 0
	s_waitcnt lgkmcnt(0)
	v_lshl_add_u64 v[26:27], v[26:27], 1, s[12:13]
	global_store_short v[26:27], v10, off
.LBB143_46:
	s_or_b64 exec, exec, s[6:7]
	v_add3_u32 v8, v2, s11, 40
	v_cmp_gt_u32_e64 s[6:7], s8, v8
	s_and_b64 exec, exec, s[6:7]
	s_cbranch_execz .LBB143_64
; %bb.47:
	v_mul_lo_u32 v8, v8, s10
	s_and_saveexec_b64 s[6:7], vcc
	s_cbranch_execnz .LBB143_77
; %bb.48:
	s_or_b64 exec, exec, s[6:7]
	s_and_saveexec_b64 s[6:7], s[0:1]
	s_cbranch_execnz .LBB143_78
.LBB143_49:
	s_or_b64 exec, exec, s[6:7]
	s_and_saveexec_b64 s[6:7], s[2:3]
	s_cbranch_execnz .LBB143_79
.LBB143_50:
	s_or_b64 exec, exec, s[6:7]
	s_and_saveexec_b64 s[6:7], s[4:5]
	s_cbranch_execz .LBB143_52
.LBB143_51:
	v_cvt_f16_f32_e32 v10, v19
	v_add_u32_e32 v18, v8, v6
	v_mov_b32_e32 v19, 0
	s_waitcnt lgkmcnt(0)
	v_lshl_add_u64 v[18:19], v[18:19], 1, s[12:13]
	global_store_short v[18:19], v10, off
.LBB143_52:
	s_or_b64 exec, exec, s[6:7]
	v_add3_u32 v8, v2, s11, 48
	v_cmp_gt_u32_e64 s[6:7], s8, v8
	s_and_b64 exec, exec, s[6:7]
	s_cbranch_execz .LBB143_64
; %bb.53:
	v_mul_lo_u32 v8, v8, s10
	s_and_saveexec_b64 s[6:7], vcc
	s_cbranch_execnz .LBB143_80
; %bb.54:
	s_or_b64 exec, exec, s[6:7]
	s_and_saveexec_b64 s[6:7], s[0:1]
	s_cbranch_execnz .LBB143_81
.LBB143_55:
	s_or_b64 exec, exec, s[6:7]
	s_and_saveexec_b64 s[6:7], s[2:3]
	s_cbranch_execnz .LBB143_82
.LBB143_56:
	s_or_b64 exec, exec, s[6:7]
	s_and_saveexec_b64 s[6:7], s[4:5]
	s_cbranch_execz .LBB143_58
.LBB143_57:
	v_cvt_f16_f32_e32 v12, v11
	v_add_u32_e32 v10, v8, v6
	v_mov_b32_e32 v11, 0
	s_waitcnt lgkmcnt(0)
	v_lshl_add_u64 v[10:11], v[10:11], 1, s[12:13]
	global_store_short v[10:11], v12, off
.LBB143_58:
	s_or_b64 exec, exec, s[6:7]
	v_add3_u32 v2, v2, s11, 56
	v_cmp_gt_u32_e64 s[6:7], s8, v2
	s_and_b64 exec, exec, s[6:7]
	s_cbranch_execz .LBB143_64
; %bb.59:
	v_mul_lo_u32 v2, v2, s10
	s_and_saveexec_b64 s[6:7], vcc
	s_cbranch_execnz .LBB143_83
; %bb.60:
	s_or_b64 exec, exec, s[6:7]
	s_and_saveexec_b64 s[6:7], s[0:1]
	s_cbranch_execnz .LBB143_84
.LBB143_61:
	s_or_b64 exec, exec, s[6:7]
	s_and_saveexec_b64 s[0:1], s[2:3]
	s_cbranch_execnz .LBB143_85
.LBB143_62:
	s_or_b64 exec, exec, s[0:1]
	s_and_b64 exec, exec, s[4:5]
	s_cbranch_execz .LBB143_64
.LBB143_63:
	v_cvt_f16_f32_e32 v3, v1
	v_add_u32_e32 v0, v2, v6
	v_mov_b32_e32 v1, 0
	s_waitcnt lgkmcnt(0)
	v_lshl_add_u64 v[0:1], v[0:1], 1, s[12:13]
	global_store_short v[0:1], v3, off
.LBB143_64:
	s_endpgm
.LBB143_65:
	v_cvt_f16_f32_e32 v10, v91
	v_add_u32_e32 v42, v8, v0
	v_mov_b32_e32 v43, 0
	s_waitcnt lgkmcnt(0)
	v_lshl_add_u64 v[42:43], v[42:43], 1, s[12:13]
	global_store_short v[42:43], v10, off
	s_or_b64 exec, exec, s[6:7]
	s_and_saveexec_b64 s[6:7], s[0:1]
	s_cbranch_execz .LBB143_25
.LBB143_66:
	v_cvt_f16_f32_e32 v10, v90
	v_add_u32_e32 v42, v8, v3
	v_mov_b32_e32 v43, 0
	s_waitcnt lgkmcnt(0)
	v_lshl_add_u64 v[42:43], v[42:43], 1, s[12:13]
	global_store_short v[42:43], v10, off
	s_or_b64 exec, exec, s[6:7]
	s_and_saveexec_b64 s[6:7], s[2:3]
	s_cbranch_execz .LBB143_26
.LBB143_67:
	v_cvt_f16_f32_e32 v10, v89
	v_add_u32_e32 v42, v8, v4
	v_mov_b32_e32 v43, 0
	s_waitcnt lgkmcnt(0)
	v_lshl_add_u64 v[42:43], v[42:43], 1, s[12:13]
	global_store_short v[42:43], v10, off
	s_or_b64 exec, exec, s[6:7]
	s_and_saveexec_b64 s[6:7], s[4:5]
	s_cbranch_execnz .LBB143_27
	s_branch .LBB143_28
.LBB143_68:
	v_cvt_f16_f32_e32 v10, v86
	v_add_u32_e32 v42, v8, v0
	v_mov_b32_e32 v43, 0
	s_waitcnt lgkmcnt(0)
	v_lshl_add_u64 v[42:43], v[42:43], 1, s[12:13]
	global_store_short v[42:43], v10, off
	s_or_b64 exec, exec, s[6:7]
	s_and_saveexec_b64 s[6:7], s[0:1]
	s_cbranch_execz .LBB143_31
.LBB143_69:
	v_cvt_f16_f32_e32 v10, v85
	v_add_u32_e32 v42, v8, v3
	v_mov_b32_e32 v43, 0
	s_waitcnt lgkmcnt(0)
	v_lshl_add_u64 v[42:43], v[42:43], 1, s[12:13]
	global_store_short v[42:43], v10, off
	s_or_b64 exec, exec, s[6:7]
	s_and_saveexec_b64 s[6:7], s[2:3]
	s_cbranch_execz .LBB143_32
.LBB143_70:
	v_cvt_f16_f32_e32 v10, v49
	v_add_u32_e32 v42, v8, v4
	v_mov_b32_e32 v43, 0
	s_waitcnt lgkmcnt(0)
	v_lshl_add_u64 v[42:43], v[42:43], 1, s[12:13]
	global_store_short v[42:43], v10, off
	s_or_b64 exec, exec, s[6:7]
	s_and_saveexec_b64 s[6:7], s[4:5]
	s_cbranch_execnz .LBB143_33
	s_branch .LBB143_34
.LBB143_71:
	v_cvt_f16_f32_e32 v10, v41
	v_add_u32_e32 v40, v8, v0
	v_mov_b32_e32 v41, 0
	s_waitcnt lgkmcnt(0)
	v_lshl_add_u64 v[40:41], v[40:41], 1, s[12:13]
	global_store_short v[40:41], v10, off
	s_or_b64 exec, exec, s[6:7]
	s_and_saveexec_b64 s[6:7], s[0:1]
	s_cbranch_execz .LBB143_37
.LBB143_72:
	v_cvt_f16_f32_e32 v10, v39
	v_add_u32_e32 v38, v8, v3
	v_mov_b32_e32 v39, 0
	s_waitcnt lgkmcnt(0)
	v_lshl_add_u64 v[38:39], v[38:39], 1, s[12:13]
	global_store_short v[38:39], v10, off
	s_or_b64 exec, exec, s[6:7]
	s_and_saveexec_b64 s[6:7], s[2:3]
	s_cbranch_execz .LBB143_38
.LBB143_73:
	v_cvt_f16_f32_e32 v10, v37
	v_add_u32_e32 v36, v8, v4
	v_mov_b32_e32 v37, 0
	s_waitcnt lgkmcnt(0)
	v_lshl_add_u64 v[36:37], v[36:37], 1, s[12:13]
	global_store_short v[36:37], v10, off
	s_or_b64 exec, exec, s[6:7]
	s_and_saveexec_b64 s[6:7], s[4:5]
	s_cbranch_execnz .LBB143_39
	s_branch .LBB143_40
.LBB143_74:
	v_cvt_f16_f32_e32 v10, v33
	v_add_u32_e32 v32, v8, v0
	v_mov_b32_e32 v33, 0
	s_waitcnt lgkmcnt(0)
	v_lshl_add_u64 v[32:33], v[32:33], 1, s[12:13]
	global_store_short v[32:33], v10, off
	s_or_b64 exec, exec, s[6:7]
	s_and_saveexec_b64 s[6:7], s[0:1]
	s_cbranch_execz .LBB143_43
.LBB143_75:
	v_cvt_f16_f32_e32 v10, v31
	v_add_u32_e32 v30, v8, v3
	v_mov_b32_e32 v31, 0
	s_waitcnt lgkmcnt(0)
	v_lshl_add_u64 v[30:31], v[30:31], 1, s[12:13]
	global_store_short v[30:31], v10, off
	s_or_b64 exec, exec, s[6:7]
	s_and_saveexec_b64 s[6:7], s[2:3]
	s_cbranch_execz .LBB143_44
.LBB143_76:
	v_cvt_f16_f32_e32 v10, v29
	v_add_u32_e32 v28, v8, v4
	v_mov_b32_e32 v29, 0
	s_waitcnt lgkmcnt(0)
	v_lshl_add_u64 v[28:29], v[28:29], 1, s[12:13]
	global_store_short v[28:29], v10, off
	s_or_b64 exec, exec, s[6:7]
	s_and_saveexec_b64 s[6:7], s[4:5]
	s_cbranch_execnz .LBB143_45
	s_branch .LBB143_46
.LBB143_77:
	v_cvt_f16_f32_e32 v10, v25
	v_add_u32_e32 v24, v8, v0
	v_mov_b32_e32 v25, 0
	s_waitcnt lgkmcnt(0)
	v_lshl_add_u64 v[24:25], v[24:25], 1, s[12:13]
	global_store_short v[24:25], v10, off
	s_or_b64 exec, exec, s[6:7]
	s_and_saveexec_b64 s[6:7], s[0:1]
	s_cbranch_execz .LBB143_49
.LBB143_78:
	v_cvt_f16_f32_e32 v10, v23
	v_add_u32_e32 v22, v8, v3
	v_mov_b32_e32 v23, 0
	s_waitcnt lgkmcnt(0)
	v_lshl_add_u64 v[22:23], v[22:23], 1, s[12:13]
	global_store_short v[22:23], v10, off
	s_or_b64 exec, exec, s[6:7]
	s_and_saveexec_b64 s[6:7], s[2:3]
	s_cbranch_execz .LBB143_50
.LBB143_79:
	v_cvt_f16_f32_e32 v10, v21
	v_add_u32_e32 v20, v8, v4
	v_mov_b32_e32 v21, 0
	s_waitcnt lgkmcnt(0)
	v_lshl_add_u64 v[20:21], v[20:21], 1, s[12:13]
	global_store_short v[20:21], v10, off
	s_or_b64 exec, exec, s[6:7]
	s_and_saveexec_b64 s[6:7], s[4:5]
	s_cbranch_execnz .LBB143_51
	s_branch .LBB143_52
.LBB143_80:
	v_cvt_f16_f32_e32 v10, v17
	v_add_u32_e32 v16, v8, v0
	v_mov_b32_e32 v17, 0
	s_waitcnt lgkmcnt(0)
	v_lshl_add_u64 v[16:17], v[16:17], 1, s[12:13]
	global_store_short v[16:17], v10, off
	s_or_b64 exec, exec, s[6:7]
	s_and_saveexec_b64 s[6:7], s[0:1]
	s_cbranch_execz .LBB143_55
.LBB143_81:
	v_cvt_f16_f32_e32 v10, v15
	v_add_u32_e32 v14, v8, v3
	v_mov_b32_e32 v15, 0
	s_waitcnt lgkmcnt(0)
	v_lshl_add_u64 v[14:15], v[14:15], 1, s[12:13]
	global_store_short v[14:15], v10, off
	s_or_b64 exec, exec, s[6:7]
	s_and_saveexec_b64 s[6:7], s[2:3]
	s_cbranch_execz .LBB143_56
.LBB143_82:
	v_cvt_f16_f32_e32 v10, v13
	v_add_u32_e32 v12, v8, v4
	v_mov_b32_e32 v13, 0
	s_waitcnt lgkmcnt(0)
	v_lshl_add_u64 v[12:13], v[12:13], 1, s[12:13]
	global_store_short v[12:13], v10, off
	s_or_b64 exec, exec, s[6:7]
	s_and_saveexec_b64 s[6:7], s[4:5]
	s_cbranch_execnz .LBB143_57
	s_branch .LBB143_58
.LBB143_83:
	v_cvt_f16_f32_e32 v10, v9
	v_add_u32_e32 v8, v2, v0
	v_mov_b32_e32 v9, 0
	s_waitcnt lgkmcnt(0)
	v_lshl_add_u64 v[8:9], v[8:9], 1, s[12:13]
	global_store_short v[8:9], v10, off
	s_or_b64 exec, exec, s[6:7]
	s_and_saveexec_b64 s[6:7], s[0:1]
	s_cbranch_execz .LBB143_61
.LBB143_84:
	v_cvt_f16_f32_e32 v0, v7
	v_add_u32_e32 v8, v2, v3
	v_mov_b32_e32 v9, 0
	s_waitcnt lgkmcnt(0)
	v_lshl_add_u64 v[8:9], v[8:9], 1, s[12:13]
	global_store_short v[8:9], v0, off
	s_or_b64 exec, exec, s[6:7]
	s_and_saveexec_b64 s[0:1], s[2:3]
	s_cbranch_execz .LBB143_62
.LBB143_85:
	v_cvt_f16_f32_e32 v0, v5
	v_add_u32_e32 v4, v2, v4
	v_mov_b32_e32 v5, 0
	s_waitcnt lgkmcnt(0)
	v_lshl_add_u64 v[4:5], v[4:5], 1, s[12:13]
	global_store_short v[4:5], v0, off
	s_or_b64 exec, exec, s[0:1]
	s_and_b64 exec, exec, s[4:5]
	s_cbranch_execnz .LBB143_63
	s_branch .LBB143_64
	.section	.rodata,"a",@progbits
	.p2align	6, 0x0
	.amdhsa_kernel _ZL12mul_mat_q5_1IN3c104HalfELb0EEvPKvS3_PT_iiiii
		.amdhsa_group_segment_fixed_size 46720
		.amdhsa_private_segment_fixed_size 0
		.amdhsa_kernarg_size 44
		.amdhsa_user_sgpr_count 2
		.amdhsa_user_sgpr_dispatch_ptr 0
		.amdhsa_user_sgpr_queue_ptr 0
		.amdhsa_user_sgpr_kernarg_segment_ptr 1
		.amdhsa_user_sgpr_dispatch_id 0
		.amdhsa_user_sgpr_kernarg_preload_length 0
		.amdhsa_user_sgpr_kernarg_preload_offset 0
		.amdhsa_user_sgpr_private_segment_size 0
		.amdhsa_uses_dynamic_stack 0
		.amdhsa_enable_private_segment 0
		.amdhsa_system_sgpr_workgroup_id_x 1
		.amdhsa_system_sgpr_workgroup_id_y 1
		.amdhsa_system_sgpr_workgroup_id_z 0
		.amdhsa_system_sgpr_workgroup_info 0
		.amdhsa_system_vgpr_workitem_id 1
		.amdhsa_next_free_vgpr 169
		.amdhsa_next_free_sgpr 17
		.amdhsa_accum_offset 172
		.amdhsa_reserve_vcc 1
		.amdhsa_float_round_mode_32 0
		.amdhsa_float_round_mode_16_64 0
		.amdhsa_float_denorm_mode_32 3
		.amdhsa_float_denorm_mode_16_64 3
		.amdhsa_dx10_clamp 1
		.amdhsa_ieee_mode 1
		.amdhsa_fp16_overflow 0
		.amdhsa_tg_split 0
		.amdhsa_exception_fp_ieee_invalid_op 0
		.amdhsa_exception_fp_denorm_src 0
		.amdhsa_exception_fp_ieee_div_zero 0
		.amdhsa_exception_fp_ieee_overflow 0
		.amdhsa_exception_fp_ieee_underflow 0
		.amdhsa_exception_fp_ieee_inexact 0
		.amdhsa_exception_int_div_zero 0
	.end_amdhsa_kernel
	.section	.text._ZL12mul_mat_q5_1IN3c104HalfELb0EEvPKvS3_PT_iiiii,"axG",@progbits,_ZL12mul_mat_q5_1IN3c104HalfELb0EEvPKvS3_PT_iiiii,comdat
.Lfunc_end143:
	.size	_ZL12mul_mat_q5_1IN3c104HalfELb0EEvPKvS3_PT_iiiii, .Lfunc_end143-_ZL12mul_mat_q5_1IN3c104HalfELb0EEvPKvS3_PT_iiiii
                                        ; -- End function
	.section	.AMDGPU.csdata,"",@progbits
; Kernel info:
; codeLenInByte = 12520
; NumSgprs: 23
; NumVgprs: 169
; NumAgprs: 0
; TotalNumVgprs: 169
; ScratchSize: 0
; MemoryBound: 0
; FloatMode: 240
; IeeeMode: 1
; LDSByteSize: 46720 bytes/workgroup (compile time only)
; SGPRBlocks: 2
; VGPRBlocks: 21
; NumSGPRsForWavesPerEU: 23
; NumVGPRsForWavesPerEU: 169
; AccumOffset: 172
; Occupancy: 1
; WaveLimiterHint : 0
; COMPUTE_PGM_RSRC2:SCRATCH_EN: 0
; COMPUTE_PGM_RSRC2:USER_SGPR: 2
; COMPUTE_PGM_RSRC2:TRAP_HANDLER: 0
; COMPUTE_PGM_RSRC2:TGID_X_EN: 1
; COMPUTE_PGM_RSRC2:TGID_Y_EN: 1
; COMPUTE_PGM_RSRC2:TGID_Z_EN: 0
; COMPUTE_PGM_RSRC2:TIDIG_COMP_CNT: 1
; COMPUTE_PGM_RSRC3_GFX90A:ACCUM_OFFSET: 42
; COMPUTE_PGM_RSRC3_GFX90A:TG_SPLIT: 0
	.section	.text._ZL12mul_mat_q5_1IN3c104HalfELb1EEvPKvS3_PT_iiiii,"axG",@progbits,_ZL12mul_mat_q5_1IN3c104HalfELb1EEvPKvS3_PT_iiiii,comdat
	.globl	_ZL12mul_mat_q5_1IN3c104HalfELb1EEvPKvS3_PT_iiiii ; -- Begin function _ZL12mul_mat_q5_1IN3c104HalfELb1EEvPKvS3_PT_iiiii
	.p2align	8
	.type	_ZL12mul_mat_q5_1IN3c104HalfELb1EEvPKvS3_PT_iiiii,@function
_ZL12mul_mat_q5_1IN3c104HalfELb1EEvPKvS3_PT_iiiii: ; @_ZL12mul_mat_q5_1IN3c104HalfELb1EEvPKvS3_PT_iiiii
; %bb.0:
	s_load_dwordx4 s[8:11], s[0:1], 0x18
	s_load_dword s14, s[0:1], 0x28
	s_lshl_b32 s15, s3, 6
	v_bfe_u32 v45, v0, 10, 10
	s_waitcnt lgkmcnt(0)
	s_cmp_gt_i32 s8, 31
	s_cbranch_scc1 .LBB144_2
; %bb.1:
	v_bfe_u32 v2, v0, 10, 10
	v_and_b32_e32 v41, 0x3ff, v0
	v_add_u32_e32 v55, s15, v2
	s_mov_b64 s[4:5], 0
	s_mov_b32 s3, 0
	s_branch .LBB144_3
.LBB144_2:
	s_mov_b64 s[4:5], -1
                                        ; implicit-def: $sgpr3
                                        ; implicit-def: $vgpr2
                                        ; implicit-def: $vgpr41
                                        ; implicit-def: $vgpr55
.LBB144_3:
	s_load_dwordx2 s[12:13], s[0:1], 0x10
	s_lshl_b32 s6, s2, 7
	s_andn2_b64 vcc, exec, s[4:5]
	v_mov_b32_e32 v1, s3
	v_mov_b32_e32 v11, s3
	;; [unrolled: 1-line block ×32, first 2 shown]
	s_cbranch_vccnz .LBB144_13
; %bb.4:
	s_ashr_i32 s4, s8, 31
	s_load_dwordx4 s[0:3], s[0:1], 0x0
	s_lshr_b32 s4, s4, 27
	s_ashr_i32 s5, s11, 31
	s_add_i32 s4, s8, s4
	s_lshr_b32 s5, s5, 27
	s_ashr_i32 s4, s4, 5
	s_add_i32 s5, s11, s5
	s_ashr_i32 s11, s5, 5
	s_mul_i32 s5, s4, s6
	s_mul_hi_i32 s7, s5, 24
	s_mul_i32 s5, s5, 24
	s_waitcnt lgkmcnt(0)
	s_add_u32 s5, s0, s5
	s_addc_u32 s7, s1, s7
	s_not_b32 s0, s6
	s_add_i32 s1, s0, s9
	v_and_b32_e32 v41, 0x3ff, v0
	v_min_i32_e32 v1, s1, v45
	v_lshlrev_b32_e32 v66, 3, v41
	s_movk_i32 s0, 0x104
	v_mul_lo_u32 v4, v1, s4
	v_mad_u64_u32 v[6:7], s[16:17], v1, s0, v[66:67]
	v_add_u32_e32 v1, 8, v45
	v_min_i32_e32 v5, s1, v1
	v_mul_lo_u32 v8, v5, s4
	v_mad_u64_u32 v[10:11], s[16:17], v5, s0, v[66:67]
	v_add_u32_e32 v5, 16, v45
	v_min_i32_e32 v7, s1, v5
	v_mul_lo_u32 v12, v7, s4
	v_mad_u64_u32 v[14:15], s[16:17], v7, s0, v[66:67]
	v_add_u32_e32 v7, 24, v45
	v_min_i32_e32 v9, s1, v7
	v_mul_lo_u32 v16, v9, s4
	v_mad_u64_u32 v[18:19], s[16:17], v9, s0, v[66:67]
	v_add_u32_e32 v9, 32, v45
	v_min_i32_e32 v11, s1, v9
	v_mul_lo_u32 v20, v11, s4
	v_mad_u64_u32 v[22:23], s[16:17], v11, s0, v[66:67]
	v_add_u32_e32 v11, 40, v45
	v_min_i32_e32 v13, s1, v11
	v_mul_lo_u32 v24, v13, s4
	v_mad_u64_u32 v[26:27], s[16:17], v13, s0, v[66:67]
	v_add_u32_e32 v13, 48, v45
	v_min_i32_e32 v15, s1, v13
	v_mul_lo_u32 v28, v15, s4
	v_mad_u64_u32 v[30:31], s[16:17], v15, s0, v[66:67]
	v_add_u32_e32 v15, 56, v45
	v_min_i32_e32 v17, s1, v15
	v_mul_lo_u32 v32, v17, s4
	v_mad_u64_u32 v[34:35], s[16:17], v17, s0, v[66:67]
	v_add_u32_e32 v17, 64, v45
	v_min_i32_e32 v17, s1, v17
	v_mul_lo_u32 v36, v17, s4
	v_mad_u64_u32 v[38:39], s[16:17], v17, s0, v[66:67]
	v_add_u32_e32 v17, 0x48, v45
	v_min_i32_e32 v17, s1, v17
	v_mul_lo_u32 v40, v17, s4
	v_mad_u64_u32 v[42:43], s[16:17], v17, s0, v[66:67]
	v_add_u32_e32 v17, 0x50, v45
	v_min_i32_e32 v17, s1, v17
	v_mul_lo_u32 v44, v17, s4
	v_mad_u64_u32 v[46:47], s[16:17], v17, s0, v[66:67]
	v_add_u32_e32 v17, 0x58, v45
	v_min_i32_e32 v17, s1, v17
	v_mul_lo_u32 v48, v17, s4
	v_mad_u64_u32 v[50:51], s[16:17], v17, s0, v[66:67]
	v_add_u32_e32 v17, 0x60, v45
	v_min_i32_e32 v17, s1, v17
	v_mul_lo_u32 v52, v17, s4
	v_mad_u64_u32 v[54:55], s[16:17], v17, s0, v[66:67]
	v_add_u32_e32 v17, 0x68, v45
	v_min_i32_e32 v17, s1, v17
	v_mul_lo_u32 v56, v17, s4
	v_mad_u64_u32 v[58:59], s[16:17], v17, s0, v[66:67]
	v_add_u32_e32 v17, 0x70, v45
	v_min_i32_e32 v17, s1, v17
	v_mul_lo_u32 v60, v17, s4
	v_mad_u64_u32 v[62:63], s[16:17], v17, s0, v[66:67]
	v_add_u32_e32 v17, 0x78, v45
	v_min_i32_e32 v17, s1, v17
	v_mad_u64_u32 v[66:67], s[16:17], v17, s0, v[66:67]
	v_lshrrev_b32_e32 v67, 3, v41
	v_mul_lo_u32 v64, v17, s4
	v_lshl_add_u32 v17, v45, 2, v67
	v_min_i32_e32 v19, s1, v17
	v_add_u32_e32 v25, 32, v17
	v_add_u32_e32 v29, 64, v17
	;; [unrolled: 1-line block ×3, first 2 shown]
	v_min_i32_e32 v25, s1, v25
	v_min_i32_e32 v29, s1, v29
	;; [unrolled: 1-line block ×3, first 2 shown]
	v_lshrrev_b32_e32 v0, 2, v41
	v_ashrrev_i32_e32 v21, 31, v19
	v_ashrrev_i32_e32 v27, 31, v25
	v_ashrrev_i32_e32 v31, 31, v29
	v_ashrrev_i32_e32 v33, 31, v17
	v_lshlrev_b32_e32 v35, 2, v41
	v_and_b32_e32 v80, 3, v41
	v_lshrrev_b32_e32 v21, 30, v21
	v_lshrrev_b32_e32 v27, 30, v27
	;; [unrolled: 1-line block ×4, first 2 shown]
	v_add_u32_e32 v55, s15, v45
	s_add_i32 s1, s10, -1
	v_and_b32_e32 v78, 28, v35
	v_lshl_add_u32 v35, v45, 3, v0
	v_lshlrev_b32_e32 v2, 2, v80
	v_and_b32_e32 v68, 7, v41
	v_add_u32_e32 v21, v19, v21
	v_add_u32_e32 v27, v25, v27
	;; [unrolled: 1-line block ×4, first 2 shown]
	v_cvt_f64_i32_e32 v[82:83], s1
	v_and_b32_e32 v35, 63, v35
	v_cvt_f64_u32_e32 v[84:85], v55
	v_and_b32_e32 v21, -4, v21
	v_lshlrev_b32_e32 v23, 2, v68
	s_mov_b32 s9, 0xa200
	v_and_b32_e32 v27, -4, v27
	v_and_b32_e32 v31, -4, v31
	v_and_b32_e32 v33, -4, v33
	v_or_b32_e32 v37, s15, v35
	v_lshl_or_b32 v35, v35, 4, v2
	v_min_f64 v[84:85], v[84:85], v[82:83]
	v_add3_u32 v21, v21, v23, s9
	v_add3_u32 v27, v27, v23, s9
	;; [unrolled: 1-line block ×4, first 2 shown]
	v_and_b32_e32 v33, 31, v41
	v_add_u32_e32 v75, 0xb280, v35
	v_cvt_i32_f64_e32 v35, v[84:85]
	v_min_i32_e32 v37, s1, v37
	v_mul_lo_u32 v77, s11, v35
	v_lshlrev_b32_e32 v33, 2, v33
	v_lshlrev_b32_e32 v35, 7, v45
	v_mad_u64_u32 v[80:81], s[16:17], v37, s11, v[80:81]
	v_or_b32_e32 v37, v35, v33
	v_add_u32_e32 v81, 0x8200, v37
	v_add_u32_e32 v37, 8, v55
	v_cvt_f64_u32_e32 v[84:85], v37
	v_lshl_or_b32 v1, v1, 7, v33
	v_min_f64 v[84:85], v[84:85], v[82:83]
	v_add_u32_e32 v117, 0x8200, v1
	v_add_u32_e32 v1, 16, v55
	v_cvt_i32_f64_e32 v37, v[84:85]
	v_cvt_f64_u32_e32 v[84:85], v1
	v_min_f64 v[84:85], v[84:85], v[82:83]
	v_cvt_i32_f64_e32 v1, v[84:85]
	v_mul_lo_u32 v118, s11, v1
	v_lshl_or_b32 v1, v5, 7, v33
	v_add_u32_e32 v119, 0x8200, v1
	v_add_u32_e32 v1, 24, v55
	v_cvt_f64_u32_e32 v[84:85], v1
	v_min_f64 v[84:85], v[84:85], v[82:83]
	v_cvt_i32_f64_e32 v1, v[84:85]
	v_mul_lo_u32 v120, s11, v1
	v_lshl_or_b32 v1, v7, 7, v33
	v_add_u32_e32 v121, 0x8200, v1
	v_add_u32_e32 v1, 32, v55
	;; [unrolled: 7-line block ×6, first 2 shown]
	v_add_u32_e32 v5, 64, v41
	v_add_u32_e32 v7, 0x60, v41
	v_lshlrev_b32_e32 v9, 5, v41
	v_lshrrev_b32_e32 v131, 3, v1
	v_and_b32_e32 v1, 0x1fc, v1
	v_mov_b32_e32 v3, 0
	v_and_b32_e32 v7, 0x1fc, v7
	v_and_b32_e32 v5, 0x1fc, v5
	v_add_u32_e32 v1, v9, v1
	v_and_b32_e32 v11, 0xfc, v41
	v_mul_lo_u32 v70, v19, s4
	v_lshlrev_b32_e32 v19, 5, v19
	v_mul_lo_u32 v72, v25, s4
	v_lshlrev_b32_e32 v25, 5, v25
	;; [unrolled: 2-line block ×4, first 2 shown]
	v_mov_b32_e32 v79, v3
	v_add_u32_e32 v7, v9, v7
	v_add_u32_e32 v5, v9, v5
	;; [unrolled: 1-line block ×4, first 2 shown]
	v_mov_b32_e32 v11, 0xb280
	v_add_u32_e32 v140, 0xa610, v1
	v_mov_b32_e32 v1, 0x80
	s_mov_b32 s8, 0
	v_lshl_add_u64 v[78:79], s[2:3], 0, v[78:79]
	v_mul_lo_u32 v116, s11, v37
	v_mul_u32_u24_e32 v130, 0x104, v41
	v_add_u32_e32 v132, 0xae00, v7
	v_add_u32_e32 v133, 0xaa00, v5
	;; [unrolled: 1-line block ×4, first 2 shown]
	v_lshl_add_u32 v137, v45, 4, v11
	v_add_u32_e32 v138, 0xae10, v7
	v_add_u32_e32 v139, 0xaa10, v5
	;; [unrolled: 1-line block ×3, first 2 shown]
	v_mad_u32_u24 v142, v41, s0, v1
	v_add_u32_e32 v143, v21, v19
	v_add_u32_e32 v144, v27, v25
	;; [unrolled: 1-line block ×4, first 2 shown]
	v_mov_b32_e32 v73, v3
	v_mov_b32_e32 v63, v3
	;; [unrolled: 1-line block ×32, first 2 shown]
	s_branch .LBB144_6
.LBB144_5:                              ;   in Loop: Header=BB144_6 Depth=1
	s_add_i32 s8, s8, 8
	s_cmp_ge_i32 s8, s4
	s_cbranch_scc1 .LBB144_12
.LBB144_6:                              ; =>This Loop Header: Depth=1
                                        ;     Child Loop BB144_7 Depth 2
                                        ;     Child Loop BB144_10 Depth 2
	s_mul_i32 s0, s8, 24
	s_mul_hi_u32 s1, s8, 24
	s_add_u32 s0, s5, s0
	s_addc_u32 s1, s7, s1
	v_mad_u64_u32 v[82:83], s[16:17], v0, 24, s[0:1]
	v_mad_i64_i32 v[84:85], s[16:17], v4, 24, v[82:83]
	v_mad_i64_i32 v[92:93], s[16:17], v16, 24, v[82:83]
	v_lshl_add_u64 v[86:87], v[84:85], 0, v[2:3]
	v_mad_i64_i32 v[88:89], s[16:17], v8, 24, v[82:83]
	v_mad_i64_i32 v[90:91], s[16:17], v12, 24, v[82:83]
	global_load_dword v100, v[92:93], off offset:4
	global_load_dword v101, v[90:91], off offset:4
	global_load_dword v102, v[88:89], off offset:4
	global_load_dword v103, v[84:85], off offset:4
	global_load_dword v104, v[86:87], off offset:8
	v_lshl_add_u64 v[84:85], v[88:89], 0, v[2:3]
	global_load_dword v105, v[84:85], off offset:8
	v_lshl_add_u64 v[84:85], v[90:91], 0, v[2:3]
	global_load_dword v106, v[84:85], off offset:8
	;; [unrolled: 2-line block ×3, first 2 shown]
	v_mad_i64_i32 v[90:91], s[16:17], v32, 24, v[82:83]
	v_mad_i64_i32 v[84:85], s[16:17], v20, 24, v[82:83]
	;; [unrolled: 1-line block ×4, first 2 shown]
	v_lshl_add_u64 v[98:99], v[90:91], 0, v[2:3]
	v_lshl_add_u64 v[92:93], v[84:85], 0, v[2:3]
	;; [unrolled: 1-line block ×4, first 2 shown]
	global_load_dword v108, v[98:99], off offset:8
	global_load_dword v109, v[90:91], off offset:4
	global_load_dword v110, v[96:97], off offset:8
	global_load_dword v111, v[88:89], off offset:4
	global_load_dword v112, v[94:95], off offset:8
	global_load_dword v113, v[86:87], off offset:4
	s_nop 0
	global_load_dword v86, v[92:93], off offset:8
	s_nop 0
	global_load_dword v84, v[84:85], off offset:4
	v_add_u32_e32 v147, s8, v80
	v_mov_b32_e32 v148, v137
	v_mov_b32_e32 v149, v136
	;; [unrolled: 1-line block ×7, first 2 shown]
	s_waitcnt vmcnt(13)
	v_ashrrev_i32_e32 v89, v2, v102
	s_waitcnt vmcnt(12)
	v_ashrrev_i32_e32 v85, v2, v103
	s_waitcnt vmcnt(11)
	v_lshrrev_b32_e32 v87, 4, v104
	v_lshlrev_b32_e32 v92, 4, v85
	v_lshlrev_b32_e32 v93, 11, v85
	v_lshrrev_b32_e32 v94, 12, v85
	v_lshrrev_b32_e32 v95, 5, v85
	v_and_b32_e32 v88, 0xf0f0f0f, v104
	v_and_b32_e32 v87, 0xf0f0f0f, v87
	v_lshlrev_b32_e32 v96, 2, v85
	v_lshlrev_b32_e32 v97, 18, v85
	v_lshlrev_b32_e32 v98, 9, v85
	v_lshlrev_b32_e32 v85, 25, v85
	v_and_b32_e32 v94, 16, v94
	v_and_b32_e32 v92, 16, v92
	;; [unrolled: 1-line block ×4, first 2 shown]
	s_waitcnt vmcnt(10)
	v_lshrrev_b32_e32 v90, 4, v105
	v_lshlrev_b32_e32 v99, 4, v89
	v_lshlrev_b32_e32 v102, 11, v89
	v_lshrrev_b32_e32 v103, 12, v89
	v_lshrrev_b32_e32 v104, 5, v89
	v_and_b32_e32 v97, 0x100000, v97
	v_and_b32_e32 v96, 0x100000, v96
	;; [unrolled: 1-line block ×4, first 2 shown]
	v_or3_b32 v88, v92, v88, v93
	v_or3_b32 v87, v94, v87, v95
	v_and_b32_e32 v91, 0xf0f0f0f, v105
	v_and_b32_e32 v90, 0xf0f0f0f, v90
	v_lshlrev_b32_e32 v105, 2, v89
	v_lshlrev_b32_e32 v114, 18, v89
	;; [unrolled: 1-line block ×4, first 2 shown]
	v_and_b32_e32 v103, 16, v103
	v_and_b32_e32 v99, 16, v99
	;; [unrolled: 1-line block ×4, first 2 shown]
	v_or3_b32 v87, v87, v96, v98
	v_or3_b32 v85, v88, v97, v85
	v_and_b32_e32 v114, 0x100000, v114
	v_and_b32_e32 v105, 0x100000, v105
	v_and_b32_e32 v89, 0x10000000, v89
	v_or3_b32 v91, v99, v91, v102
	v_or3_b32 v90, v103, v90, v104
	ds_write2_b32 v6, v85, v87 offset1:1
	v_and_b32_e32 v85, 0x10000000, v115
	v_or3_b32 v85, v90, v105, v85
	v_or3_b32 v87, v91, v114, v89
	ds_write2_b32 v10, v87, v85 offset1:1
	v_ashrrev_i32_e32 v85, v2, v101
	v_lshlrev_b32_e32 v87, 4, v85
	v_lshlrev_b32_e32 v88, 11, v85
	s_waitcnt vmcnt(9)
	v_lshrrev_b32_e32 v89, 4, v106
	v_lshrrev_b32_e32 v90, 12, v85
	;; [unrolled: 1-line block ×3, first 2 shown]
	v_and_b32_e32 v89, 0xf0f0f0f, v89
	v_and_b32_e32 v92, 0xf0f0f0f, v106
	;; [unrolled: 1-line block ×6, first 2 shown]
	v_or3_b32 v87, v87, v92, v88
	v_or3_b32 v88, v90, v89, v91
	v_lshlrev_b32_e32 v89, 2, v85
	v_lshlrev_b32_e32 v90, 18, v85
	;; [unrolled: 1-line block ×4, first 2 shown]
	v_and_b32_e32 v90, 0x100000, v90
	v_and_b32_e32 v89, 0x100000, v89
	;; [unrolled: 1-line block ×4, first 2 shown]
	v_or3_b32 v88, v88, v89, v91
	v_or3_b32 v85, v87, v90, v85
	ds_write2_b32 v14, v85, v88 offset1:1
	v_ashrrev_i32_e32 v85, v2, v100
	v_lshlrev_b32_e32 v87, 4, v85
	v_lshlrev_b32_e32 v88, 11, v85
	s_waitcnt vmcnt(8)
	v_lshrrev_b32_e32 v89, 4, v107
	v_lshrrev_b32_e32 v90, 12, v85
	;; [unrolled: 1-line block ×3, first 2 shown]
	v_and_b32_e32 v89, 0xf0f0f0f, v89
	v_and_b32_e32 v92, 0xf0f0f0f, v107
	;; [unrolled: 1-line block ×6, first 2 shown]
	v_or3_b32 v87, v87, v92, v88
	v_or3_b32 v88, v90, v89, v91
	v_lshlrev_b32_e32 v89, 2, v85
	v_lshlrev_b32_e32 v90, 18, v85
	;; [unrolled: 1-line block ×4, first 2 shown]
	v_and_b32_e32 v90, 0x100000, v90
	v_and_b32_e32 v89, 0x100000, v89
	v_and_b32_e32 v85, 0x10000000, v85
	v_and_b32_e32 v91, 0x10000000, v91
	v_or3_b32 v88, v88, v89, v91
	v_or3_b32 v85, v87, v90, v85
	s_waitcnt vmcnt(0)
	v_ashrrev_i32_e32 v84, v2, v84
	ds_write2_b32 v18, v85, v88 offset1:1
	v_lshlrev_b32_e32 v85, 4, v84
	v_lshlrev_b32_e32 v87, 11, v84
	v_lshrrev_b32_e32 v88, 4, v86
	v_and_b32_e32 v86, 0xf0f0f0f, v86
	v_and_b32_e32 v85, 16, v85
	v_and_b32_e32 v87, 0x1000, v87
	v_lshrrev_b32_e32 v89, 12, v84
	v_lshrrev_b32_e32 v90, 5, v84
	v_or3_b32 v100, v85, v86, v87
	v_lshlrev_b32_e32 v85, 2, v84
	v_lshlrev_b32_e32 v86, 18, v84
	;; [unrolled: 1-line block ×4, first 2 shown]
	v_and_b32_e32 v88, 0xf0f0f0f, v88
	v_and_b32_e32 v89, 16, v89
	;; [unrolled: 1-line block ×5, first 2 shown]
	v_mad_i64_i32 v[84:85], s[16:17], v36, 24, v[82:83]
	v_mad_i64_i32 v[96:97], s[16:17], v48, 24, v[82:83]
	v_or3_b32 v101, v89, v88, v90
	v_and_b32_e32 v102, 0x100000, v86
	v_lshl_add_u64 v[86:87], v[84:85], 0, v[2:3]
	v_mad_i64_i32 v[88:89], s[16:17], v40, 24, v[82:83]
	v_mad_i64_i32 v[92:93], s[16:17], v44, 24, v[82:83]
	v_lshl_add_u64 v[98:99], v[96:97], 0, v[2:3]
	v_lshl_add_u64 v[90:91], v[88:89], 0, v[2:3]
	;; [unrolled: 1-line block ×3, first 2 shown]
	global_load_dword v98, v[98:99], off offset:8
	s_nop 0
	global_load_dword v99, v[96:97], off offset:4
	global_load_dword v106, v[94:95], off offset:8
	;; [unrolled: 1-line block ×5, first 2 shown]
	s_nop 0
	global_load_dword v86, v[86:87], off offset:8
	s_nop 0
	global_load_dword v84, v[84:85], off offset:4
	v_and_b32_e32 v85, 0x10000000, v104
	v_or3_b32 v85, v101, v103, v85
	v_or3_b32 v87, v100, v102, v105
	ds_write2_b32 v22, v87, v85 offset1:1
	v_ashrrev_i32_e32 v85, v2, v113
	v_lshlrev_b32_e32 v87, 4, v85
	v_lshlrev_b32_e32 v88, 11, v85
	v_lshrrev_b32_e32 v89, 4, v112
	v_lshrrev_b32_e32 v90, 12, v85
	v_lshrrev_b32_e32 v91, 5, v85
	v_and_b32_e32 v89, 0xf0f0f0f, v89
	v_and_b32_e32 v92, 0xf0f0f0f, v112
	v_and_b32_e32 v90, 16, v90
	v_and_b32_e32 v87, 16, v87
	v_and_b32_e32 v91, 0x1000, v91
	v_and_b32_e32 v88, 0x1000, v88
	v_or3_b32 v87, v87, v92, v88
	v_or3_b32 v88, v90, v89, v91
	v_lshlrev_b32_e32 v89, 2, v85
	v_lshlrev_b32_e32 v90, 18, v85
	v_lshlrev_b32_e32 v91, 9, v85
	v_lshlrev_b32_e32 v85, 25, v85
	v_and_b32_e32 v90, 0x100000, v90
	v_and_b32_e32 v89, 0x100000, v89
	v_and_b32_e32 v85, 0x10000000, v85
	v_and_b32_e32 v91, 0x10000000, v91
	v_or3_b32 v88, v88, v89, v91
	v_or3_b32 v85, v87, v90, v85
	ds_write2_b32 v26, v85, v88 offset1:1
	v_ashrrev_i32_e32 v85, v2, v111
	v_lshlrev_b32_e32 v87, 4, v85
	v_lshlrev_b32_e32 v88, 11, v85
	v_lshrrev_b32_e32 v89, 4, v110
	v_lshrrev_b32_e32 v90, 12, v85
	v_lshrrev_b32_e32 v91, 5, v85
	v_and_b32_e32 v89, 0xf0f0f0f, v89
	v_and_b32_e32 v92, 0xf0f0f0f, v110
	v_and_b32_e32 v90, 16, v90
	v_and_b32_e32 v87, 16, v87
	v_and_b32_e32 v91, 0x1000, v91
	v_and_b32_e32 v88, 0x1000, v88
	v_or3_b32 v87, v87, v92, v88
	v_or3_b32 v88, v90, v89, v91
	v_lshlrev_b32_e32 v89, 2, v85
	v_lshlrev_b32_e32 v90, 18, v85
	v_lshlrev_b32_e32 v91, 9, v85
	v_lshlrev_b32_e32 v85, 25, v85
	v_and_b32_e32 v90, 0x100000, v90
	v_and_b32_e32 v89, 0x100000, v89
	v_and_b32_e32 v85, 0x10000000, v85
	;; [unrolled: 25-line block ×3, first 2 shown]
	v_and_b32_e32 v91, 0x10000000, v91
	v_or3_b32 v88, v88, v89, v91
	v_or3_b32 v85, v87, v90, v85
	ds_write2_b32 v34, v85, v88 offset1:1
	s_waitcnt vmcnt(0)
	v_ashrrev_i32_e32 v84, v2, v84
	v_lshlrev_b32_e32 v85, 4, v84
	v_lshlrev_b32_e32 v87, 11, v84
	v_lshrrev_b32_e32 v88, 4, v86
	v_lshrrev_b32_e32 v89, 12, v84
	;; [unrolled: 1-line block ×3, first 2 shown]
	v_and_b32_e32 v86, 0xf0f0f0f, v86
	v_and_b32_e32 v85, 16, v85
	;; [unrolled: 1-line block ×6, first 2 shown]
	v_or3_b32 v100, v85, v86, v87
	v_lshlrev_b32_e32 v85, 2, v84
	v_lshlrev_b32_e32 v86, 18, v84
	;; [unrolled: 1-line block ×4, first 2 shown]
	v_or3_b32 v101, v89, v88, v90
	v_and_b32_e32 v103, 0x100000, v85
	v_and_b32_e32 v105, 0x10000000, v84
	v_mad_i64_i32 v[84:85], s[16:17], v52, 24, v[82:83]
	v_mad_i64_i32 v[88:89], s[16:17], v56, 24, v[82:83]
	v_mad_i64_i32 v[92:93], s[16:17], v60, 24, v[82:83]
	v_mad_i64_i32 v[82:83], s[16:17], v64, 24, v[82:83]
	v_and_b32_e32 v102, 0x100000, v86
	v_lshl_add_u64 v[86:87], v[84:85], 0, v[2:3]
	v_lshl_add_u64 v[96:97], v[82:83], 0, v[2:3]
	;; [unrolled: 1-line block ×4, first 2 shown]
	global_load_dword v108, v[96:97], off offset:8
	global_load_dword v109, v[82:83], off offset:4
	global_load_dword v110, v[94:95], off offset:8
	global_load_dword v111, v[92:93], off offset:4
	s_nop 0
	global_load_dword v82, v[90:91], off offset:8
	global_load_dword v83, v[88:89], off offset:4
	s_nop 0
	global_load_dword v86, v[86:87], off offset:8
	s_nop 0
	global_load_dword v84, v[84:85], off offset:4
	v_and_b32_e32 v85, 0x10000000, v104
	v_or3_b32 v85, v101, v103, v85
	v_or3_b32 v87, v100, v102, v105
	ds_write2_b32 v38, v87, v85 offset1:1
	v_ashrrev_i32_e32 v85, v2, v115
	v_lshlrev_b32_e32 v87, 4, v85
	v_lshlrev_b32_e32 v88, 11, v85
	v_lshrrev_b32_e32 v89, 4, v114
	v_lshrrev_b32_e32 v90, 12, v85
	v_lshrrev_b32_e32 v91, 5, v85
	v_and_b32_e32 v89, 0xf0f0f0f, v89
	v_and_b32_e32 v92, 0xf0f0f0f, v114
	v_and_b32_e32 v90, 16, v90
	v_and_b32_e32 v87, 16, v87
	v_and_b32_e32 v91, 0x1000, v91
	v_and_b32_e32 v88, 0x1000, v88
	v_or3_b32 v87, v87, v92, v88
	v_or3_b32 v88, v90, v89, v91
	v_lshlrev_b32_e32 v89, 2, v85
	v_lshlrev_b32_e32 v90, 18, v85
	v_lshlrev_b32_e32 v91, 9, v85
	v_lshlrev_b32_e32 v85, 25, v85
	v_and_b32_e32 v90, 0x100000, v90
	v_and_b32_e32 v89, 0x100000, v89
	v_and_b32_e32 v85, 0x10000000, v85
	v_and_b32_e32 v91, 0x10000000, v91
	v_or3_b32 v88, v88, v89, v91
	v_or3_b32 v85, v87, v90, v85
	ds_write2_b32 v42, v85, v88 offset1:1
	v_ashrrev_i32_e32 v85, v2, v107
	v_lshlrev_b32_e32 v87, 4, v85
	v_lshlrev_b32_e32 v88, 11, v85
	v_lshrrev_b32_e32 v89, 4, v106
	v_lshrrev_b32_e32 v90, 12, v85
	v_lshrrev_b32_e32 v91, 5, v85
	v_and_b32_e32 v89, 0xf0f0f0f, v89
	v_and_b32_e32 v92, 0xf0f0f0f, v106
	v_and_b32_e32 v90, 16, v90
	v_and_b32_e32 v87, 16, v87
	v_and_b32_e32 v91, 0x1000, v91
	v_and_b32_e32 v88, 0x1000, v88
	v_or3_b32 v87, v87, v92, v88
	v_or3_b32 v88, v90, v89, v91
	v_lshlrev_b32_e32 v89, 2, v85
	v_lshlrev_b32_e32 v90, 18, v85
	v_lshlrev_b32_e32 v91, 9, v85
	v_lshlrev_b32_e32 v85, 25, v85
	v_and_b32_e32 v90, 0x100000, v90
	v_and_b32_e32 v89, 0x100000, v89
	v_and_b32_e32 v85, 0x10000000, v85
	;; [unrolled: 25-line block ×3, first 2 shown]
	v_and_b32_e32 v91, 0x10000000, v91
	v_or3_b32 v88, v88, v89, v91
	v_or3_b32 v85, v87, v90, v85
	ds_write2_b32 v50, v85, v88 offset1:1
	s_waitcnt vmcnt(0)
	v_ashrrev_i32_e32 v84, v2, v84
	v_lshlrev_b32_e32 v85, 4, v84
	v_lshlrev_b32_e32 v87, 11, v84
	v_lshrrev_b32_e32 v88, 4, v86
	v_lshrrev_b32_e32 v89, 12, v84
	v_lshrrev_b32_e32 v90, 5, v84
	v_and_b32_e32 v88, 0xf0f0f0f, v88
	v_and_b32_e32 v86, 0xf0f0f0f, v86
	;; [unrolled: 1-line block ×6, first 2 shown]
	v_or3_b32 v85, v85, v86, v87
	v_or3_b32 v86, v89, v88, v90
	v_lshlrev_b32_e32 v87, 2, v84
	v_lshlrev_b32_e32 v88, 18, v84
	;; [unrolled: 1-line block ×4, first 2 shown]
	v_and_b32_e32 v88, 0x100000, v88
	v_and_b32_e32 v87, 0x100000, v87
	v_and_b32_e32 v84, 0x10000000, v84
	v_and_b32_e32 v89, 0x10000000, v89
	v_ashrrev_i32_e32 v98, v2, v83
	v_lshrrev_b32_e32 v83, 4, v82
	v_or3_b32 v86, v86, v87, v89
	v_or3_b32 v84, v85, v88, v84
	v_and_b32_e32 v103, 0xf0f0f0f, v83
	v_and_b32_e32 v104, 0xf0f0f0f, v82
	v_mad_u64_u32 v[82:83], s[0:1], v68, 24, s[0:1]
	ds_write2_b32 v54, v84, v86 offset1:1
	v_mad_i64_i32 v[84:85], s[0:1], v70, 24, v[82:83]
	v_mad_i64_i32 v[86:87], s[0:1], v72, 24, v[82:83]
	;; [unrolled: 1-line block ×4, first 2 shown]
	v_add_u32_e32 v96, s8, v67
	global_load_dword v105, v[84:85], off
	global_load_dword v106, v[86:87], off
	;; [unrolled: 1-line block ×4, first 2 shown]
	v_add_u32_e32 v82, v96, v77
	v_add_u32_e32 v84, v96, v116
	;; [unrolled: 1-line block ×5, first 2 shown]
	v_mad_i64_i32 v[82:83], s[0:1], v82, 36, v[78:79]
	v_mad_i64_i32 v[84:85], s[0:1], v84, 36, v[78:79]
	;; [unrolled: 1-line block ×5, first 2 shown]
	v_add_u32_e32 v92, v96, v124
	v_add_u32_e32 v94, v96, v126
	;; [unrolled: 1-line block ×3, first 2 shown]
	v_mad_i64_i32 v[92:93], s[0:1], v92, 36, v[78:79]
	v_mad_i64_i32 v[94:95], s[0:1], v94, 36, v[78:79]
	;; [unrolled: 1-line block ×3, first 2 shown]
	global_load_dword v113, v[82:83], off offset:4
	s_nop 0
	global_load_dword v84, v[84:85], off offset:4
	s_nop 0
	;; [unrolled: 2-line block ×3, first 2 shown]
	global_load_dword v86, v[88:89], off offset:4
	global_load_dword v87, v[90:91], off offset:4
	s_nop 0
	global_load_dword v88, v[92:93], off offset:4
	global_load_dword v89, v[94:95], off offset:4
	global_load_dword v90, v[96:97], off offset:4
	v_mad_u64_u32 v[82:83], s[0:1], v147, 36, s[2:3]
	global_load_dword v82, v[82:83], off
	v_lshlrev_b32_e32 v99, 4, v98
	v_lshlrev_b32_e32 v100, 11, v98
	v_lshrrev_b32_e32 v101, 12, v98
	v_lshrrev_b32_e32 v102, 5, v98
	v_and_b32_e32 v83, 16, v101
	v_and_b32_e32 v91, 16, v99
	;; [unrolled: 1-line block ×4, first 2 shown]
	v_or3_b32 v91, v91, v104, v93
	v_or3_b32 v83, v83, v103, v92
	v_lshlrev_b32_e32 v92, 2, v98
	v_lshlrev_b32_e32 v93, 18, v98
	;; [unrolled: 1-line block ×4, first 2 shown]
	v_and_b32_e32 v93, 0x100000, v93
	v_and_b32_e32 v92, 0x100000, v92
	;; [unrolled: 1-line block ×4, first 2 shown]
	v_or3_b32 v83, v83, v92, v94
	v_or3_b32 v91, v91, v93, v95
	ds_write2_b32 v58, v91, v83 offset1:1
	v_ashrrev_i32_e32 v83, v2, v111
	v_lshlrev_b32_e32 v91, 4, v83
	v_lshlrev_b32_e32 v92, 11, v83
	v_lshrrev_b32_e32 v93, 4, v110
	v_lshrrev_b32_e32 v94, 12, v83
	v_lshrrev_b32_e32 v95, 5, v83
	v_and_b32_e32 v93, 0xf0f0f0f, v93
	v_and_b32_e32 v96, 0xf0f0f0f, v110
	;; [unrolled: 1-line block ×6, first 2 shown]
	v_or3_b32 v91, v91, v96, v92
	v_or3_b32 v92, v94, v93, v95
	v_lshlrev_b32_e32 v93, 2, v83
	v_lshlrev_b32_e32 v94, 18, v83
	;; [unrolled: 1-line block ×4, first 2 shown]
	v_and_b32_e32 v94, 0x100000, v94
	v_and_b32_e32 v93, 0x100000, v93
	;; [unrolled: 1-line block ×4, first 2 shown]
	v_or3_b32 v92, v92, v93, v95
	v_or3_b32 v83, v91, v94, v83
	ds_write2_b32 v62, v83, v92 offset1:1
	v_ashrrev_i32_e32 v83, v2, v109
	v_lshlrev_b32_e32 v91, 4, v83
	v_lshlrev_b32_e32 v92, 11, v83
	v_lshrrev_b32_e32 v93, 4, v108
	v_lshrrev_b32_e32 v94, 12, v83
	;; [unrolled: 1-line block ×3, first 2 shown]
	v_and_b32_e32 v93, 0xf0f0f0f, v93
	v_and_b32_e32 v96, 0xf0f0f0f, v108
	;; [unrolled: 1-line block ×6, first 2 shown]
	v_or3_b32 v91, v91, v96, v92
	v_or3_b32 v92, v94, v93, v95
	v_lshlrev_b32_e32 v93, 2, v83
	v_lshlrev_b32_e32 v94, 18, v83
	;; [unrolled: 1-line block ×4, first 2 shown]
	v_and_b32_e32 v94, 0x100000, v94
	v_and_b32_e32 v93, 0x100000, v93
	;; [unrolled: 1-line block ×4, first 2 shown]
	v_or3_b32 v92, v92, v93, v95
	v_or3_b32 v83, v91, v94, v83
	s_mov_b32 s0, -4
	ds_write2_b32 v66, v83, v92 offset1:1
	s_waitcnt vmcnt(12)
	ds_write_b32 v143, v105
	s_waitcnt vmcnt(11)
	ds_write_b32 v144, v106
	;; [unrolled: 2-line block ×13, first 2 shown]
	s_waitcnt lgkmcnt(0)
	s_barrier
.LBB144_7:                              ;   Parent Loop BB144_6 Depth=1
                                        ; =>  This Inner Loop Header: Depth=2
	ds_read_b128 v[160:163], v149
	ds_read_b128 v[164:167], v149 offset:16
	ds_read2_b32 v[114:115], v148 offset1:32
	ds_read_b32 v155, v151
	ds_read2_b32 v[82:83], v150 offset1:1
	ds_read2_b32 v[86:87], v150 offset0:2 offset1:3
	ds_read2_b32 v[88:89], v150 offset0:4 offset1:5
	;; [unrolled: 1-line block ×3, first 2 shown]
	v_mov_b32_e32 v84, 0
	s_waitcnt lgkmcnt(3)
	v_dot4c_i32_i8_e32 v84, v82, v160
	v_dot4c_i32_i8_e32 v84, v83, v164
	s_waitcnt lgkmcnt(2)
	v_dot4c_i32_i8_e32 v84, v86, v161
	v_dot4c_i32_i8_e32 v84, v87, v165
	;; [unrolled: 3-line block ×4, first 2 shown]
	v_pk_mul_f16 v85, v114, v155
	v_add_u32_e32 v90, 0x2088, v150
	v_add_u32_e32 v95, 0x2090, v150
	v_cvt_f32_i32_e32 v84, v84
	v_mov_b32_e32 v94, 0
	v_add_u32_e32 v98, 0x4108, v150
	v_add_u32_e32 v102, 0x4110, v150
	v_fma_mix_f32 v84, v85, v84, v85 op_sel:[0,0,1] op_sel_hi:[1,0,1]
	v_mov_b32_e32 v104, 0
	v_add_f32_e32 v73, v73, v84
	v_add_u32_e32 v84, 0x2080, v150
	ds_read_b32 v156, v152
	ds_read2_b32 v[84:85], v84 offset1:1
	ds_read2_b32 v[90:91], v90 offset1:1
	;; [unrolled: 1-line block ×3, first 2 shown]
	v_add_u32_e32 v95, 0x2098, v150
	ds_read2_b32 v[100:101], v95 offset1:1
	s_waitcnt lgkmcnt(3)
	v_dot4c_i32_i8_e32 v94, v84, v160
	v_dot4c_i32_i8_e32 v94, v85, v164
	s_waitcnt lgkmcnt(2)
	v_dot4c_i32_i8_e32 v94, v90, v161
	v_dot4c_i32_i8_e32 v94, v91, v165
	;; [unrolled: 3-line block ×4, first 2 shown]
	v_pk_mul_f16 v95, v114, v156
	v_add_u32_e32 v105, 0x4118, v150
	v_add_u32_e32 v108, 0x6188, v150
	v_cvt_f32_i32_e32 v94, v94
	v_add_u32_e32 v110, 0x6190, v150
	v_mov_b32_e32 v159, 0
	v_add_u32_e32 v112, 0x6198, v150
	v_fma_mix_f32 v94, v95, v94, v95 op_sel:[0,0,1] op_sel_hi:[1,0,1]
	s_add_i32 s0, s0, 4
	v_add_f32_e32 v71, v71, v94
	v_add_u32_e32 v94, 0x4100, v150
	ds_read_b32 v157, v153
	ds_read2_b32 v[94:95], v94 offset1:1
	ds_read2_b32 v[98:99], v98 offset1:1
	;; [unrolled: 1-line block ×4, first 2 shown]
	s_waitcnt lgkmcnt(4)
	v_pk_mul_f16 v105, v114, v157
	s_waitcnt lgkmcnt(3)
	v_dot4c_i32_i8_e32 v104, v94, v160
	v_dot4c_i32_i8_e32 v104, v95, v164
	s_waitcnt lgkmcnt(2)
	v_dot4c_i32_i8_e32 v104, v98, v161
	v_dot4c_i32_i8_e32 v104, v99, v165
	;; [unrolled: 3-line block ×4, first 2 shown]
	v_add_u32_e32 v153, 4, v153
	v_add_u32_e32 v152, 4, v152
	v_add_u32_e32 v151, 4, v151
	v_cvt_f32_i32_e32 v104, v104
	s_cmp_lt_u32 s0, 12
	v_fma_mix_f32 v104, v105, v104, v105 op_sel:[0,0,1] op_sel_hi:[1,0,1]
	s_nop 0
	v_add_f32_e32 v69, v69, v104
	v_add_u32_e32 v104, 0x6180, v150
	ds_read_b32 v158, v154
	ds_read2_b32 v[104:105], v104 offset1:1
	ds_read2_b32 v[108:109], v108 offset1:1
	;; [unrolled: 1-line block ×4, first 2 shown]
	s_waitcnt lgkmcnt(4)
	v_pk_mul_f16 v114, v114, v158
	s_waitcnt lgkmcnt(3)
	v_dot4c_i32_i8_e32 v159, v104, v160
	v_dot4c_i32_i8_e32 v159, v105, v164
	s_waitcnt lgkmcnt(2)
	v_dot4c_i32_i8_e32 v159, v108, v161
	v_dot4c_i32_i8_e32 v159, v109, v165
	;; [unrolled: 3-line block ×4, first 2 shown]
	ds_read_b128 v[160:163], v149 offset:1024
	ds_read_b128 v[164:167], v149 offset:1040
	v_add_u32_e32 v154, 4, v154
	v_cvt_f32_i32_e32 v159, v159
	v_add_u32_e32 v150, 32, v150
	v_fma_mix_f32 v114, v114, v159, v114 op_sel:[0,0,1] op_sel_hi:[1,0,1]
	s_nop 0
	v_add_f32_e32 v65, v65, v114
	v_mov_b32_e32 v114, 0
	s_waitcnt lgkmcnt(1)
	v_dot4c_i32_i8_e32 v114, v82, v160
	s_waitcnt lgkmcnt(0)
	v_dot4c_i32_i8_e32 v114, v83, v164
	v_dot4c_i32_i8_e32 v114, v86, v161
	;; [unrolled: 1-line block ×7, first 2 shown]
	v_pk_mul_f16 v159, v155, v115
	s_nop 1
	v_cvt_f32_i32_e32 v114, v114
	v_fma_mix_f32 v114, v114, v159, v159 op_sel:[0,0,1] op_sel_hi:[0,1,1]
	v_add_f32_e32 v63, v63, v114
	v_mov_b32_e32 v114, 0
	v_dot4c_i32_i8_e32 v114, v84, v160
	v_dot4c_i32_i8_e32 v114, v85, v164
	;; [unrolled: 1-line block ×8, first 2 shown]
	v_pk_mul_f16 v159, v156, v115
	s_nop 1
	v_cvt_f32_i32_e32 v114, v114
	v_fma_mix_f32 v114, v114, v159, v159 op_sel:[0,0,1] op_sel_hi:[0,1,1]
	v_add_f32_e32 v61, v61, v114
	v_mov_b32_e32 v114, 0
	v_dot4c_i32_i8_e32 v114, v94, v160
	v_dot4c_i32_i8_e32 v114, v95, v164
	;; [unrolled: 1-line block ×8, first 2 shown]
	v_pk_mul_f16 v159, v157, v115
	v_pk_mul_f16 v115, v158, v115
	s_nop 0
	v_cvt_f32_i32_e32 v114, v114
	v_fma_mix_f32 v114, v114, v159, v159 op_sel:[0,0,1] op_sel_hi:[0,1,1]
	v_add_f32_e32 v59, v59, v114
	v_mov_b32_e32 v114, 0
	v_dot4c_i32_i8_e32 v114, v104, v160
	v_dot4c_i32_i8_e32 v114, v105, v164
	;; [unrolled: 1-line block ×8, first 2 shown]
	v_mov_b32_e32 v159, 0
	s_nop 1
	v_cvt_f32_i32_e32 v114, v114
	v_fma_mix_f32 v114, v114, v115, v115 op_sel:[0,0,1] op_sel_hi:[0,1,1]
	v_add_f32_e32 v57, v57, v114
	ds_read_b128 v[160:163], v149 offset:2048
	ds_read_b128 v[164:167], v149 offset:2064
	ds_read2_b32 v[114:115], v148 offset0:64 offset1:96
	s_waitcnt lgkmcnt(2)
	v_dot4c_i32_i8_e32 v159, v82, v160
	s_waitcnt lgkmcnt(1)
	v_dot4c_i32_i8_e32 v159, v83, v164
	v_dot4c_i32_i8_e32 v159, v86, v161
	;; [unrolled: 1-line block ×7, first 2 shown]
	s_waitcnt lgkmcnt(0)
	v_pk_mul_f16 v168, v155, v114
	s_nop 0
	v_cvt_f32_i32_e32 v159, v159
	v_fma_mix_f32 v159, v159, v168, v168 op_sel:[0,0,1] op_sel_hi:[0,1,1]
	v_add_f32_e32 v53, v53, v159
	v_mov_b32_e32 v159, 0
	v_dot4c_i32_i8_e32 v159, v84, v160
	v_dot4c_i32_i8_e32 v159, v85, v164
	;; [unrolled: 1-line block ×8, first 2 shown]
	v_pk_mul_f16 v168, v156, v114
	s_nop 1
	v_cvt_f32_i32_e32 v159, v159
	v_fma_mix_f32 v159, v159, v168, v168 op_sel:[0,0,1] op_sel_hi:[0,1,1]
	v_add_f32_e32 v51, v51, v159
	v_mov_b32_e32 v159, 0
	v_dot4c_i32_i8_e32 v159, v94, v160
	v_dot4c_i32_i8_e32 v159, v95, v164
	;; [unrolled: 1-line block ×8, first 2 shown]
	v_pk_mul_f16 v168, v157, v114
	v_pk_mul_f16 v114, v158, v114
	s_nop 0
	v_cvt_f32_i32_e32 v159, v159
	v_fma_mix_f32 v159, v159, v168, v168 op_sel:[0,0,1] op_sel_hi:[0,1,1]
	v_add_f32_e32 v49, v49, v159
	v_mov_b32_e32 v159, 0
	v_dot4c_i32_i8_e32 v159, v104, v160
	v_dot4c_i32_i8_e32 v159, v105, v164
	;; [unrolled: 1-line block ×8, first 2 shown]
	ds_read_b128 v[160:163], v149 offset:3072
	ds_read_b128 v[164:167], v149 offset:3088
	s_nop 0
	v_cvt_f32_i32_e32 v159, v159
	v_fma_mix_f32 v114, v159, v114, v114 op_sel:[0,0,1] op_sel_hi:[0,1,1]
	v_add_f32_e32 v47, v47, v114
	v_mov_b32_e32 v114, 0
	s_waitcnt lgkmcnt(1)
	v_dot4c_i32_i8_e32 v114, v82, v160
	s_waitcnt lgkmcnt(0)
	v_dot4c_i32_i8_e32 v114, v83, v164
	v_dot4c_i32_i8_e32 v114, v86, v161
	;; [unrolled: 1-line block ×7, first 2 shown]
	v_pk_mul_f16 v159, v155, v115
	s_nop 1
	v_cvt_f32_i32_e32 v114, v114
	v_fma_mix_f32 v114, v114, v159, v159 op_sel:[0,0,1] op_sel_hi:[0,1,1]
	v_add_f32_e32 v43, v43, v114
	v_mov_b32_e32 v114, 0
	v_dot4c_i32_i8_e32 v114, v84, v160
	v_dot4c_i32_i8_e32 v114, v85, v164
	;; [unrolled: 1-line block ×8, first 2 shown]
	v_pk_mul_f16 v159, v156, v115
	s_nop 1
	v_cvt_f32_i32_e32 v114, v114
	v_fma_mix_f32 v114, v114, v159, v159 op_sel:[0,0,1] op_sel_hi:[0,1,1]
	v_add_f32_e32 v39, v39, v114
	v_mov_b32_e32 v114, 0
	v_dot4c_i32_i8_e32 v114, v94, v160
	v_dot4c_i32_i8_e32 v114, v95, v164
	;; [unrolled: 1-line block ×8, first 2 shown]
	v_pk_mul_f16 v159, v157, v115
	v_pk_mul_f16 v115, v158, v115
	s_nop 0
	v_cvt_f32_i32_e32 v114, v114
	v_fma_mix_f32 v114, v114, v159, v159 op_sel:[0,0,1] op_sel_hi:[0,1,1]
	v_add_f32_e32 v37, v37, v114
	v_mov_b32_e32 v114, 0
	v_dot4c_i32_i8_e32 v114, v104, v160
	v_dot4c_i32_i8_e32 v114, v105, v164
	;; [unrolled: 1-line block ×8, first 2 shown]
	v_mov_b32_e32 v159, 0
	s_nop 1
	v_cvt_f32_i32_e32 v114, v114
	v_fma_mix_f32 v114, v114, v115, v115 op_sel:[0,0,1] op_sel_hi:[0,1,1]
	v_add_f32_e32 v35, v35, v114
	ds_read_b128 v[160:163], v149 offset:4096
	ds_read_b128 v[164:167], v149 offset:4112
	ds_read2_b32 v[114:115], v148 offset0:128 offset1:160
	s_waitcnt lgkmcnt(2)
	v_dot4c_i32_i8_e32 v159, v82, v160
	s_waitcnt lgkmcnt(1)
	v_dot4c_i32_i8_e32 v159, v83, v164
	v_dot4c_i32_i8_e32 v159, v86, v161
	;; [unrolled: 1-line block ×7, first 2 shown]
	s_waitcnt lgkmcnt(0)
	v_pk_mul_f16 v168, v155, v114
	s_nop 0
	v_cvt_f32_i32_e32 v159, v159
	v_fma_mix_f32 v159, v159, v168, v168 op_sel:[0,0,1] op_sel_hi:[0,1,1]
	v_add_f32_e32 v33, v33, v159
	v_mov_b32_e32 v159, 0
	v_dot4c_i32_i8_e32 v159, v84, v160
	v_dot4c_i32_i8_e32 v159, v85, v164
	;; [unrolled: 1-line block ×8, first 2 shown]
	v_pk_mul_f16 v168, v156, v114
	s_nop 1
	v_cvt_f32_i32_e32 v159, v159
	v_fma_mix_f32 v159, v159, v168, v168 op_sel:[0,0,1] op_sel_hi:[0,1,1]
	v_add_f32_e32 v31, v31, v159
	v_mov_b32_e32 v159, 0
	v_dot4c_i32_i8_e32 v159, v94, v160
	v_dot4c_i32_i8_e32 v159, v95, v164
	;; [unrolled: 1-line block ×8, first 2 shown]
	v_pk_mul_f16 v168, v157, v114
	v_pk_mul_f16 v114, v158, v114
	s_nop 0
	v_cvt_f32_i32_e32 v159, v159
	v_fma_mix_f32 v159, v159, v168, v168 op_sel:[0,0,1] op_sel_hi:[0,1,1]
	v_add_f32_e32 v29, v29, v159
	v_mov_b32_e32 v159, 0
	v_dot4c_i32_i8_e32 v159, v104, v160
	v_dot4c_i32_i8_e32 v159, v105, v164
	;; [unrolled: 1-line block ×8, first 2 shown]
	ds_read_b128 v[160:163], v149 offset:5120
	ds_read_b128 v[164:167], v149 offset:5136
	s_nop 0
	v_cvt_f32_i32_e32 v159, v159
	v_fma_mix_f32 v114, v159, v114, v114 op_sel:[0,0,1] op_sel_hi:[0,1,1]
	v_add_f32_e32 v27, v27, v114
	v_mov_b32_e32 v114, 0
	s_waitcnt lgkmcnt(1)
	v_dot4c_i32_i8_e32 v114, v82, v160
	s_waitcnt lgkmcnt(0)
	v_dot4c_i32_i8_e32 v114, v83, v164
	v_dot4c_i32_i8_e32 v114, v86, v161
	;; [unrolled: 1-line block ×7, first 2 shown]
	v_pk_mul_f16 v159, v155, v115
	s_nop 1
	v_cvt_f32_i32_e32 v114, v114
	v_fma_mix_f32 v114, v114, v159, v159 op_sel:[0,0,1] op_sel_hi:[0,1,1]
	v_add_f32_e32 v25, v25, v114
	v_mov_b32_e32 v114, 0
	v_dot4c_i32_i8_e32 v114, v84, v160
	v_dot4c_i32_i8_e32 v114, v85, v164
	;; [unrolled: 1-line block ×8, first 2 shown]
	v_pk_mul_f16 v159, v156, v115
	s_nop 1
	v_cvt_f32_i32_e32 v114, v114
	v_fma_mix_f32 v114, v114, v159, v159 op_sel:[0,0,1] op_sel_hi:[0,1,1]
	v_add_f32_e32 v23, v23, v114
	v_mov_b32_e32 v114, 0
	v_dot4c_i32_i8_e32 v114, v94, v160
	v_dot4c_i32_i8_e32 v114, v95, v164
	;; [unrolled: 1-line block ×8, first 2 shown]
	v_pk_mul_f16 v159, v157, v115
	v_pk_mul_f16 v115, v158, v115
	s_nop 0
	v_cvt_f32_i32_e32 v114, v114
	v_fma_mix_f32 v114, v114, v159, v159 op_sel:[0,0,1] op_sel_hi:[0,1,1]
	v_add_f32_e32 v21, v21, v114
	v_mov_b32_e32 v114, 0
	v_dot4c_i32_i8_e32 v114, v104, v160
	v_dot4c_i32_i8_e32 v114, v105, v164
	;; [unrolled: 1-line block ×8, first 2 shown]
	v_mov_b32_e32 v159, 0
	s_nop 1
	v_cvt_f32_i32_e32 v114, v114
	v_fma_mix_f32 v114, v114, v115, v115 op_sel:[0,0,1] op_sel_hi:[0,1,1]
	v_add_f32_e32 v19, v19, v114
	ds_read_b128 v[160:163], v149 offset:6144
	ds_read_b128 v[164:167], v149 offset:6160
	ds_read2_b32 v[114:115], v148 offset0:192 offset1:224
	v_add_u32_e32 v148, 4, v148
	s_waitcnt lgkmcnt(2)
	v_dot4c_i32_i8_e32 v159, v82, v160
	s_waitcnt lgkmcnt(1)
	v_dot4c_i32_i8_e32 v159, v83, v164
	v_dot4c_i32_i8_e32 v159, v86, v161
	;; [unrolled: 1-line block ×7, first 2 shown]
	s_waitcnt lgkmcnt(0)
	v_pk_mul_f16 v168, v155, v114
	s_nop 0
	v_cvt_f32_i32_e32 v159, v159
	v_fma_mix_f32 v159, v159, v168, v168 op_sel:[0,0,1] op_sel_hi:[0,1,1]
	v_add_f32_e32 v17, v17, v159
	v_mov_b32_e32 v159, 0
	v_dot4c_i32_i8_e32 v159, v84, v160
	v_dot4c_i32_i8_e32 v159, v85, v164
	;; [unrolled: 1-line block ×8, first 2 shown]
	v_pk_mul_f16 v168, v156, v114
	s_nop 1
	v_cvt_f32_i32_e32 v159, v159
	v_fma_mix_f32 v159, v159, v168, v168 op_sel:[0,0,1] op_sel_hi:[0,1,1]
	v_add_f32_e32 v15, v15, v159
	v_mov_b32_e32 v159, 0
	v_dot4c_i32_i8_e32 v159, v94, v160
	v_dot4c_i32_i8_e32 v159, v95, v164
	;; [unrolled: 1-line block ×8, first 2 shown]
	v_pk_mul_f16 v168, v157, v114
	v_pk_mul_f16 v114, v158, v114
	s_nop 0
	v_cvt_f32_i32_e32 v159, v159
	v_fma_mix_f32 v159, v159, v168, v168 op_sel:[0,0,1] op_sel_hi:[0,1,1]
	v_add_f32_e32 v13, v13, v159
	v_mov_b32_e32 v159, 0
	v_dot4c_i32_i8_e32 v159, v104, v160
	v_dot4c_i32_i8_e32 v159, v105, v164
	;; [unrolled: 1-line block ×8, first 2 shown]
	ds_read_b128 v[160:163], v149 offset:7168
	ds_read_b128 v[164:167], v149 offset:7184
	v_add_u32_e32 v149, 32, v149
	v_cvt_f32_i32_e32 v159, v159
	v_fma_mix_f32 v114, v159, v114, v114 op_sel:[0,0,1] op_sel_hi:[0,1,1]
	v_add_f32_e32 v11, v11, v114
	v_mov_b32_e32 v114, 0
	s_waitcnt lgkmcnt(1)
	v_dot4c_i32_i8_e32 v114, v82, v160
	s_waitcnt lgkmcnt(0)
	v_dot4c_i32_i8_e32 v114, v83, v164
	v_dot4c_i32_i8_e32 v114, v86, v161
	v_dot4c_i32_i8_e32 v114, v87, v165
	v_dot4c_i32_i8_e32 v114, v88, v162
	v_dot4c_i32_i8_e32 v114, v89, v166
	v_dot4c_i32_i8_e32 v114, v92, v163
	v_dot4c_i32_i8_e32 v114, v93, v167
	v_pk_mul_f16 v82, v155, v115
	s_nop 1
	v_cvt_f32_i32_e32 v83, v114
	v_fma_mix_f32 v82, v83, v82, v82 op_sel:[0,0,1] op_sel_hi:[0,1,1]
	v_add_f32_e32 v9, v9, v82
	v_mov_b32_e32 v82, 0
	v_dot4c_i32_i8_e32 v82, v84, v160
	v_dot4c_i32_i8_e32 v82, v85, v164
	v_dot4c_i32_i8_e32 v82, v90, v161
	v_dot4c_i32_i8_e32 v82, v91, v165
	v_dot4c_i32_i8_e32 v82, v96, v162
	v_dot4c_i32_i8_e32 v82, v97, v166
	v_dot4c_i32_i8_e32 v82, v100, v163
	v_dot4c_i32_i8_e32 v82, v101, v167
	v_pk_mul_f16 v83, v156, v115
	s_nop 1
	v_cvt_f32_i32_e32 v82, v82
	v_fma_mix_f32 v82, v82, v83, v83 op_sel:[0,0,1] op_sel_hi:[0,1,1]
	v_add_f32_e32 v7, v7, v82
	v_mov_b32_e32 v82, 0
	v_dot4c_i32_i8_e32 v82, v94, v160
	;; [unrolled: 14-line block ×3, first 2 shown]
	v_dot4c_i32_i8_e32 v82, v105, v164
	v_dot4c_i32_i8_e32 v82, v108, v161
	v_dot4c_i32_i8_e32 v82, v109, v165
	v_dot4c_i32_i8_e32 v82, v110, v162
	v_dot4c_i32_i8_e32 v82, v111, v166
	v_dot4c_i32_i8_e32 v82, v112, v163
	v_dot4c_i32_i8_e32 v82, v113, v167
	v_pk_mul_f16 v83, v158, v115
	s_nop 1
	v_cvt_f32_i32_e32 v82, v82
	v_fma_mix_f32 v82, v82, v83, v83 op_sel:[0,0,1] op_sel_hi:[0,1,1]
	v_add_f32_e32 v1, v1, v82
	s_cbranch_scc1 .LBB144_7
; %bb.8:                                ;   in Loop: Header=BB144_6 Depth=1
	s_or_b32 s0, s8, 4
	s_cmp_ge_i32 s0, s4
	s_barrier
	s_cbranch_scc1 .LBB144_5
; %bb.9:                                ;   in Loop: Header=BB144_6 Depth=1
	v_add_u32_e32 v96, s8, v131
	v_add_u32_e32 v82, v96, v77
	;; [unrolled: 1-line block ×6, first 2 shown]
	v_mad_i64_i32 v[82:83], s[0:1], v82, 36, v[78:79]
	v_mad_i64_i32 v[84:85], s[0:1], v84, 36, v[78:79]
	;; [unrolled: 1-line block ×5, first 2 shown]
	v_add_u32_e32 v92, v96, v124
	v_add_u32_e32 v94, v96, v126
	;; [unrolled: 1-line block ×3, first 2 shown]
	v_mad_i64_i32 v[92:93], s[0:1], v92, 36, v[78:79]
	v_mad_i64_i32 v[94:95], s[0:1], v94, 36, v[78:79]
	;; [unrolled: 1-line block ×3, first 2 shown]
	global_load_dword v98, v[82:83], off offset:4
	s_nop 0
	global_load_dword v84, v[84:85], off offset:4
	s_nop 0
	global_load_dword v85, v[86:87], off offset:4
	s_nop 0
	global_load_dword v86, v[88:89], off offset:4
	global_load_dword v87, v[90:91], off offset:4
	s_nop 0
	global_load_dword v88, v[92:93], off offset:4
                                        ; kill: killed $vgpr92_vgpr93
                                        ; kill: killed $vgpr90_vgpr91
	global_load_dword v89, v[94:95], off offset:4
	global_load_dword v90, v[96:97], off offset:4
	v_add_u32_e32 v82, 4, v147
	v_mad_u64_u32 v[82:83], s[0:1], v82, 36, s[2:3]
	global_load_dword v82, v[82:83], off
	s_mov_b32 s0, 12
	v_mov_b32_e32 v147, v137
	v_mov_b32_e32 v148, v136
	;; [unrolled: 1-line block ×7, first 2 shown]
	s_waitcnt vmcnt(8)
	ds_write_b32 v81, v98
	s_waitcnt vmcnt(7)
	ds_write_b32 v117, v84
	s_waitcnt vmcnt(6)
	ds_write_b32 v119, v85
	s_waitcnt vmcnt(5)
	ds_write_b32 v121, v86
	s_waitcnt vmcnt(4)
	ds_write_b32 v123, v87
	s_waitcnt vmcnt(3)
	ds_write_b32 v125, v88
	s_waitcnt vmcnt(2)
	ds_write_b32 v127, v89
	s_waitcnt vmcnt(1)
	ds_write_b32 v129, v90
	s_waitcnt vmcnt(0)
	ds_write_b32 v75, v82
	s_waitcnt lgkmcnt(0)
	s_barrier
.LBB144_10:                             ;   Parent Loop BB144_6 Depth=1
                                        ; =>  This Inner Loop Header: Depth=2
	ds_read_b128 v[158:161], v148
	ds_read_b128 v[162:165], v148 offset:16
	ds_read2_b32 v[114:115], v147 offset1:32
	ds_read_b32 v154, v150
	ds_read2_b32 v[82:83], v149 offset1:1
	ds_read2_b32 v[86:87], v149 offset0:2 offset1:3
	ds_read2_b32 v[88:89], v149 offset0:4 offset1:5
	;; [unrolled: 1-line block ×3, first 2 shown]
	v_mov_b32_e32 v84, 0
	s_waitcnt lgkmcnt(3)
	v_dot4c_i32_i8_e32 v84, v82, v158
	v_dot4c_i32_i8_e32 v84, v83, v162
	s_waitcnt lgkmcnt(2)
	v_dot4c_i32_i8_e32 v84, v86, v159
	v_dot4c_i32_i8_e32 v84, v87, v163
	;; [unrolled: 3-line block ×4, first 2 shown]
	v_pk_mul_f16 v85, v114, v154
	v_add_u32_e32 v90, 0x2088, v149
	v_add_u32_e32 v95, 0x2090, v149
	v_cvt_f32_i32_e32 v84, v84
	v_mov_b32_e32 v94, 0
	v_add_u32_e32 v98, 0x4108, v149
	v_add_u32_e32 v102, 0x4110, v149
	v_fma_mix_f32 v84, v85, v84, v85 op_sel:[0,0,1] op_sel_hi:[1,0,1]
	v_mov_b32_e32 v104, 0
	v_add_f32_e32 v73, v73, v84
	v_add_u32_e32 v84, 0x2080, v149
	ds_read_b32 v155, v151
	ds_read2_b32 v[84:85], v84 offset1:1
	ds_read2_b32 v[90:91], v90 offset1:1
	ds_read2_b32 v[96:97], v95 offset1:1
	v_add_u32_e32 v95, 0x2098, v149
	ds_read2_b32 v[100:101], v95 offset1:1
	s_waitcnt lgkmcnt(3)
	v_dot4c_i32_i8_e32 v94, v84, v158
	v_dot4c_i32_i8_e32 v94, v85, v162
	s_waitcnt lgkmcnt(2)
	v_dot4c_i32_i8_e32 v94, v90, v159
	v_dot4c_i32_i8_e32 v94, v91, v163
	;; [unrolled: 3-line block ×4, first 2 shown]
	v_pk_mul_f16 v95, v114, v155
	v_add_u32_e32 v105, 0x4118, v149
	v_add_u32_e32 v108, 0x6188, v149
	v_cvt_f32_i32_e32 v94, v94
	v_add_u32_e32 v110, 0x6190, v149
	v_mov_b32_e32 v166, 0
	v_add_u32_e32 v112, 0x6198, v149
	v_fma_mix_f32 v94, v95, v94, v95 op_sel:[0,0,1] op_sel_hi:[1,0,1]
	s_add_i32 s0, s0, 4
	v_add_f32_e32 v71, v71, v94
	v_add_u32_e32 v94, 0x4100, v149
	ds_read_b32 v156, v152
	ds_read2_b32 v[94:95], v94 offset1:1
	ds_read2_b32 v[98:99], v98 offset1:1
	;; [unrolled: 1-line block ×4, first 2 shown]
	s_waitcnt lgkmcnt(4)
	v_pk_mul_f16 v105, v114, v156
	s_waitcnt lgkmcnt(3)
	v_dot4c_i32_i8_e32 v104, v94, v158
	v_dot4c_i32_i8_e32 v104, v95, v162
	s_waitcnt lgkmcnt(2)
	v_dot4c_i32_i8_e32 v104, v98, v159
	v_dot4c_i32_i8_e32 v104, v99, v163
	s_waitcnt lgkmcnt(1)
	v_dot4c_i32_i8_e32 v104, v102, v160
	v_dot4c_i32_i8_e32 v104, v103, v164
	s_waitcnt lgkmcnt(0)
	v_dot4c_i32_i8_e32 v104, v106, v161
	v_dot4c_i32_i8_e32 v104, v107, v165
	v_add_u32_e32 v152, 4, v152
	v_add_u32_e32 v151, 4, v151
	;; [unrolled: 1-line block ×3, first 2 shown]
	v_cvt_f32_i32_e32 v104, v104
	s_cmp_lt_u32 s0, 28
	v_fma_mix_f32 v104, v105, v104, v105 op_sel:[0,0,1] op_sel_hi:[1,0,1]
	s_nop 0
	v_add_f32_e32 v69, v69, v104
	v_add_u32_e32 v104, 0x6180, v149
	ds_read_b32 v157, v153
	ds_read2_b32 v[104:105], v104 offset1:1
	ds_read2_b32 v[108:109], v108 offset1:1
	;; [unrolled: 1-line block ×4, first 2 shown]
	s_waitcnt lgkmcnt(4)
	v_pk_mul_f16 v114, v114, v157
	s_waitcnt lgkmcnt(3)
	v_dot4c_i32_i8_e32 v166, v104, v158
	v_dot4c_i32_i8_e32 v166, v105, v162
	s_waitcnt lgkmcnt(2)
	v_dot4c_i32_i8_e32 v166, v108, v159
	v_dot4c_i32_i8_e32 v166, v109, v163
	;; [unrolled: 3-line block ×4, first 2 shown]
	v_add_u32_e32 v153, 4, v153
	v_add_u32_e32 v149, 32, v149
	s_nop 0
	v_cvt_f32_i32_e32 v158, v166
	v_pk_mul_f16 v166, v154, v115
	v_fma_mix_f32 v114, v114, v158, v114 op_sel:[0,0,1] op_sel_hi:[1,0,1]
	ds_read_b128 v[158:161], v148 offset:1024
	ds_read_b128 v[162:165], v148 offset:1040
	v_add_f32_e32 v65, v65, v114
	v_mov_b32_e32 v114, 0
	s_waitcnt lgkmcnt(1)
	v_dot4c_i32_i8_e32 v114, v82, v158
	s_waitcnt lgkmcnt(0)
	v_dot4c_i32_i8_e32 v114, v83, v162
	v_dot4c_i32_i8_e32 v114, v86, v159
	;; [unrolled: 1-line block ×7, first 2 shown]
	s_nop 2
	v_cvt_f32_i32_e32 v114, v114
	v_fma_mix_f32 v114, v114, v166, v166 op_sel:[0,0,1] op_sel_hi:[0,1,1]
	v_add_f32_e32 v63, v63, v114
	v_mov_b32_e32 v114, 0
	v_dot4c_i32_i8_e32 v114, v84, v158
	v_dot4c_i32_i8_e32 v114, v85, v162
	;; [unrolled: 1-line block ×8, first 2 shown]
	v_pk_mul_f16 v166, v155, v115
	s_nop 1
	v_cvt_f32_i32_e32 v114, v114
	v_fma_mix_f32 v114, v114, v166, v166 op_sel:[0,0,1] op_sel_hi:[0,1,1]
	v_add_f32_e32 v61, v61, v114
	v_mov_b32_e32 v114, 0
	v_dot4c_i32_i8_e32 v114, v94, v158
	v_dot4c_i32_i8_e32 v114, v95, v162
	;; [unrolled: 1-line block ×8, first 2 shown]
	v_pk_mul_f16 v166, v156, v115
	v_pk_mul_f16 v115, v157, v115
	s_nop 0
	v_cvt_f32_i32_e32 v114, v114
	v_fma_mix_f32 v114, v114, v166, v166 op_sel:[0,0,1] op_sel_hi:[0,1,1]
	v_add_f32_e32 v59, v59, v114
	v_mov_b32_e32 v114, 0
	v_dot4c_i32_i8_e32 v114, v104, v158
	v_dot4c_i32_i8_e32 v114, v105, v162
	;; [unrolled: 1-line block ×8, first 2 shown]
	v_mov_b32_e32 v166, 0
	s_nop 1
	v_cvt_f32_i32_e32 v114, v114
	v_fma_mix_f32 v114, v114, v115, v115 op_sel:[0,0,1] op_sel_hi:[0,1,1]
	v_add_f32_e32 v57, v57, v114
	ds_read_b128 v[158:161], v148 offset:2048
	ds_read_b128 v[162:165], v148 offset:2064
	ds_read2_b32 v[114:115], v147 offset0:64 offset1:96
	s_waitcnt lgkmcnt(2)
	v_dot4c_i32_i8_e32 v166, v82, v158
	s_waitcnt lgkmcnt(1)
	v_dot4c_i32_i8_e32 v166, v83, v162
	v_dot4c_i32_i8_e32 v166, v86, v159
	;; [unrolled: 1-line block ×7, first 2 shown]
	s_waitcnt lgkmcnt(0)
	v_pk_mul_f16 v167, v154, v114
	s_nop 0
	v_cvt_f32_i32_e32 v166, v166
	v_fma_mix_f32 v166, v166, v167, v167 op_sel:[0,0,1] op_sel_hi:[0,1,1]
	v_add_f32_e32 v53, v53, v166
	v_mov_b32_e32 v166, 0
	v_dot4c_i32_i8_e32 v166, v84, v158
	v_dot4c_i32_i8_e32 v166, v85, v162
	;; [unrolled: 1-line block ×8, first 2 shown]
	v_pk_mul_f16 v167, v155, v114
	s_nop 1
	v_cvt_f32_i32_e32 v166, v166
	v_fma_mix_f32 v166, v166, v167, v167 op_sel:[0,0,1] op_sel_hi:[0,1,1]
	v_add_f32_e32 v51, v51, v166
	v_mov_b32_e32 v166, 0
	v_dot4c_i32_i8_e32 v166, v94, v158
	v_dot4c_i32_i8_e32 v166, v95, v162
	;; [unrolled: 1-line block ×8, first 2 shown]
	v_pk_mul_f16 v167, v156, v114
	v_pk_mul_f16 v114, v157, v114
	s_nop 0
	v_cvt_f32_i32_e32 v166, v166
	v_fma_mix_f32 v166, v166, v167, v167 op_sel:[0,0,1] op_sel_hi:[0,1,1]
	v_add_f32_e32 v49, v49, v166
	v_mov_b32_e32 v166, 0
	v_dot4c_i32_i8_e32 v166, v104, v158
	v_dot4c_i32_i8_e32 v166, v105, v162
	;; [unrolled: 1-line block ×8, first 2 shown]
	s_nop 2
	v_cvt_f32_i32_e32 v158, v166
	v_pk_mul_f16 v166, v154, v115
	v_fma_mix_f32 v114, v158, v114, v114 op_sel:[0,0,1] op_sel_hi:[0,1,1]
	ds_read_b128 v[158:161], v148 offset:3072
	ds_read_b128 v[162:165], v148 offset:3088
	v_add_f32_e32 v47, v47, v114
	v_mov_b32_e32 v114, 0
	s_waitcnt lgkmcnt(1)
	v_dot4c_i32_i8_e32 v114, v82, v158
	s_waitcnt lgkmcnt(0)
	v_dot4c_i32_i8_e32 v114, v83, v162
	v_dot4c_i32_i8_e32 v114, v86, v159
	;; [unrolled: 1-line block ×7, first 2 shown]
	s_nop 2
	v_cvt_f32_i32_e32 v114, v114
	v_fma_mix_f32 v114, v114, v166, v166 op_sel:[0,0,1] op_sel_hi:[0,1,1]
	v_add_f32_e32 v43, v43, v114
	v_mov_b32_e32 v114, 0
	v_dot4c_i32_i8_e32 v114, v84, v158
	v_dot4c_i32_i8_e32 v114, v85, v162
	;; [unrolled: 1-line block ×8, first 2 shown]
	v_pk_mul_f16 v166, v155, v115
	s_nop 1
	v_cvt_f32_i32_e32 v114, v114
	v_fma_mix_f32 v114, v114, v166, v166 op_sel:[0,0,1] op_sel_hi:[0,1,1]
	v_add_f32_e32 v39, v39, v114
	v_mov_b32_e32 v114, 0
	v_dot4c_i32_i8_e32 v114, v94, v158
	v_dot4c_i32_i8_e32 v114, v95, v162
	;; [unrolled: 1-line block ×8, first 2 shown]
	v_pk_mul_f16 v166, v156, v115
	v_pk_mul_f16 v115, v157, v115
	s_nop 0
	v_cvt_f32_i32_e32 v114, v114
	v_fma_mix_f32 v114, v114, v166, v166 op_sel:[0,0,1] op_sel_hi:[0,1,1]
	v_add_f32_e32 v37, v37, v114
	v_mov_b32_e32 v114, 0
	v_dot4c_i32_i8_e32 v114, v104, v158
	v_dot4c_i32_i8_e32 v114, v105, v162
	;; [unrolled: 1-line block ×8, first 2 shown]
	v_mov_b32_e32 v166, 0
	s_nop 1
	v_cvt_f32_i32_e32 v114, v114
	v_fma_mix_f32 v114, v114, v115, v115 op_sel:[0,0,1] op_sel_hi:[0,1,1]
	v_add_f32_e32 v35, v35, v114
	ds_read_b128 v[158:161], v148 offset:4096
	ds_read_b128 v[162:165], v148 offset:4112
	ds_read2_b32 v[114:115], v147 offset0:128 offset1:160
	s_waitcnt lgkmcnt(2)
	v_dot4c_i32_i8_e32 v166, v82, v158
	s_waitcnt lgkmcnt(1)
	v_dot4c_i32_i8_e32 v166, v83, v162
	v_dot4c_i32_i8_e32 v166, v86, v159
	;; [unrolled: 1-line block ×7, first 2 shown]
	s_waitcnt lgkmcnt(0)
	v_pk_mul_f16 v167, v154, v114
	s_nop 0
	v_cvt_f32_i32_e32 v166, v166
	v_fma_mix_f32 v166, v166, v167, v167 op_sel:[0,0,1] op_sel_hi:[0,1,1]
	v_add_f32_e32 v33, v33, v166
	v_mov_b32_e32 v166, 0
	v_dot4c_i32_i8_e32 v166, v84, v158
	v_dot4c_i32_i8_e32 v166, v85, v162
	v_dot4c_i32_i8_e32 v166, v90, v159
	v_dot4c_i32_i8_e32 v166, v91, v163
	v_dot4c_i32_i8_e32 v166, v96, v160
	v_dot4c_i32_i8_e32 v166, v97, v164
	v_dot4c_i32_i8_e32 v166, v100, v161
	v_dot4c_i32_i8_e32 v166, v101, v165
	v_pk_mul_f16 v167, v155, v114
	s_nop 1
	v_cvt_f32_i32_e32 v166, v166
	v_fma_mix_f32 v166, v166, v167, v167 op_sel:[0,0,1] op_sel_hi:[0,1,1]
	v_add_f32_e32 v31, v31, v166
	v_mov_b32_e32 v166, 0
	v_dot4c_i32_i8_e32 v166, v94, v158
	v_dot4c_i32_i8_e32 v166, v95, v162
	;; [unrolled: 1-line block ×8, first 2 shown]
	v_pk_mul_f16 v167, v156, v114
	v_pk_mul_f16 v114, v157, v114
	s_nop 0
	v_cvt_f32_i32_e32 v166, v166
	v_fma_mix_f32 v166, v166, v167, v167 op_sel:[0,0,1] op_sel_hi:[0,1,1]
	v_add_f32_e32 v29, v29, v166
	v_mov_b32_e32 v166, 0
	v_dot4c_i32_i8_e32 v166, v104, v158
	v_dot4c_i32_i8_e32 v166, v105, v162
	;; [unrolled: 1-line block ×8, first 2 shown]
	s_nop 2
	v_cvt_f32_i32_e32 v158, v166
	v_pk_mul_f16 v166, v154, v115
	v_fma_mix_f32 v114, v158, v114, v114 op_sel:[0,0,1] op_sel_hi:[0,1,1]
	ds_read_b128 v[158:161], v148 offset:5120
	ds_read_b128 v[162:165], v148 offset:5136
	v_add_f32_e32 v27, v27, v114
	v_mov_b32_e32 v114, 0
	s_waitcnt lgkmcnt(1)
	v_dot4c_i32_i8_e32 v114, v82, v158
	s_waitcnt lgkmcnt(0)
	v_dot4c_i32_i8_e32 v114, v83, v162
	v_dot4c_i32_i8_e32 v114, v86, v159
	v_dot4c_i32_i8_e32 v114, v87, v163
	v_dot4c_i32_i8_e32 v114, v88, v160
	v_dot4c_i32_i8_e32 v114, v89, v164
	v_dot4c_i32_i8_e32 v114, v92, v161
	v_dot4c_i32_i8_e32 v114, v93, v165
	s_nop 2
	v_cvt_f32_i32_e32 v114, v114
	v_fma_mix_f32 v114, v114, v166, v166 op_sel:[0,0,1] op_sel_hi:[0,1,1]
	v_add_f32_e32 v25, v25, v114
	v_mov_b32_e32 v114, 0
	v_dot4c_i32_i8_e32 v114, v84, v158
	v_dot4c_i32_i8_e32 v114, v85, v162
	;; [unrolled: 1-line block ×8, first 2 shown]
	v_pk_mul_f16 v166, v155, v115
	s_nop 1
	v_cvt_f32_i32_e32 v114, v114
	v_fma_mix_f32 v114, v114, v166, v166 op_sel:[0,0,1] op_sel_hi:[0,1,1]
	v_add_f32_e32 v23, v23, v114
	v_mov_b32_e32 v114, 0
	v_dot4c_i32_i8_e32 v114, v94, v158
	v_dot4c_i32_i8_e32 v114, v95, v162
	;; [unrolled: 1-line block ×8, first 2 shown]
	v_pk_mul_f16 v166, v156, v115
	v_pk_mul_f16 v115, v157, v115
	s_nop 0
	v_cvt_f32_i32_e32 v114, v114
	v_fma_mix_f32 v114, v114, v166, v166 op_sel:[0,0,1] op_sel_hi:[0,1,1]
	v_add_f32_e32 v21, v21, v114
	v_mov_b32_e32 v114, 0
	v_dot4c_i32_i8_e32 v114, v104, v158
	v_dot4c_i32_i8_e32 v114, v105, v162
	;; [unrolled: 1-line block ×8, first 2 shown]
	v_mov_b32_e32 v166, 0
	s_nop 1
	v_cvt_f32_i32_e32 v114, v114
	v_fma_mix_f32 v114, v114, v115, v115 op_sel:[0,0,1] op_sel_hi:[0,1,1]
	v_add_f32_e32 v19, v19, v114
	ds_read_b128 v[158:161], v148 offset:6144
	ds_read_b128 v[162:165], v148 offset:6160
	ds_read2_b32 v[114:115], v147 offset0:192 offset1:224
	v_add_u32_e32 v147, 4, v147
	s_waitcnt lgkmcnt(2)
	v_dot4c_i32_i8_e32 v166, v82, v158
	s_waitcnt lgkmcnt(1)
	v_dot4c_i32_i8_e32 v166, v83, v162
	v_dot4c_i32_i8_e32 v166, v86, v159
	;; [unrolled: 1-line block ×7, first 2 shown]
	s_waitcnt lgkmcnt(0)
	v_pk_mul_f16 v167, v154, v114
	s_nop 0
	v_cvt_f32_i32_e32 v166, v166
	v_fma_mix_f32 v166, v166, v167, v167 op_sel:[0,0,1] op_sel_hi:[0,1,1]
	v_add_f32_e32 v17, v17, v166
	v_mov_b32_e32 v166, 0
	v_dot4c_i32_i8_e32 v166, v84, v158
	v_dot4c_i32_i8_e32 v166, v85, v162
	;; [unrolled: 1-line block ×8, first 2 shown]
	v_pk_mul_f16 v167, v155, v114
	s_nop 1
	v_cvt_f32_i32_e32 v166, v166
	v_fma_mix_f32 v166, v166, v167, v167 op_sel:[0,0,1] op_sel_hi:[0,1,1]
	v_add_f32_e32 v15, v15, v166
	v_mov_b32_e32 v166, 0
	v_dot4c_i32_i8_e32 v166, v94, v158
	v_dot4c_i32_i8_e32 v166, v95, v162
	;; [unrolled: 1-line block ×8, first 2 shown]
	v_pk_mul_f16 v167, v156, v114
	v_pk_mul_f16 v114, v157, v114
	s_nop 0
	v_cvt_f32_i32_e32 v166, v166
	v_fma_mix_f32 v166, v166, v167, v167 op_sel:[0,0,1] op_sel_hi:[0,1,1]
	v_add_f32_e32 v13, v13, v166
	v_mov_b32_e32 v166, 0
	v_dot4c_i32_i8_e32 v166, v104, v158
	v_dot4c_i32_i8_e32 v166, v105, v162
	;; [unrolled: 1-line block ×8, first 2 shown]
	s_nop 2
	v_cvt_f32_i32_e32 v158, v166
	v_fma_mix_f32 v114, v158, v114, v114 op_sel:[0,0,1] op_sel_hi:[0,1,1]
	ds_read_b128 v[158:161], v148 offset:7168
	ds_read_b128 v[162:165], v148 offset:7184
	v_add_f32_e32 v11, v11, v114
	v_mov_b32_e32 v114, 0
	v_add_u32_e32 v148, 32, v148
	s_waitcnt lgkmcnt(1)
	v_dot4c_i32_i8_e32 v114, v82, v158
	s_waitcnt lgkmcnt(0)
	v_dot4c_i32_i8_e32 v114, v83, v162
	v_dot4c_i32_i8_e32 v114, v86, v159
	v_dot4c_i32_i8_e32 v114, v87, v163
	v_dot4c_i32_i8_e32 v114, v88, v160
	v_dot4c_i32_i8_e32 v114, v89, v164
	v_dot4c_i32_i8_e32 v114, v92, v161
	v_dot4c_i32_i8_e32 v114, v93, v165
	v_pk_mul_f16 v82, v154, v115
	s_nop 1
	v_cvt_f32_i32_e32 v83, v114
	v_fma_mix_f32 v82, v83, v82, v82 op_sel:[0,0,1] op_sel_hi:[0,1,1]
	v_add_f32_e32 v9, v9, v82
	v_mov_b32_e32 v82, 0
	v_dot4c_i32_i8_e32 v82, v84, v158
	v_dot4c_i32_i8_e32 v82, v85, v162
	v_dot4c_i32_i8_e32 v82, v90, v159
	v_dot4c_i32_i8_e32 v82, v91, v163
	v_dot4c_i32_i8_e32 v82, v96, v160
	v_dot4c_i32_i8_e32 v82, v97, v164
	v_dot4c_i32_i8_e32 v82, v100, v161
	v_dot4c_i32_i8_e32 v82, v101, v165
	v_pk_mul_f16 v83, v155, v115
	s_nop 1
	v_cvt_f32_i32_e32 v82, v82
	v_fma_mix_f32 v82, v82, v83, v83 op_sel:[0,0,1] op_sel_hi:[0,1,1]
	v_add_f32_e32 v7, v7, v82
	v_mov_b32_e32 v82, 0
	v_dot4c_i32_i8_e32 v82, v94, v158
	;; [unrolled: 14-line block ×3, first 2 shown]
	v_dot4c_i32_i8_e32 v82, v105, v162
	v_dot4c_i32_i8_e32 v82, v108, v159
	;; [unrolled: 1-line block ×7, first 2 shown]
	v_pk_mul_f16 v83, v157, v115
	s_nop 1
	v_cvt_f32_i32_e32 v82, v82
	v_fma_mix_f32 v82, v82, v83, v83 op_sel:[0,0,1] op_sel_hi:[0,1,1]
	v_add_f32_e32 v1, v1, v82
	s_cbranch_scc1 .LBB144_10
; %bb.11:                               ;   in Loop: Header=BB144_6 Depth=1
	s_barrier
	s_branch .LBB144_5
.LBB144_12:
	v_mov_b32_e32 v2, v45
.LBB144_13:
	v_cmp_gt_u32_e32 vcc, s10, v55
	s_and_saveexec_b64 s[0:1], vcc
	s_cbranch_execz .LBB144_64
; %bb.14:
	v_add_u32_e32 v0, s6, v41
	v_mul_lo_u32 v8, v55, s14
	v_cmp_gt_u32_e32 vcc, s14, v0
	s_and_saveexec_b64 s[0:1], vcc
	s_cbranch_execz .LBB144_16
; %bb.15:
	v_cvt_f16_f32_e32 v3, v73
	v_add_u32_e32 v40, v0, v8
	v_mov_b32_e32 v41, 0
	s_waitcnt lgkmcnt(0)
	v_lshl_add_u64 v[40:41], v[40:41], 1, s[12:13]
	global_store_short v[40:41], v3, off
.LBB144_16:
	s_or_b64 exec, exec, s[0:1]
	v_add_u32_e32 v3, 32, v0
	v_cmp_gt_u32_e64 s[0:1], s14, v3
	s_and_saveexec_b64 s[2:3], s[0:1]
	s_cbranch_execz .LBB144_18
; %bb.17:
	v_cvt_f16_f32_e32 v4, v71
	v_add_u32_e32 v40, v3, v8
	v_mov_b32_e32 v41, 0
	s_waitcnt lgkmcnt(0)
	v_lshl_add_u64 v[40:41], v[40:41], 1, s[12:13]
	global_store_short v[40:41], v4, off
.LBB144_18:
	s_or_b64 exec, exec, s[2:3]
	v_add_u32_e32 v4, 64, v0
	v_cmp_gt_u32_e64 s[2:3], s14, v4
	s_and_saveexec_b64 s[4:5], s[2:3]
	;; [unrolled: 13-line block ×3, first 2 shown]
	s_cbranch_execz .LBB144_22
; %bb.21:
	v_cvt_f16_f32_e32 v10, v65
	v_add_u32_e32 v40, v6, v8
	v_mov_b32_e32 v41, 0
	s_waitcnt lgkmcnt(0)
	v_lshl_add_u64 v[40:41], v[40:41], 1, s[12:13]
	global_store_short v[40:41], v10, off
.LBB144_22:
	s_or_b64 exec, exec, s[6:7]
	v_add3_u32 v8, v2, s15, 8
	v_cmp_gt_u32_e64 s[6:7], s10, v8
	s_and_b64 exec, exec, s[6:7]
	s_cbranch_execz .LBB144_64
; %bb.23:
	v_mul_lo_u32 v8, v8, s14
	s_and_saveexec_b64 s[6:7], vcc
	s_cbranch_execnz .LBB144_65
; %bb.24:
	s_or_b64 exec, exec, s[6:7]
	s_and_saveexec_b64 s[6:7], s[0:1]
	s_cbranch_execnz .LBB144_66
.LBB144_25:
	s_or_b64 exec, exec, s[6:7]
	s_and_saveexec_b64 s[6:7], s[2:3]
	s_cbranch_execnz .LBB144_67
.LBB144_26:
	s_or_b64 exec, exec, s[6:7]
	s_and_saveexec_b64 s[6:7], s[4:5]
	s_cbranch_execz .LBB144_28
.LBB144_27:
	v_cvt_f16_f32_e32 v10, v57
	v_add_u32_e32 v40, v8, v6
	v_mov_b32_e32 v41, 0
	s_waitcnt lgkmcnt(0)
	v_lshl_add_u64 v[40:41], v[40:41], 1, s[12:13]
	global_store_short v[40:41], v10, off
.LBB144_28:
	s_or_b64 exec, exec, s[6:7]
	v_add3_u32 v8, v2, s15, 16
	v_cmp_gt_u32_e64 s[6:7], s10, v8
	s_and_b64 exec, exec, s[6:7]
	s_cbranch_execz .LBB144_64
; %bb.29:
	v_mul_lo_u32 v8, v8, s14
	s_and_saveexec_b64 s[6:7], vcc
	s_cbranch_execnz .LBB144_68
; %bb.30:
	s_or_b64 exec, exec, s[6:7]
	s_and_saveexec_b64 s[6:7], s[0:1]
	s_cbranch_execnz .LBB144_69
.LBB144_31:
	s_or_b64 exec, exec, s[6:7]
	s_and_saveexec_b64 s[6:7], s[2:3]
	s_cbranch_execnz .LBB144_70
.LBB144_32:
	s_or_b64 exec, exec, s[6:7]
	s_and_saveexec_b64 s[6:7], s[4:5]
	s_cbranch_execz .LBB144_34
.LBB144_33:
	v_cvt_f16_f32_e32 v10, v47
	v_add_u32_e32 v40, v8, v6
	v_mov_b32_e32 v41, 0
	s_waitcnt lgkmcnt(0)
	v_lshl_add_u64 v[40:41], v[40:41], 1, s[12:13]
	global_store_short v[40:41], v10, off
.LBB144_34:
	s_or_b64 exec, exec, s[6:7]
	v_add3_u32 v8, v2, s15, 24
	v_cmp_gt_u32_e64 s[6:7], s10, v8
	s_and_b64 exec, exec, s[6:7]
	s_cbranch_execz .LBB144_64
; %bb.35:
	v_mul_lo_u32 v8, v8, s14
	s_and_saveexec_b64 s[6:7], vcc
	s_cbranch_execnz .LBB144_71
; %bb.36:
	s_or_b64 exec, exec, s[6:7]
	s_and_saveexec_b64 s[6:7], s[0:1]
	s_cbranch_execnz .LBB144_72
.LBB144_37:
	s_or_b64 exec, exec, s[6:7]
	s_and_saveexec_b64 s[6:7], s[2:3]
	s_cbranch_execnz .LBB144_73
.LBB144_38:
	s_or_b64 exec, exec, s[6:7]
	s_and_saveexec_b64 s[6:7], s[4:5]
	s_cbranch_execz .LBB144_40
.LBB144_39:
	v_cvt_f16_f32_e32 v10, v35
	v_add_u32_e32 v34, v8, v6
	v_mov_b32_e32 v35, 0
	s_waitcnt lgkmcnt(0)
	v_lshl_add_u64 v[34:35], v[34:35], 1, s[12:13]
	global_store_short v[34:35], v10, off
.LBB144_40:
	s_or_b64 exec, exec, s[6:7]
	v_add3_u32 v8, v2, s15, 32
	v_cmp_gt_u32_e64 s[6:7], s10, v8
	s_and_b64 exec, exec, s[6:7]
	s_cbranch_execz .LBB144_64
; %bb.41:
	v_mul_lo_u32 v8, v8, s14
	s_and_saveexec_b64 s[6:7], vcc
	s_cbranch_execnz .LBB144_74
; %bb.42:
	s_or_b64 exec, exec, s[6:7]
	s_and_saveexec_b64 s[6:7], s[0:1]
	s_cbranch_execnz .LBB144_75
.LBB144_43:
	s_or_b64 exec, exec, s[6:7]
	s_and_saveexec_b64 s[6:7], s[2:3]
	s_cbranch_execnz .LBB144_76
.LBB144_44:
	s_or_b64 exec, exec, s[6:7]
	s_and_saveexec_b64 s[6:7], s[4:5]
	s_cbranch_execz .LBB144_46
.LBB144_45:
	v_cvt_f16_f32_e32 v10, v27
	v_add_u32_e32 v26, v8, v6
	v_mov_b32_e32 v27, 0
	s_waitcnt lgkmcnt(0)
	v_lshl_add_u64 v[26:27], v[26:27], 1, s[12:13]
	global_store_short v[26:27], v10, off
.LBB144_46:
	s_or_b64 exec, exec, s[6:7]
	v_add3_u32 v8, v2, s15, 40
	v_cmp_gt_u32_e64 s[6:7], s10, v8
	s_and_b64 exec, exec, s[6:7]
	s_cbranch_execz .LBB144_64
; %bb.47:
	v_mul_lo_u32 v8, v8, s14
	s_and_saveexec_b64 s[6:7], vcc
	s_cbranch_execnz .LBB144_77
; %bb.48:
	s_or_b64 exec, exec, s[6:7]
	s_and_saveexec_b64 s[6:7], s[0:1]
	s_cbranch_execnz .LBB144_78
.LBB144_49:
	s_or_b64 exec, exec, s[6:7]
	s_and_saveexec_b64 s[6:7], s[2:3]
	s_cbranch_execnz .LBB144_79
.LBB144_50:
	s_or_b64 exec, exec, s[6:7]
	s_and_saveexec_b64 s[6:7], s[4:5]
	s_cbranch_execz .LBB144_52
.LBB144_51:
	v_cvt_f16_f32_e32 v10, v19
	v_add_u32_e32 v18, v8, v6
	v_mov_b32_e32 v19, 0
	s_waitcnt lgkmcnt(0)
	v_lshl_add_u64 v[18:19], v[18:19], 1, s[12:13]
	global_store_short v[18:19], v10, off
.LBB144_52:
	s_or_b64 exec, exec, s[6:7]
	v_add3_u32 v8, v2, s15, 48
	v_cmp_gt_u32_e64 s[6:7], s10, v8
	s_and_b64 exec, exec, s[6:7]
	s_cbranch_execz .LBB144_64
; %bb.53:
	v_mul_lo_u32 v8, v8, s14
	s_and_saveexec_b64 s[6:7], vcc
	s_cbranch_execnz .LBB144_80
; %bb.54:
	s_or_b64 exec, exec, s[6:7]
	s_and_saveexec_b64 s[6:7], s[0:1]
	s_cbranch_execnz .LBB144_81
.LBB144_55:
	s_or_b64 exec, exec, s[6:7]
	s_and_saveexec_b64 s[6:7], s[2:3]
	s_cbranch_execnz .LBB144_82
.LBB144_56:
	s_or_b64 exec, exec, s[6:7]
	s_and_saveexec_b64 s[6:7], s[4:5]
	s_cbranch_execz .LBB144_58
.LBB144_57:
	v_cvt_f16_f32_e32 v12, v11
	v_add_u32_e32 v10, v8, v6
	v_mov_b32_e32 v11, 0
	s_waitcnt lgkmcnt(0)
	v_lshl_add_u64 v[10:11], v[10:11], 1, s[12:13]
	global_store_short v[10:11], v12, off
.LBB144_58:
	s_or_b64 exec, exec, s[6:7]
	v_add3_u32 v2, v2, s15, 56
	v_cmp_gt_u32_e64 s[6:7], s10, v2
	s_and_b64 exec, exec, s[6:7]
	s_cbranch_execz .LBB144_64
; %bb.59:
	v_mul_lo_u32 v2, v2, s14
	s_and_saveexec_b64 s[6:7], vcc
	s_cbranch_execnz .LBB144_83
; %bb.60:
	s_or_b64 exec, exec, s[6:7]
	s_and_saveexec_b64 s[6:7], s[0:1]
	s_cbranch_execnz .LBB144_84
.LBB144_61:
	s_or_b64 exec, exec, s[6:7]
	s_and_saveexec_b64 s[0:1], s[2:3]
	s_cbranch_execnz .LBB144_85
.LBB144_62:
	s_or_b64 exec, exec, s[0:1]
	s_and_b64 exec, exec, s[4:5]
	s_cbranch_execz .LBB144_64
.LBB144_63:
	v_cvt_f16_f32_e32 v3, v1
	v_add_u32_e32 v0, v2, v6
	v_mov_b32_e32 v1, 0
	s_waitcnt lgkmcnt(0)
	v_lshl_add_u64 v[0:1], v[0:1], 1, s[12:13]
	global_store_short v[0:1], v3, off
.LBB144_64:
	s_endpgm
.LBB144_65:
	v_cvt_f16_f32_e32 v10, v63
	v_add_u32_e32 v40, v8, v0
	v_mov_b32_e32 v41, 0
	s_waitcnt lgkmcnt(0)
	v_lshl_add_u64 v[40:41], v[40:41], 1, s[12:13]
	global_store_short v[40:41], v10, off
	s_or_b64 exec, exec, s[6:7]
	s_and_saveexec_b64 s[6:7], s[0:1]
	s_cbranch_execz .LBB144_25
.LBB144_66:
	v_cvt_f16_f32_e32 v10, v61
	v_add_u32_e32 v40, v8, v3
	v_mov_b32_e32 v41, 0
	s_waitcnt lgkmcnt(0)
	v_lshl_add_u64 v[40:41], v[40:41], 1, s[12:13]
	global_store_short v[40:41], v10, off
	s_or_b64 exec, exec, s[6:7]
	s_and_saveexec_b64 s[6:7], s[2:3]
	s_cbranch_execz .LBB144_26
.LBB144_67:
	v_cvt_f16_f32_e32 v10, v59
	v_add_u32_e32 v40, v8, v4
	v_mov_b32_e32 v41, 0
	s_waitcnt lgkmcnt(0)
	v_lshl_add_u64 v[40:41], v[40:41], 1, s[12:13]
	global_store_short v[40:41], v10, off
	s_or_b64 exec, exec, s[6:7]
	s_and_saveexec_b64 s[6:7], s[4:5]
	s_cbranch_execnz .LBB144_27
	s_branch .LBB144_28
.LBB144_68:
	v_cvt_f16_f32_e32 v10, v53
	v_add_u32_e32 v40, v8, v0
	v_mov_b32_e32 v41, 0
	s_waitcnt lgkmcnt(0)
	v_lshl_add_u64 v[40:41], v[40:41], 1, s[12:13]
	global_store_short v[40:41], v10, off
	s_or_b64 exec, exec, s[6:7]
	s_and_saveexec_b64 s[6:7], s[0:1]
	s_cbranch_execz .LBB144_31
.LBB144_69:
	v_cvt_f16_f32_e32 v10, v51
	v_add_u32_e32 v40, v8, v3
	v_mov_b32_e32 v41, 0
	s_waitcnt lgkmcnt(0)
	v_lshl_add_u64 v[40:41], v[40:41], 1, s[12:13]
	global_store_short v[40:41], v10, off
	s_or_b64 exec, exec, s[6:7]
	s_and_saveexec_b64 s[6:7], s[2:3]
	s_cbranch_execz .LBB144_32
.LBB144_70:
	v_cvt_f16_f32_e32 v10, v49
	v_add_u32_e32 v40, v8, v4
	v_mov_b32_e32 v41, 0
	s_waitcnt lgkmcnt(0)
	v_lshl_add_u64 v[40:41], v[40:41], 1, s[12:13]
	global_store_short v[40:41], v10, off
	s_or_b64 exec, exec, s[6:7]
	s_and_saveexec_b64 s[6:7], s[4:5]
	s_cbranch_execnz .LBB144_33
	s_branch .LBB144_34
.LBB144_71:
	v_cvt_f16_f32_e32 v10, v43
	v_add_u32_e32 v40, v8, v0
	v_mov_b32_e32 v41, 0
	s_waitcnt lgkmcnt(0)
	v_lshl_add_u64 v[40:41], v[40:41], 1, s[12:13]
	global_store_short v[40:41], v10, off
	s_or_b64 exec, exec, s[6:7]
	s_and_saveexec_b64 s[6:7], s[0:1]
	s_cbranch_execz .LBB144_37
.LBB144_72:
	v_cvt_f16_f32_e32 v10, v39
	v_add_u32_e32 v38, v8, v3
	v_mov_b32_e32 v39, 0
	s_waitcnt lgkmcnt(0)
	v_lshl_add_u64 v[38:39], v[38:39], 1, s[12:13]
	global_store_short v[38:39], v10, off
	s_or_b64 exec, exec, s[6:7]
	s_and_saveexec_b64 s[6:7], s[2:3]
	s_cbranch_execz .LBB144_38
.LBB144_73:
	v_cvt_f16_f32_e32 v10, v37
	v_add_u32_e32 v36, v8, v4
	v_mov_b32_e32 v37, 0
	s_waitcnt lgkmcnt(0)
	v_lshl_add_u64 v[36:37], v[36:37], 1, s[12:13]
	global_store_short v[36:37], v10, off
	s_or_b64 exec, exec, s[6:7]
	s_and_saveexec_b64 s[6:7], s[4:5]
	s_cbranch_execnz .LBB144_39
	s_branch .LBB144_40
.LBB144_74:
	v_cvt_f16_f32_e32 v10, v33
	v_add_u32_e32 v32, v8, v0
	v_mov_b32_e32 v33, 0
	s_waitcnt lgkmcnt(0)
	v_lshl_add_u64 v[32:33], v[32:33], 1, s[12:13]
	global_store_short v[32:33], v10, off
	s_or_b64 exec, exec, s[6:7]
	s_and_saveexec_b64 s[6:7], s[0:1]
	s_cbranch_execz .LBB144_43
.LBB144_75:
	v_cvt_f16_f32_e32 v10, v31
	v_add_u32_e32 v30, v8, v3
	v_mov_b32_e32 v31, 0
	s_waitcnt lgkmcnt(0)
	v_lshl_add_u64 v[30:31], v[30:31], 1, s[12:13]
	global_store_short v[30:31], v10, off
	s_or_b64 exec, exec, s[6:7]
	s_and_saveexec_b64 s[6:7], s[2:3]
	s_cbranch_execz .LBB144_44
.LBB144_76:
	v_cvt_f16_f32_e32 v10, v29
	v_add_u32_e32 v28, v8, v4
	v_mov_b32_e32 v29, 0
	s_waitcnt lgkmcnt(0)
	v_lshl_add_u64 v[28:29], v[28:29], 1, s[12:13]
	global_store_short v[28:29], v10, off
	s_or_b64 exec, exec, s[6:7]
	s_and_saveexec_b64 s[6:7], s[4:5]
	s_cbranch_execnz .LBB144_45
	s_branch .LBB144_46
.LBB144_77:
	v_cvt_f16_f32_e32 v10, v25
	v_add_u32_e32 v24, v8, v0
	v_mov_b32_e32 v25, 0
	s_waitcnt lgkmcnt(0)
	v_lshl_add_u64 v[24:25], v[24:25], 1, s[12:13]
	global_store_short v[24:25], v10, off
	s_or_b64 exec, exec, s[6:7]
	s_and_saveexec_b64 s[6:7], s[0:1]
	s_cbranch_execz .LBB144_49
.LBB144_78:
	v_cvt_f16_f32_e32 v10, v23
	v_add_u32_e32 v22, v8, v3
	v_mov_b32_e32 v23, 0
	s_waitcnt lgkmcnt(0)
	v_lshl_add_u64 v[22:23], v[22:23], 1, s[12:13]
	global_store_short v[22:23], v10, off
	s_or_b64 exec, exec, s[6:7]
	s_and_saveexec_b64 s[6:7], s[2:3]
	s_cbranch_execz .LBB144_50
.LBB144_79:
	v_cvt_f16_f32_e32 v10, v21
	v_add_u32_e32 v20, v8, v4
	v_mov_b32_e32 v21, 0
	s_waitcnt lgkmcnt(0)
	v_lshl_add_u64 v[20:21], v[20:21], 1, s[12:13]
	global_store_short v[20:21], v10, off
	s_or_b64 exec, exec, s[6:7]
	s_and_saveexec_b64 s[6:7], s[4:5]
	s_cbranch_execnz .LBB144_51
	s_branch .LBB144_52
.LBB144_80:
	v_cvt_f16_f32_e32 v10, v17
	v_add_u32_e32 v16, v8, v0
	v_mov_b32_e32 v17, 0
	s_waitcnt lgkmcnt(0)
	v_lshl_add_u64 v[16:17], v[16:17], 1, s[12:13]
	global_store_short v[16:17], v10, off
	s_or_b64 exec, exec, s[6:7]
	s_and_saveexec_b64 s[6:7], s[0:1]
	s_cbranch_execz .LBB144_55
.LBB144_81:
	v_cvt_f16_f32_e32 v10, v15
	v_add_u32_e32 v14, v8, v3
	v_mov_b32_e32 v15, 0
	s_waitcnt lgkmcnt(0)
	v_lshl_add_u64 v[14:15], v[14:15], 1, s[12:13]
	global_store_short v[14:15], v10, off
	s_or_b64 exec, exec, s[6:7]
	s_and_saveexec_b64 s[6:7], s[2:3]
	s_cbranch_execz .LBB144_56
.LBB144_82:
	v_cvt_f16_f32_e32 v10, v13
	v_add_u32_e32 v12, v8, v4
	v_mov_b32_e32 v13, 0
	s_waitcnt lgkmcnt(0)
	v_lshl_add_u64 v[12:13], v[12:13], 1, s[12:13]
	global_store_short v[12:13], v10, off
	s_or_b64 exec, exec, s[6:7]
	s_and_saveexec_b64 s[6:7], s[4:5]
	s_cbranch_execnz .LBB144_57
	s_branch .LBB144_58
.LBB144_83:
	v_cvt_f16_f32_e32 v10, v9
	v_add_u32_e32 v8, v2, v0
	v_mov_b32_e32 v9, 0
	s_waitcnt lgkmcnt(0)
	v_lshl_add_u64 v[8:9], v[8:9], 1, s[12:13]
	global_store_short v[8:9], v10, off
	s_or_b64 exec, exec, s[6:7]
	s_and_saveexec_b64 s[6:7], s[0:1]
	s_cbranch_execz .LBB144_61
.LBB144_84:
	v_cvt_f16_f32_e32 v0, v7
	v_add_u32_e32 v8, v2, v3
	v_mov_b32_e32 v9, 0
	s_waitcnt lgkmcnt(0)
	v_lshl_add_u64 v[8:9], v[8:9], 1, s[12:13]
	global_store_short v[8:9], v0, off
	s_or_b64 exec, exec, s[6:7]
	s_and_saveexec_b64 s[0:1], s[2:3]
	s_cbranch_execz .LBB144_62
.LBB144_85:
	v_cvt_f16_f32_e32 v0, v5
	v_add_u32_e32 v4, v2, v4
	v_mov_b32_e32 v5, 0
	s_waitcnt lgkmcnt(0)
	v_lshl_add_u64 v[4:5], v[4:5], 1, s[12:13]
	global_store_short v[4:5], v0, off
	s_or_b64 exec, exec, s[0:1]
	s_and_b64 exec, exec, s[4:5]
	s_cbranch_execnz .LBB144_63
	s_branch .LBB144_64
	.section	.rodata,"a",@progbits
	.p2align	6, 0x0
	.amdhsa_kernel _ZL12mul_mat_q5_1IN3c104HalfELb1EEvPKvS3_PT_iiiii
		.amdhsa_group_segment_fixed_size 46720
		.amdhsa_private_segment_fixed_size 0
		.amdhsa_kernarg_size 44
		.amdhsa_user_sgpr_count 2
		.amdhsa_user_sgpr_dispatch_ptr 0
		.amdhsa_user_sgpr_queue_ptr 0
		.amdhsa_user_sgpr_kernarg_segment_ptr 1
		.amdhsa_user_sgpr_dispatch_id 0
		.amdhsa_user_sgpr_kernarg_preload_length 0
		.amdhsa_user_sgpr_kernarg_preload_offset 0
		.amdhsa_user_sgpr_private_segment_size 0
		.amdhsa_uses_dynamic_stack 0
		.amdhsa_enable_private_segment 0
		.amdhsa_system_sgpr_workgroup_id_x 1
		.amdhsa_system_sgpr_workgroup_id_y 1
		.amdhsa_system_sgpr_workgroup_id_z 0
		.amdhsa_system_sgpr_workgroup_info 0
		.amdhsa_system_vgpr_workitem_id 1
		.amdhsa_next_free_vgpr 169
		.amdhsa_next_free_sgpr 18
		.amdhsa_accum_offset 172
		.amdhsa_reserve_vcc 1
		.amdhsa_float_round_mode_32 0
		.amdhsa_float_round_mode_16_64 0
		.amdhsa_float_denorm_mode_32 3
		.amdhsa_float_denorm_mode_16_64 3
		.amdhsa_dx10_clamp 1
		.amdhsa_ieee_mode 1
		.amdhsa_fp16_overflow 0
		.amdhsa_tg_split 0
		.amdhsa_exception_fp_ieee_invalid_op 0
		.amdhsa_exception_fp_denorm_src 0
		.amdhsa_exception_fp_ieee_div_zero 0
		.amdhsa_exception_fp_ieee_overflow 0
		.amdhsa_exception_fp_ieee_underflow 0
		.amdhsa_exception_fp_ieee_inexact 0
		.amdhsa_exception_int_div_zero 0
	.end_amdhsa_kernel
	.section	.text._ZL12mul_mat_q5_1IN3c104HalfELb1EEvPKvS3_PT_iiiii,"axG",@progbits,_ZL12mul_mat_q5_1IN3c104HalfELb1EEvPKvS3_PT_iiiii,comdat
.Lfunc_end144:
	.size	_ZL12mul_mat_q5_1IN3c104HalfELb1EEvPKvS3_PT_iiiii, .Lfunc_end144-_ZL12mul_mat_q5_1IN3c104HalfELb1EEvPKvS3_PT_iiiii
                                        ; -- End function
	.section	.AMDGPU.csdata,"",@progbits
; Kernel info:
; codeLenInByte = 12848
; NumSgprs: 24
; NumVgprs: 169
; NumAgprs: 0
; TotalNumVgprs: 169
; ScratchSize: 0
; MemoryBound: 0
; FloatMode: 240
; IeeeMode: 1
; LDSByteSize: 46720 bytes/workgroup (compile time only)
; SGPRBlocks: 2
; VGPRBlocks: 21
; NumSGPRsForWavesPerEU: 24
; NumVGPRsForWavesPerEU: 169
; AccumOffset: 172
; Occupancy: 1
; WaveLimiterHint : 0
; COMPUTE_PGM_RSRC2:SCRATCH_EN: 0
; COMPUTE_PGM_RSRC2:USER_SGPR: 2
; COMPUTE_PGM_RSRC2:TRAP_HANDLER: 0
; COMPUTE_PGM_RSRC2:TGID_X_EN: 1
; COMPUTE_PGM_RSRC2:TGID_Y_EN: 1
; COMPUTE_PGM_RSRC2:TGID_Z_EN: 0
; COMPUTE_PGM_RSRC2:TIDIG_COMP_CNT: 1
; COMPUTE_PGM_RSRC3_GFX90A:ACCUM_OFFSET: 42
; COMPUTE_PGM_RSRC3_GFX90A:TG_SPLIT: 0
	.section	.text._ZL12mul_mat_q8_0IN3c104HalfELb0EEvPKvS3_PT_iiiii,"axG",@progbits,_ZL12mul_mat_q8_0IN3c104HalfELb0EEvPKvS3_PT_iiiii,comdat
	.globl	_ZL12mul_mat_q8_0IN3c104HalfELb0EEvPKvS3_PT_iiiii ; -- Begin function _ZL12mul_mat_q8_0IN3c104HalfELb0EEvPKvS3_PT_iiiii
	.p2align	8
	.type	_ZL12mul_mat_q8_0IN3c104HalfELb0EEvPKvS3_PT_iiiii,@function
_ZL12mul_mat_q8_0IN3c104HalfELb0EEvPKvS3_PT_iiiii: ; @_ZL12mul_mat_q8_0IN3c104HalfELb0EEvPKvS3_PT_iiiii
; %bb.0:
	s_load_dword s7, s[0:1], 0x18
	s_load_dwordx4 s[8:11], s[0:1], 0x20
	s_waitcnt lgkmcnt(0)
	s_lshl_b32 s11, s3, 6
	v_bfe_u32 v37, v0, 10, 10
	s_cmp_gt_i32 s7, 31
	s_cbranch_scc1 .LBB145_2
; %bb.1:
	v_bfe_u32 v34, v0, 10, 10
	v_and_b32_e32 v1, 0x3ff, v0
	v_add_u32_e32 v39, s11, v34
	s_mov_b64 s[4:5], 0
	s_mov_b32 s3, 0
	s_branch .LBB145_3
.LBB145_2:
	s_mov_b64 s[4:5], -1
                                        ; implicit-def: $sgpr3
                                        ; implicit-def: $vgpr34
                                        ; implicit-def: $vgpr1
                                        ; implicit-def: $vgpr39
.LBB145_3:
	s_load_dwordx2 s[12:13], s[0:1], 0x10
	s_lshl_b32 s6, s2, 7
	s_andn2_b64 vcc, exec, s[4:5]
	v_mov_b32_e32 v3, s3
	v_mov_b32_e32 v2, s3
	;; [unrolled: 1-line block ×32, first 2 shown]
	s_cbranch_vccnz .LBB145_9
; %bb.4:
	s_ashr_i32 s4, s7, 31
	s_load_dwordx4 s[0:3], s[0:1], 0x0
	s_lshr_b32 s4, s4, 27
	s_ashr_i32 s5, s9, 31
	s_add_i32 s7, s7, s4
	s_lshr_b32 s5, s5, 27
	s_ashr_i32 s4, s7, 5
	s_add_i32 s5, s9, s5
	s_ashr_i32 s9, s5, 5
	s_mul_i32 s5, s4, s6
	s_mul_hi_i32 s7, s5, 34
	s_mul_i32 s5, s5, 34
	s_waitcnt lgkmcnt(0)
	s_add_u32 s5, s0, s5
	v_and_b32_e32 v1, 0x3ff, v0
	s_addc_u32 s7, s1, s7
	v_lshlrev_b32_e32 v2, 2, v1
	s_movk_i32 s1, 0x84
	v_mul_lo_u32 v36, s4, v37
	v_mad_u32_u24 v41, v37, s1, v2
	s_lshl_b32 s1, s4, 3
	v_add_u32_e32 v38, s1, v36
	v_add_u32_e32 v40, s1, v38
	;; [unrolled: 1-line block ×11, first 2 shown]
	v_and_b32_e32 v34, 28, v2
	v_add_u32_e32 v60, s1, v58
	v_lshlrev_b32_e32 v2, 3, v37
	v_lshrrev_b32_e32 v3, 2, v1
	v_add_u32_e32 v62, s1, v60
	v_add_u32_e32 v4, v3, v2
	v_add_u16_e32 v2, v3, v2
	v_add_u32_e32 v64, s1, v62
	v_and_b32_e32 v68, 3, v1
	v_lshrrev_b16_e32 v2, 1, v2
	v_add_u32_e32 v66, s1, v64
	v_and_b32_e32 v2, 0x7fc, v2
	v_lshlrev_b32_e32 v5, 2, v68
	s_movk_i32 s1, 0x6200
	v_add3_u32 v6, v2, v5, s1
	v_add_u32_e32 v2, 64, v4
	v_mul_lo_u32 v70, s4, v4
	v_lshlrev_b32_e32 v7, 4, v4
	v_lshrrev_b32_e32 v3, 1, v2
	v_and_b32_e32 v4, 63, v4
	v_and_b32_e32 v3, 0xffc, v3
	v_add_u32_e32 v39, s11, v37
	s_add_i32 s14, s8, -1
	v_or_b32_e32 v11, s11, v4
	v_lshl_or_b32 v4, v4, 4, v5
	v_add3_u32 v8, v3, v5, s1
	v_lshlrev_b32_e32 v9, 4, v2
	v_cvt_f64_i32_e32 v[2:3], s14
	v_add_u32_e32 v73, 0x6a40, v4
	v_cvt_f64_u32_e32 v[4:5], v39
	v_add_u32_e32 v69, 0x39c0, v41
	v_min_i32_e32 v11, s14, v11
	v_min_f64 v[4:5], v[4:5], v[2:3]
	v_mad_u64_u32 v[76:77], s[14:15], v11, s9, v[68:69]
	v_cvt_i32_f64_e32 v4, v[4:5]
	v_mul_lo_u32 v77, s9, v4
	v_add_u32_e32 v4, 8, v39
	v_cvt_f64_u32_e32 v[4:5], v4
	v_min_f64 v[4:5], v[4:5], v[2:3]
	v_cvt_i32_f64_e32 v4, v[4:5]
	v_mul_lo_u32 v81, s9, v4
	v_add_u32_e32 v4, 16, v39
	v_cvt_f64_u32_e32 v[4:5], v4
	v_min_f64 v[4:5], v[4:5], v[2:3]
	;; [unrolled: 5-line block ×7, first 2 shown]
	v_add_u32_e32 v4, 0x60, v1
	v_cvt_i32_f64_e32 v2, v[2:3]
	v_add_u32_e32 v3, 64, v1
	v_lshrrev_b32_e32 v4, 1, v4
	v_mul_lo_u32 v129, s9, v2
	v_add_u32_e32 v2, 32, v1
	v_lshlrev_b32_e32 v5, 4, v1
	v_and_b32_e32 v4, 0xfc, v4
	s_movk_i32 s9, 0x6800
	v_lshrrev_b32_e32 v3, 1, v3
	v_add3_u32 v133, v5, v4, s9
	v_and_b32_e32 v3, 0xfc, v3
	s_movk_i32 s9, 0x6600
	v_lshrrev_b32_e32 v2, 1, v2
	v_lshrrev_b32_e32 v0, 3, v1
	v_add3_u32 v134, v5, v3, s9
	v_and_b32_e32 v2, 0xfc, v2
	s_movk_i32 s9, 0x6400
	s_mov_b32 s0, 0
	v_and_b32_e32 v10, 31, v1
	v_lshlrev_b32_e32 v11, 7, v37
	v_add3_u32 v135, v5, v2, s9
	v_lshlrev_b32_e32 v2, 2, v0
	v_mov_b32_e32 v35, 0
	v_lshl_or_b32 v10, v10, 2, v11
	v_add3_u32 v136, v5, v2, s1
	v_mov_b32_e32 v2, 0x6a40
	s_mov_b32 s1, s0
	v_add_u32_e32 v43, 0x420, v41
	v_add_u32_e32 v45, 0x840, v41
	v_add_u32_e32 v47, 0xc60, v41
	v_add_u32_e32 v49, 0x1080, v41
	v_add_u32_e32 v51, 0x14a0, v41
	v_add_u32_e32 v53, 0x18c0, v41
	v_add_u32_e32 v55, 0x1ce0, v41
	v_add_u32_e32 v57, 0x2100, v41
	v_add_u32_e32 v59, 0x2520, v41
	v_add_u32_e32 v61, 0x2940, v41
	v_add_u32_e32 v63, 0x2d60, v41
	v_add_u32_e32 v65, 0x3180, v41
	v_add_u32_e32 v67, 0x35a0, v41
	v_add_u32_e32 v71, 0x3de0, v41
	v_lshl_add_u32 v72, s4, 6, v70
	v_lshl_add_u64 v[74:75], s[2:3], 0, v[34:35]
	v_add_u32_e32 v79, 0x4200, v10
	v_add_u32_e32 v83, 0x4600, v10
	;; [unrolled: 1-line block ×8, first 2 shown]
	v_mul_u32_u24_e32 v131, 0x84, v1
	v_add_u32_e32 v132, 0x4200, v11
	v_lshl_add_u32 v137, v37, 4, v2
	v_mov_b64_e32 v[32:33], s[0:1]
	v_add_u32_e32 v138, v6, v7
	v_add_u32_e32 v139, v8, v9
	v_mov_b64_e32 v[24:25], s[0:1]
	v_mov_b64_e32 v[16:17], s[0:1]
	;; [unrolled: 1-line block ×15, first 2 shown]
.LBB145_5:                              ; =>This Loop Header: Depth=1
                                        ;     Child Loop BB145_6 Depth 2
	s_mul_i32 s9, s0, 34
	s_mul_hi_u32 s1, s0, 34
	s_add_u32 s14, s5, s9
	s_addc_u32 s15, s7, s1
	v_mad_u64_u32 v[84:85], s[16:17], v0, 34, s[14:15]
	v_lshl_add_u64 v[84:85], v[84:85], 0, v[34:35]
	v_lshl_add_u64 v[84:85], v[84:85], 0, 2
	v_mad_u64_u32 v[88:89], s[16:17], v36, 34, v[84:85]
	v_mad_u64_u32 v[90:91], s[16:17], v38, 34, v[84:85]
	;; [unrolled: 1-line block ×8, first 2 shown]
	global_load_dword v78, v[88:89], off
	global_load_dword v80, v[90:91], off
	;; [unrolled: 1-line block ×8, first 2 shown]
	v_mad_u64_u32 v[88:89], s[16:17], v52, 34, v[84:85]
	v_mad_u64_u32 v[90:91], s[16:17], v54, 34, v[84:85]
	;; [unrolled: 1-line block ×8, first 2 shown]
	global_load_dword v108, v[88:89], off
	global_load_dword v109, v[90:91], off
                                        ; kill: killed $vgpr90_vgpr91
                                        ; kill: killed $vgpr88_vgpr89
	global_load_dword v110, v[92:93], off
	global_load_dword v111, v[94:95], off
	;; [unrolled: 1-line block ×4, first 2 shown]
                                        ; kill: killed $vgpr94_vgpr95
                                        ; kill: killed $vgpr92_vgpr93
                                        ; kill: killed $vgpr98_vgpr99
                                        ; kill: killed $vgpr96_vgpr97
	global_load_dword v114, v[100:101], off
	global_load_dword v115, v[84:85], off
	v_mad_u64_u32 v[84:85], s[14:15], v68, 34, s[14:15]
	v_mad_u64_u32 v[88:89], s[14:15], v70, 34, v[84:85]
	;; [unrolled: 1-line block ×3, first 2 shown]
	v_add_u32_e32 v100, s0, v0
	global_load_ushort v116, v[88:89], off
	global_load_ushort v117, v[84:85], off
	v_add_u32_e32 v84, v100, v77
	v_add_u32_e32 v88, v100, v81
	;; [unrolled: 1-line block ×5, first 2 shown]
	v_mad_i64_i32 v[84:85], s[14:15], v84, 36, v[74:75]
	v_mad_i64_i32 v[88:89], s[14:15], v88, 36, v[74:75]
	v_mad_i64_i32 v[90:91], s[14:15], v90, 36, v[74:75]
	v_mad_i64_i32 v[92:93], s[14:15], v92, 36, v[74:75]
	v_mad_i64_i32 v[94:95], s[14:15], v94, 36, v[74:75]
	v_add_u32_e32 v96, v100, v125
	v_add_u32_e32 v98, v100, v127
	;; [unrolled: 1-line block ×4, first 2 shown]
	v_mad_i64_i32 v[96:97], s[14:15], v96, 36, v[74:75]
	v_mad_i64_i32 v[98:99], s[14:15], v98, 36, v[74:75]
	;; [unrolled: 1-line block ×3, first 2 shown]
	v_mad_u64_u32 v[102:103], s[14:15], v102, 36, s[2:3]
	global_load_dword v84, v[84:85], off offset:4
	s_nop 0
	global_load_dword v85, v[88:89], off offset:4
	s_nop 0
	global_load_dword v88, v[90:91], off offset:4
	global_load_dword v89, v[92:93], off offset:4
	s_nop 0
	global_load_dword v90, v[94:95], off offset:4
	global_load_dword v91, v[102:103], off
	global_load_dword v92, v[96:97], off offset:4
	global_load_dword v93, v[98:99], off offset:4
	s_nop 0
	global_load_dword v94, v[100:101], off offset:4
	s_mov_b32 s1, -8
	v_mov_b32_e32 v140, v137
	v_mov_b32_e32 v141, v136
	;; [unrolled: 1-line block ×7, first 2 shown]
	s_waitcnt vmcnt(26)
	ds_write_b32 v41, v78
	s_waitcnt vmcnt(25)
	ds_write_b32 v43, v80
	;; [unrolled: 2-line block ×14, first 2 shown]
	s_waitcnt vmcnt(10)
	v_cvt_f32_f16_e32 v78, v116
	s_waitcnt vmcnt(9)
	v_cvt_f32_f16_e32 v80, v117
	ds_write_b32 v69, v114
	ds_write_b32 v71, v115
	ds_write_b32 v138, v78
	ds_write_b32 v139, v80
	s_waitcnt vmcnt(8)
	ds_write_b32 v79, v84
	s_waitcnt vmcnt(7)
	ds_write_b32 v83, v85
	;; [unrolled: 2-line block ×5, first 2 shown]
	s_waitcnt vmcnt(3)
	v_cvt_f32_f16_e32 v78, v91
	s_waitcnt vmcnt(2)
	ds_write_b32 v126, v92
	s_waitcnt vmcnt(1)
	ds_write_b32 v128, v93
	;; [unrolled: 2-line block ×3, first 2 shown]
	ds_write_b32 v73, v78
	s_waitcnt lgkmcnt(0)
	s_barrier
.LBB145_6:                              ;   Parent Loop BB145_5 Depth=1
                                        ; =>  This Inner Loop Header: Depth=2
	v_add_u32_e32 v80, 0x1080, v146
	ds_read2_b32 v[118:119], v140 offset1:32
	ds_read_b128 v[148:151], v145
	ds_read_b128 v[152:155], v145 offset:16
	ds_read_b32 v82, v141
	ds_read2_b32 v[90:91], v146 offset1:1
	ds_read2_b32 v[98:99], v146 offset0:2 offset1:3
	ds_read2_b32 v[104:105], v146 offset0:4 offset1:5
	;; [unrolled: 1-line block ×3, first 2 shown]
	ds_read_b32 v78, v142
	ds_read2_b32 v[84:85], v80 offset1:1
	v_add_u32_e32 v80, 0x1088, v146
	ds_read2_b32 v[92:93], v80 offset1:1
	v_add_u32_e32 v80, 0x1090, v146
	;; [unrolled: 2-line block ×3, first 2 shown]
	v_add_u32_e32 v86, 0x2100, v146
	ds_read2_b32 v[110:111], v80 offset1:1
	ds_read_b32 v80, v143
	ds_read2_b32 v[88:89], v86 offset1:1
	v_add_u32_e32 v86, 0x2108, v146
	ds_read2_b32 v[96:97], v86 offset1:1
	v_add_u32_e32 v86, 0x2110, v146
	;; [unrolled: 2-line block ×3, first 2 shown]
	v_add_u32_e32 v94, 0x3180, v146
	ds_read2_b32 v[114:115], v86 offset1:1
	ds_read_b32 v86, v144
	ds_read2_b32 v[94:95], v94 offset1:1
	v_add_u32_e32 v102, 0x3188, v146
	ds_read2_b32 v[102:103], v102 offset1:1
	v_add_u32_e32 v112, 0x3190, v146
	ds_read2_b32 v[112:113], v112 offset1:1
	v_mov_b32_e32 v147, 0
	v_mov_b32_e32 v160, 0
	;; [unrolled: 1-line block ×4, first 2 shown]
	s_waitcnt lgkmcnt(14)
	v_dot4c_i32_i8_e32 v147, v90, v148
	s_waitcnt lgkmcnt(12)
	v_dot4c_i32_i8_e32 v160, v84, v148
	s_waitcnt lgkmcnt(7)
	v_dot4c_i32_i8_e32 v161, v88, v148
	s_waitcnt lgkmcnt(2)
	v_dot4c_i32_i8_e32 v162, v94, v148
	v_add_u32_e32 v116, 0x3198, v146
	ds_read2_b32 v[116:117], v116 offset1:1
	v_dot4c_i32_i8_e32 v147, v91, v149
	v_dot4c_i32_i8_e32 v160, v85, v149
	v_dot4c_i32_i8_e32 v161, v89, v149
	v_dot4c_i32_i8_e32 v162, v95, v149
	v_dot4c_i32_i8_e32 v147, v98, v150
	v_dot4c_i32_i8_e32 v160, v92, v150
	v_dot4c_i32_i8_e32 v161, v96, v150
	s_waitcnt lgkmcnt(2)
	v_dot4c_i32_i8_e32 v162, v102, v150
	v_dot4c_i32_i8_e32 v147, v99, v151
	v_dot4c_i32_i8_e32 v160, v93, v151
	v_dot4c_i32_i8_e32 v161, v97, v151
	v_dot4c_i32_i8_e32 v162, v103, v151
	v_dot4c_i32_i8_e32 v147, v104, v152
	v_dot4c_i32_i8_e32 v160, v100, v152
	v_dot4c_i32_i8_e32 v161, v106, v152
	s_waitcnt lgkmcnt(1)
	v_dot4c_i32_i8_e32 v162, v112, v152
	v_dot4c_i32_i8_e32 v147, v105, v153
	v_dot4c_i32_i8_e32 v160, v101, v153
	v_dot4c_i32_i8_e32 v161, v107, v153
	v_dot4c_i32_i8_e32 v162, v113, v153
	v_dot4c_i32_i8_e32 v147, v108, v154
	v_dot4c_i32_i8_e32 v160, v110, v154
	v_dot4c_i32_i8_e32 v161, v114, v154
	s_waitcnt lgkmcnt(0)
	v_dot4c_i32_i8_e32 v162, v116, v154
	v_dot4c_i32_i8_e32 v147, v109, v155
	v_dot4c_i32_i8_e32 v160, v111, v155
	;; [unrolled: 1-line block ×4, first 2 shown]
	ds_read_b128 v[148:151], v145 offset:1024
	ds_read_b128 v[152:155], v145 offset:1040
	v_mov_b32_e32 v158, 0
	v_pk_mul_f32 v[156:157], v[82:83], v[118:119] op_sel_hi:[0,1]
	s_add_i32 s1, s1, 8
	s_waitcnt lgkmcnt(1)
	v_dot4c_i32_i8_e32 v158, v90, v148
	v_dot4c_i32_i8_e32 v158, v91, v149
	v_dot4c_i32_i8_e32 v158, v98, v150
	v_dot4c_i32_i8_e32 v158, v99, v151
	s_waitcnt lgkmcnt(0)
	v_dot4c_i32_i8_e32 v158, v104, v152
	v_dot4c_i32_i8_e32 v158, v105, v153
	;; [unrolled: 1-line block ×4, first 2 shown]
	v_add_u32_e32 v146, 32, v146
	v_add_u32_e32 v144, 4, v144
	v_add_u32_e32 v143, 4, v143
	v_cvt_f32_i32_e32 v159, v158
	v_cvt_f32_i32_e32 v158, v147
	v_mov_b32_e32 v147, 0
	v_dot4c_i32_i8_e32 v147, v84, v148
	v_dot4c_i32_i8_e32 v147, v85, v149
	v_dot4c_i32_i8_e32 v147, v92, v150
	v_dot4c_i32_i8_e32 v147, v93, v151
	v_dot4c_i32_i8_e32 v147, v100, v152
	v_dot4c_i32_i8_e32 v147, v101, v153
	v_dot4c_i32_i8_e32 v147, v110, v154
	v_dot4c_i32_i8_e32 v147, v111, v155
	v_pk_fma_f32 v[32:33], v[156:157], v[158:159], v[32:33]
	v_cvt_f32_i32_e32 v158, v160
	v_pk_mul_f32 v[156:157], v[78:79], v[118:119] op_sel_hi:[0,1]
	v_cvt_f32_i32_e32 v159, v147
	v_mov_b32_e32 v147, 0
	v_dot4c_i32_i8_e32 v147, v88, v148
	v_dot4c_i32_i8_e32 v147, v89, v149
	;; [unrolled: 1-line block ×8, first 2 shown]
	v_pk_fma_f32 v[30:31], v[156:157], v[158:159], v[30:31]
	v_pk_mul_f32 v[156:157], v[80:81], v[118:119] op_sel_hi:[0,1]
	v_pk_mul_f32 v[118:119], v[86:87], v[118:119] op_sel_hi:[0,1]
	v_cvt_f32_i32_e32 v159, v147
	v_mov_b32_e32 v147, 0
	v_dot4c_i32_i8_e32 v147, v94, v148
	v_dot4c_i32_i8_e32 v147, v95, v149
	;; [unrolled: 1-line block ×8, first 2 shown]
	v_cvt_f32_i32_e32 v148, v162
	v_cvt_f32_i32_e32 v158, v161
	v_mov_b32_e32 v160, 0
	v_cvt_f32_i32_e32 v149, v147
	v_mov_b32_e32 v147, 0
	v_mov_b32_e32 v161, 0
	;; [unrolled: 1-line block ×3, first 2 shown]
	v_pk_fma_f32 v[26:27], v[118:119], v[148:149], v[26:27]
	ds_read2_b32 v[118:119], v140 offset0:64 offset1:96
	ds_read_b128 v[148:151], v145 offset:2048
	ds_read_b128 v[152:155], v145 offset:2064
	v_pk_fma_f32 v[28:29], v[156:157], v[158:159], v[28:29]
	v_mov_b32_e32 v158, 0
	s_waitcnt lgkmcnt(2)
	v_pk_mul_f32 v[156:157], v[82:83], v[118:119] op_sel_hi:[0,1]
	s_waitcnt lgkmcnt(1)
	v_dot4c_i32_i8_e32 v147, v90, v148
	v_dot4c_i32_i8_e32 v160, v84, v148
	v_dot4c_i32_i8_e32 v161, v88, v148
	v_dot4c_i32_i8_e32 v162, v94, v148
	v_dot4c_i32_i8_e32 v147, v91, v149
	v_dot4c_i32_i8_e32 v160, v85, v149
	v_dot4c_i32_i8_e32 v161, v89, v149
	v_dot4c_i32_i8_e32 v162, v95, v149
	v_dot4c_i32_i8_e32 v147, v98, v150
	v_dot4c_i32_i8_e32 v160, v92, v150
	v_dot4c_i32_i8_e32 v161, v96, v150
	v_dot4c_i32_i8_e32 v162, v102, v150
	v_dot4c_i32_i8_e32 v147, v99, v151
	v_dot4c_i32_i8_e32 v160, v93, v151
	v_dot4c_i32_i8_e32 v161, v97, v151
	v_dot4c_i32_i8_e32 v162, v103, v151
	s_waitcnt lgkmcnt(0)
	v_dot4c_i32_i8_e32 v147, v104, v152
	v_dot4c_i32_i8_e32 v160, v100, v152
	;; [unrolled: 1-line block ×16, first 2 shown]
	ds_read_b128 v[148:151], v145 offset:3072
	ds_read_b128 v[152:155], v145 offset:3088
	v_add_u32_e32 v142, 4, v142
	v_add_u32_e32 v141, 4, v141
	s_cmp_lt_u32 s1, 24
	s_waitcnt lgkmcnt(1)
	v_dot4c_i32_i8_e32 v158, v90, v148
	v_dot4c_i32_i8_e32 v158, v91, v149
	;; [unrolled: 1-line block ×4, first 2 shown]
	s_waitcnt lgkmcnt(0)
	v_dot4c_i32_i8_e32 v158, v104, v152
	v_dot4c_i32_i8_e32 v158, v105, v153
	;; [unrolled: 1-line block ×4, first 2 shown]
	s_nop 2
	v_cvt_f32_i32_e32 v159, v158
	v_cvt_f32_i32_e32 v158, v147
	v_mov_b32_e32 v147, 0
	v_dot4c_i32_i8_e32 v147, v84, v148
	v_dot4c_i32_i8_e32 v147, v85, v149
	;; [unrolled: 1-line block ×8, first 2 shown]
	v_pk_fma_f32 v[24:25], v[156:157], v[158:159], v[24:25]
	v_cvt_f32_i32_e32 v158, v160
	v_pk_mul_f32 v[156:157], v[78:79], v[118:119] op_sel_hi:[0,1]
	v_cvt_f32_i32_e32 v159, v147
	v_mov_b32_e32 v147, 0
	v_dot4c_i32_i8_e32 v147, v88, v148
	v_dot4c_i32_i8_e32 v147, v89, v149
	;; [unrolled: 1-line block ×8, first 2 shown]
	v_pk_fma_f32 v[22:23], v[156:157], v[158:159], v[22:23]
	v_pk_mul_f32 v[156:157], v[80:81], v[118:119] op_sel_hi:[0,1]
	v_pk_mul_f32 v[118:119], v[86:87], v[118:119] op_sel_hi:[0,1]
	v_cvt_f32_i32_e32 v159, v147
	v_mov_b32_e32 v147, 0
	v_dot4c_i32_i8_e32 v147, v94, v148
	v_dot4c_i32_i8_e32 v147, v95, v149
	;; [unrolled: 1-line block ×8, first 2 shown]
	v_cvt_f32_i32_e32 v148, v162
	v_cvt_f32_i32_e32 v158, v161
	v_mov_b32_e32 v160, 0
	v_cvt_f32_i32_e32 v149, v147
	v_mov_b32_e32 v147, 0
	v_mov_b32_e32 v161, 0
	;; [unrolled: 1-line block ×3, first 2 shown]
	v_pk_fma_f32 v[18:19], v[118:119], v[148:149], v[18:19]
	ds_read2_b32 v[118:119], v140 offset0:128 offset1:160
	ds_read_b128 v[148:151], v145 offset:4096
	ds_read_b128 v[152:155], v145 offset:4112
	v_pk_fma_f32 v[20:21], v[156:157], v[158:159], v[20:21]
	v_mov_b32_e32 v158, 0
	s_waitcnt lgkmcnt(2)
	v_pk_mul_f32 v[156:157], v[82:83], v[118:119] op_sel_hi:[0,1]
	s_waitcnt lgkmcnt(1)
	v_dot4c_i32_i8_e32 v147, v90, v148
	v_dot4c_i32_i8_e32 v160, v84, v148
	;; [unrolled: 1-line block ×16, first 2 shown]
	s_waitcnt lgkmcnt(0)
	v_dot4c_i32_i8_e32 v147, v104, v152
	v_dot4c_i32_i8_e32 v160, v100, v152
	;; [unrolled: 1-line block ×16, first 2 shown]
	ds_read_b128 v[148:151], v145 offset:5120
	ds_read_b128 v[152:155], v145 offset:5136
	s_waitcnt lgkmcnt(1)
	v_dot4c_i32_i8_e32 v158, v90, v148
	v_dot4c_i32_i8_e32 v158, v91, v149
	;; [unrolled: 1-line block ×4, first 2 shown]
	s_waitcnt lgkmcnt(0)
	v_dot4c_i32_i8_e32 v158, v104, v152
	v_dot4c_i32_i8_e32 v158, v105, v153
	;; [unrolled: 1-line block ×4, first 2 shown]
	s_nop 2
	v_cvt_f32_i32_e32 v159, v158
	v_cvt_f32_i32_e32 v158, v147
	v_mov_b32_e32 v147, 0
	v_dot4c_i32_i8_e32 v147, v84, v148
	v_dot4c_i32_i8_e32 v147, v85, v149
	;; [unrolled: 1-line block ×8, first 2 shown]
	v_pk_fma_f32 v[16:17], v[156:157], v[158:159], v[16:17]
	v_cvt_f32_i32_e32 v158, v160
	v_pk_mul_f32 v[156:157], v[78:79], v[118:119] op_sel_hi:[0,1]
	v_cvt_f32_i32_e32 v159, v147
	v_mov_b32_e32 v147, 0
	v_dot4c_i32_i8_e32 v147, v88, v148
	v_dot4c_i32_i8_e32 v147, v89, v149
	;; [unrolled: 1-line block ×8, first 2 shown]
	v_pk_fma_f32 v[14:15], v[156:157], v[158:159], v[14:15]
	v_pk_mul_f32 v[156:157], v[80:81], v[118:119] op_sel_hi:[0,1]
	v_cvt_f32_i32_e32 v158, v161
	v_cvt_f32_i32_e32 v159, v147
	v_mov_b32_e32 v147, 0
	v_dot4c_i32_i8_e32 v147, v94, v148
	v_dot4c_i32_i8_e32 v147, v95, v149
	;; [unrolled: 1-line block ×8, first 2 shown]
	v_cvt_f32_i32_e32 v148, v162
	v_pk_mul_f32 v[118:119], v[86:87], v[118:119] op_sel_hi:[0,1]
	v_pk_fma_f32 v[12:13], v[156:157], v[158:159], v[12:13]
	v_cvt_f32_i32_e32 v149, v147
	v_mov_b32_e32 v147, 0
	v_mov_b32_e32 v156, 0
	v_mov_b32_e32 v157, 0
	v_pk_fma_f32 v[10:11], v[118:119], v[148:149], v[10:11]
	ds_read2_b32 v[118:119], v140 offset0:192 offset1:224
	ds_read_b128 v[148:151], v145 offset:6144
	ds_read_b128 v[152:155], v145 offset:6160
	v_mov_b32_e32 v158, 0
	v_mov_b32_e32 v159, 0
	v_add_u32_e32 v140, 4, v140
	s_waitcnt lgkmcnt(1)
	v_dot4c_i32_i8_e32 v147, v90, v148
	v_dot4c_i32_i8_e32 v156, v84, v148
	;; [unrolled: 1-line block ×16, first 2 shown]
	s_waitcnt lgkmcnt(0)
	v_dot4c_i32_i8_e32 v147, v104, v152
	v_dot4c_i32_i8_e32 v156, v100, v152
	;; [unrolled: 1-line block ×16, first 2 shown]
	ds_read_b128 v[148:151], v145 offset:7168
	ds_read_b128 v[152:155], v145 offset:7184
	v_add_u32_e32 v145, 32, v145
	s_waitcnt lgkmcnt(1)
	v_dot4c_i32_i8_e32 v159, v90, v148
	v_dot4c_i32_i8_e32 v159, v91, v149
	v_pk_mul_f32 v[90:91], v[82:83], v[118:119] op_sel_hi:[0,1]
	v_mov_b32_e32 v82, 0
	v_dot4c_i32_i8_e32 v82, v84, v148
	v_dot4c_i32_i8_e32 v82, v85, v149
	v_pk_mul_f32 v[84:85], v[78:79], v[118:119] op_sel_hi:[0,1]
	v_mov_b32_e32 v78, 0
	v_dot4c_i32_i8_e32 v78, v88, v148
	v_dot4c_i32_i8_e32 v78, v89, v149
	;; [unrolled: 1-line block ×6, first 2 shown]
	s_waitcnt lgkmcnt(0)
	v_dot4c_i32_i8_e32 v159, v104, v152
	v_dot4c_i32_i8_e32 v78, v106, v152
	;; [unrolled: 1-line block ×10, first 2 shown]
	v_cvt_f32_i32_e32 v98, v147
	v_cvt_f32_i32_e32 v99, v159
	v_dot4c_i32_i8_e32 v82, v100, v152
	v_cvt_f32_i32_e32 v89, v78
	v_mov_b32_e32 v78, 0
	v_dot4c_i32_i8_e32 v82, v101, v153
	v_dot4c_i32_i8_e32 v78, v94, v148
	;; [unrolled: 1-line block ×6, first 2 shown]
	v_pk_fma_f32 v[8:9], v[90:91], v[98:99], v[8:9]
	v_cvt_f32_i32_e32 v90, v156
	v_cvt_f32_i32_e32 v91, v82
	v_dot4c_i32_i8_e32 v78, v103, v151
	v_cvt_f32_i32_e32 v88, v157
	v_dot4c_i32_i8_e32 v78, v112, v152
	v_dot4c_i32_i8_e32 v78, v113, v153
	;; [unrolled: 1-line block ×3, first 2 shown]
	v_pk_fma_f32 v[6:7], v[84:85], v[90:91], v[6:7]
	v_pk_mul_f32 v[84:85], v[80:81], v[118:119] op_sel_hi:[0,1]
	v_dot4c_i32_i8_e32 v78, v117, v155
	v_pk_fma_f32 v[4:5], v[84:85], v[88:89], v[4:5]
	v_cvt_f32_i32_e32 v88, v158
	v_pk_mul_f32 v[84:85], v[86:87], v[118:119] op_sel_hi:[0,1]
	v_cvt_f32_i32_e32 v89, v78
	v_pk_fma_f32 v[2:3], v[84:85], v[88:89], v[2:3]
	s_cbranch_scc1 .LBB145_6
; %bb.7:                                ;   in Loop: Header=BB145_5 Depth=1
	s_add_i32 s0, s0, 4
	s_cmp_ge_i32 s0, s4
	s_barrier
	s_cbranch_scc0 .LBB145_5
; %bb.8:
	v_mov_b32_e32 v34, v37
.LBB145_9:
	v_cmp_gt_u32_e32 vcc, s8, v39
	s_and_saveexec_b64 s[0:1], vcc
	s_cbranch_execz .LBB145_60
; %bb.10:
	v_add_u32_e32 v0, s6, v1
	v_mul_lo_u32 v35, v39, s10
	v_cmp_gt_u32_e32 vcc, s10, v0
	s_and_saveexec_b64 s[0:1], vcc
	s_cbranch_execz .LBB145_12
; %bb.11:
	v_cvt_f16_f32_e32 v1, v32
	v_add_u32_e32 v36, v0, v35
	v_mov_b32_e32 v37, 0
	s_waitcnt lgkmcnt(0)
	v_lshl_add_u64 v[36:37], v[36:37], 1, s[12:13]
	global_store_short v[36:37], v1, off
.LBB145_12:
	s_or_b64 exec, exec, s[0:1]
	v_add_u32_e32 v1, 32, v0
	v_cmp_gt_u32_e64 s[0:1], s10, v1
	s_and_saveexec_b64 s[2:3], s[0:1]
	s_cbranch_execz .LBB145_14
; %bb.13:
	v_cvt_f16_f32_e32 v30, v30
	v_add_u32_e32 v36, v1, v35
	v_mov_b32_e32 v37, 0
	s_waitcnt lgkmcnt(0)
	v_lshl_add_u64 v[36:37], v[36:37], 1, s[12:13]
	global_store_short v[36:37], v30, off
.LBB145_14:
	s_or_b64 exec, exec, s[2:3]
	v_add_u32_e32 v30, 64, v0
	v_cmp_gt_u32_e64 s[2:3], s10, v30
	s_and_saveexec_b64 s[4:5], s[2:3]
	;; [unrolled: 13-line block ×3, first 2 shown]
	s_cbranch_execz .LBB145_18
; %bb.17:
	v_cvt_f16_f32_e32 v26, v26
	v_add_u32_e32 v36, v28, v35
	v_mov_b32_e32 v37, 0
	s_waitcnt lgkmcnt(0)
	v_lshl_add_u64 v[36:37], v[36:37], 1, s[12:13]
	global_store_short v[36:37], v26, off
.LBB145_18:
	s_or_b64 exec, exec, s[6:7]
	v_add3_u32 v26, v34, s11, 8
	v_cmp_gt_u32_e64 s[6:7], s8, v26
	s_and_b64 exec, exec, s[6:7]
	s_cbranch_execz .LBB145_60
; %bb.19:
	v_mul_lo_u32 v26, v26, s10
	s_and_saveexec_b64 s[6:7], vcc
	s_cbranch_execnz .LBB145_61
; %bb.20:
	s_or_b64 exec, exec, s[6:7]
	s_and_saveexec_b64 s[6:7], s[0:1]
	s_cbranch_execnz .LBB145_62
.LBB145_21:
	s_or_b64 exec, exec, s[6:7]
	s_and_saveexec_b64 s[6:7], s[2:3]
	s_cbranch_execnz .LBB145_63
.LBB145_22:
	s_or_b64 exec, exec, s[6:7]
	s_and_saveexec_b64 s[6:7], s[4:5]
	s_cbranch_execz .LBB145_24
.LBB145_23:
	v_cvt_f16_f32_e32 v29, v27
	v_add_u32_e32 v26, v26, v28
	v_mov_b32_e32 v27, 0
	s_waitcnt lgkmcnt(0)
	v_lshl_add_u64 v[26:27], v[26:27], 1, s[12:13]
	global_store_short v[26:27], v29, off
.LBB145_24:
	s_or_b64 exec, exec, s[6:7]
	v_add3_u32 v26, v34, s11, 16
	v_cmp_gt_u32_e64 s[6:7], s8, v26
	s_and_b64 exec, exec, s[6:7]
	s_cbranch_execz .LBB145_60
; %bb.25:
	v_mul_lo_u32 v26, v26, s10
	s_and_saveexec_b64 s[6:7], vcc
	s_cbranch_execnz .LBB145_64
; %bb.26:
	s_or_b64 exec, exec, s[6:7]
	s_and_saveexec_b64 s[6:7], s[0:1]
	s_cbranch_execnz .LBB145_65
.LBB145_27:
	s_or_b64 exec, exec, s[6:7]
	s_and_saveexec_b64 s[6:7], s[2:3]
	s_cbranch_execnz .LBB145_66
.LBB145_28:
	s_or_b64 exec, exec, s[6:7]
	s_and_saveexec_b64 s[6:7], s[4:5]
	s_cbranch_execz .LBB145_30
.LBB145_29:
	v_cvt_f16_f32_e32 v18, v18
	v_add_u32_e32 v26, v26, v28
	v_mov_b32_e32 v27, 0
	s_waitcnt lgkmcnt(0)
	v_lshl_add_u64 v[26:27], v[26:27], 1, s[12:13]
	global_store_short v[26:27], v18, off
.LBB145_30:
	s_or_b64 exec, exec, s[6:7]
	v_add3_u32 v18, v34, s11, 24
	v_cmp_gt_u32_e64 s[6:7], s8, v18
	s_and_b64 exec, exec, s[6:7]
	s_cbranch_execz .LBB145_60
; %bb.31:
	v_mul_lo_u32 v18, v18, s10
	s_and_saveexec_b64 s[6:7], vcc
	s_cbranch_execnz .LBB145_67
; %bb.32:
	s_or_b64 exec, exec, s[6:7]
	s_and_saveexec_b64 s[6:7], s[0:1]
	s_cbranch_execnz .LBB145_68
.LBB145_33:
	s_or_b64 exec, exec, s[6:7]
	s_and_saveexec_b64 s[6:7], s[2:3]
	s_cbranch_execnz .LBB145_69
.LBB145_34:
	s_or_b64 exec, exec, s[6:7]
	s_and_saveexec_b64 s[6:7], s[4:5]
	s_cbranch_execz .LBB145_36
.LBB145_35:
	v_cvt_f16_f32_e32 v20, v19
	v_add_u32_e32 v18, v18, v28
	v_mov_b32_e32 v19, 0
	s_waitcnt lgkmcnt(0)
	v_lshl_add_u64 v[18:19], v[18:19], 1, s[12:13]
	global_store_short v[18:19], v20, off
.LBB145_36:
	s_or_b64 exec, exec, s[6:7]
	v_add3_u32 v18, v34, s11, 32
	v_cmp_gt_u32_e64 s[6:7], s8, v18
	s_and_b64 exec, exec, s[6:7]
	s_cbranch_execz .LBB145_60
; %bb.37:
	v_mul_lo_u32 v18, v18, s10
	s_and_saveexec_b64 s[6:7], vcc
	s_cbranch_execnz .LBB145_70
; %bb.38:
	s_or_b64 exec, exec, s[6:7]
	s_and_saveexec_b64 s[6:7], s[0:1]
	s_cbranch_execnz .LBB145_71
.LBB145_39:
	s_or_b64 exec, exec, s[6:7]
	s_and_saveexec_b64 s[6:7], s[2:3]
	s_cbranch_execnz .LBB145_72
.LBB145_40:
	s_or_b64 exec, exec, s[6:7]
	s_and_saveexec_b64 s[6:7], s[4:5]
	s_cbranch_execz .LBB145_42
.LBB145_41:
	v_cvt_f16_f32_e32 v10, v10
	v_add_u32_e32 v18, v18, v28
	v_mov_b32_e32 v19, 0
	s_waitcnt lgkmcnt(0)
	v_lshl_add_u64 v[18:19], v[18:19], 1, s[12:13]
	global_store_short v[18:19], v10, off
.LBB145_42:
	s_or_b64 exec, exec, s[6:7]
	v_add3_u32 v10, v34, s11, 40
	v_cmp_gt_u32_e64 s[6:7], s8, v10
	s_and_b64 exec, exec, s[6:7]
	s_cbranch_execz .LBB145_60
; %bb.43:
	v_mul_lo_u32 v10, v10, s10
	s_and_saveexec_b64 s[6:7], vcc
	s_cbranch_execnz .LBB145_73
; %bb.44:
	s_or_b64 exec, exec, s[6:7]
	s_and_saveexec_b64 s[6:7], s[0:1]
	s_cbranch_execnz .LBB145_74
.LBB145_45:
	s_or_b64 exec, exec, s[6:7]
	s_and_saveexec_b64 s[6:7], s[2:3]
	s_cbranch_execnz .LBB145_75
.LBB145_46:
	s_or_b64 exec, exec, s[6:7]
	s_and_saveexec_b64 s[6:7], s[4:5]
	s_cbranch_execz .LBB145_48
.LBB145_47:
	v_cvt_f16_f32_e32 v12, v11
	v_add_u32_e32 v10, v10, v28
	v_mov_b32_e32 v11, 0
	s_waitcnt lgkmcnt(0)
	v_lshl_add_u64 v[10:11], v[10:11], 1, s[12:13]
	global_store_short v[10:11], v12, off
.LBB145_48:
	s_or_b64 exec, exec, s[6:7]
	v_add3_u32 v10, v34, s11, 48
	v_cmp_gt_u32_e64 s[6:7], s8, v10
	s_and_b64 exec, exec, s[6:7]
	s_cbranch_execz .LBB145_60
; %bb.49:
	v_mul_lo_u32 v10, v10, s10
	s_and_saveexec_b64 s[6:7], vcc
	s_cbranch_execnz .LBB145_76
; %bb.50:
	s_or_b64 exec, exec, s[6:7]
	s_and_saveexec_b64 s[6:7], s[0:1]
	s_cbranch_execnz .LBB145_77
.LBB145_51:
	s_or_b64 exec, exec, s[6:7]
	s_and_saveexec_b64 s[6:7], s[2:3]
	s_cbranch_execnz .LBB145_78
.LBB145_52:
	s_or_b64 exec, exec, s[6:7]
	s_and_saveexec_b64 s[6:7], s[4:5]
	s_cbranch_execz .LBB145_54
.LBB145_53:
	v_cvt_f16_f32_e32 v2, v2
	v_add_u32_e32 v10, v10, v28
	v_mov_b32_e32 v11, 0
	s_waitcnt lgkmcnt(0)
	v_lshl_add_u64 v[10:11], v[10:11], 1, s[12:13]
	global_store_short v[10:11], v2, off
.LBB145_54:
	s_or_b64 exec, exec, s[6:7]
	v_add3_u32 v2, v34, s11, 56
	v_cmp_gt_u32_e64 s[6:7], s8, v2
	s_and_b64 exec, exec, s[6:7]
	s_cbranch_execz .LBB145_60
; %bb.55:
	v_mul_lo_u32 v2, v2, s10
	s_and_saveexec_b64 s[6:7], vcc
	s_cbranch_execnz .LBB145_79
; %bb.56:
	s_or_b64 exec, exec, s[6:7]
	s_and_saveexec_b64 s[6:7], s[0:1]
	s_cbranch_execnz .LBB145_80
.LBB145_57:
	s_or_b64 exec, exec, s[6:7]
	s_and_saveexec_b64 s[0:1], s[2:3]
	s_cbranch_execnz .LBB145_81
.LBB145_58:
	s_or_b64 exec, exec, s[0:1]
	s_and_b64 exec, exec, s[4:5]
	s_cbranch_execz .LBB145_60
.LBB145_59:
	v_cvt_f16_f32_e32 v3, v3
	v_add_u32_e32 v0, v2, v28
	v_mov_b32_e32 v1, 0
	s_waitcnt lgkmcnt(0)
	v_lshl_add_u64 v[0:1], v[0:1], 1, s[12:13]
	global_store_short v[0:1], v3, off
.LBB145_60:
	s_endpgm
.LBB145_61:
	v_cvt_f16_f32_e32 v35, v33
	v_add_u32_e32 v32, v26, v0
	v_mov_b32_e32 v33, 0
	s_waitcnt lgkmcnt(0)
	v_lshl_add_u64 v[32:33], v[32:33], 1, s[12:13]
	global_store_short v[32:33], v35, off
	s_or_b64 exec, exec, s[6:7]
	s_and_saveexec_b64 s[6:7], s[0:1]
	s_cbranch_execz .LBB145_21
.LBB145_62:
	v_cvt_f16_f32_e32 v31, v31
	v_add_u32_e32 v32, v26, v1
	v_mov_b32_e32 v33, 0
	s_waitcnt lgkmcnt(0)
	v_lshl_add_u64 v[32:33], v[32:33], 1, s[12:13]
	global_store_short v[32:33], v31, off
	s_or_b64 exec, exec, s[6:7]
	s_and_saveexec_b64 s[6:7], s[2:3]
	s_cbranch_execz .LBB145_22
.LBB145_63:
	v_cvt_f16_f32_e32 v29, v29
	v_add_u32_e32 v32, v26, v30
	v_mov_b32_e32 v33, 0
	s_waitcnt lgkmcnt(0)
	v_lshl_add_u64 v[32:33], v[32:33], 1, s[12:13]
	global_store_short v[32:33], v29, off
	s_or_b64 exec, exec, s[6:7]
	s_and_saveexec_b64 s[6:7], s[4:5]
	s_cbranch_execnz .LBB145_23
	s_branch .LBB145_24
.LBB145_64:
	v_cvt_f16_f32_e32 v24, v24
	v_add_u32_e32 v32, v26, v0
	v_mov_b32_e32 v33, 0
	s_waitcnt lgkmcnt(0)
	v_lshl_add_u64 v[32:33], v[32:33], 1, s[12:13]
	global_store_short v[32:33], v24, off
	s_or_b64 exec, exec, s[6:7]
	s_and_saveexec_b64 s[6:7], s[0:1]
	s_cbranch_execz .LBB145_27
.LBB145_65:
	v_cvt_f16_f32_e32 v22, v22
	v_add_u32_e32 v32, v26, v1
	v_mov_b32_e32 v33, 0
	s_waitcnt lgkmcnt(0)
	v_lshl_add_u64 v[32:33], v[32:33], 1, s[12:13]
	global_store_short v[32:33], v22, off
	s_or_b64 exec, exec, s[6:7]
	s_and_saveexec_b64 s[6:7], s[2:3]
	s_cbranch_execz .LBB145_28
.LBB145_66:
	v_cvt_f16_f32_e32 v20, v20
	v_add_u32_e32 v32, v26, v30
	v_mov_b32_e32 v33, 0
	s_waitcnt lgkmcnt(0)
	v_lshl_add_u64 v[32:33], v[32:33], 1, s[12:13]
	global_store_short v[32:33], v20, off
	s_or_b64 exec, exec, s[6:7]
	s_and_saveexec_b64 s[6:7], s[4:5]
	s_cbranch_execnz .LBB145_29
	s_branch .LBB145_30
.LBB145_67:
	v_cvt_f16_f32_e32 v20, v25
	v_add_u32_e32 v24, v18, v0
	v_mov_b32_e32 v25, 0
	s_waitcnt lgkmcnt(0)
	v_lshl_add_u64 v[24:25], v[24:25], 1, s[12:13]
	global_store_short v[24:25], v20, off
	s_or_b64 exec, exec, s[6:7]
	s_and_saveexec_b64 s[6:7], s[0:1]
	s_cbranch_execz .LBB145_33
.LBB145_68:
	v_cvt_f16_f32_e32 v20, v23
	v_add_u32_e32 v22, v18, v1
	v_mov_b32_e32 v23, 0
	s_waitcnt lgkmcnt(0)
	v_lshl_add_u64 v[22:23], v[22:23], 1, s[12:13]
	global_store_short v[22:23], v20, off
	s_or_b64 exec, exec, s[6:7]
	s_and_saveexec_b64 s[6:7], s[2:3]
	s_cbranch_execz .LBB145_34
.LBB145_69:
	v_cvt_f16_f32_e32 v22, v21
	v_add_u32_e32 v20, v18, v30
	v_mov_b32_e32 v21, 0
	s_waitcnt lgkmcnt(0)
	v_lshl_add_u64 v[20:21], v[20:21], 1, s[12:13]
	global_store_short v[20:21], v22, off
	s_or_b64 exec, exec, s[6:7]
	s_and_saveexec_b64 s[6:7], s[4:5]
	s_cbranch_execnz .LBB145_35
	s_branch .LBB145_36
.LBB145_70:
	v_cvt_f16_f32_e32 v16, v16
	v_add_u32_e32 v20, v18, v0
	v_mov_b32_e32 v21, 0
	s_waitcnt lgkmcnt(0)
	v_lshl_add_u64 v[20:21], v[20:21], 1, s[12:13]
	global_store_short v[20:21], v16, off
	s_or_b64 exec, exec, s[6:7]
	s_and_saveexec_b64 s[6:7], s[0:1]
	s_cbranch_execz .LBB145_39
.LBB145_71:
	v_cvt_f16_f32_e32 v14, v14
	v_add_u32_e32 v20, v18, v1
	v_mov_b32_e32 v21, 0
	s_waitcnt lgkmcnt(0)
	v_lshl_add_u64 v[20:21], v[20:21], 1, s[12:13]
	global_store_short v[20:21], v14, off
	s_or_b64 exec, exec, s[6:7]
	s_and_saveexec_b64 s[6:7], s[2:3]
	s_cbranch_execz .LBB145_40
.LBB145_72:
	v_cvt_f16_f32_e32 v12, v12
	v_add_u32_e32 v20, v18, v30
	v_mov_b32_e32 v21, 0
	s_waitcnt lgkmcnt(0)
	v_lshl_add_u64 v[20:21], v[20:21], 1, s[12:13]
	global_store_short v[20:21], v12, off
	s_or_b64 exec, exec, s[6:7]
	s_and_saveexec_b64 s[6:7], s[4:5]
	s_cbranch_execnz .LBB145_41
	s_branch .LBB145_42
.LBB145_73:
	v_cvt_f16_f32_e32 v12, v17
	v_add_u32_e32 v16, v10, v0
	v_mov_b32_e32 v17, 0
	s_waitcnt lgkmcnt(0)
	v_lshl_add_u64 v[16:17], v[16:17], 1, s[12:13]
	global_store_short v[16:17], v12, off
	s_or_b64 exec, exec, s[6:7]
	s_and_saveexec_b64 s[6:7], s[0:1]
	s_cbranch_execz .LBB145_45
.LBB145_74:
	v_cvt_f16_f32_e32 v12, v15
	v_add_u32_e32 v14, v10, v1
	v_mov_b32_e32 v15, 0
	s_waitcnt lgkmcnt(0)
	v_lshl_add_u64 v[14:15], v[14:15], 1, s[12:13]
	global_store_short v[14:15], v12, off
	s_or_b64 exec, exec, s[6:7]
	s_and_saveexec_b64 s[6:7], s[2:3]
	s_cbranch_execz .LBB145_46
.LBB145_75:
	v_cvt_f16_f32_e32 v14, v13
	v_add_u32_e32 v12, v10, v30
	v_mov_b32_e32 v13, 0
	s_waitcnt lgkmcnt(0)
	v_lshl_add_u64 v[12:13], v[12:13], 1, s[12:13]
	global_store_short v[12:13], v14, off
	s_or_b64 exec, exec, s[6:7]
	s_and_saveexec_b64 s[6:7], s[4:5]
	s_cbranch_execnz .LBB145_47
	s_branch .LBB145_48
.LBB145_76:
	v_cvt_f16_f32_e32 v8, v8
	v_add_u32_e32 v12, v10, v0
	v_mov_b32_e32 v13, 0
	s_waitcnt lgkmcnt(0)
	v_lshl_add_u64 v[12:13], v[12:13], 1, s[12:13]
	global_store_short v[12:13], v8, off
	s_or_b64 exec, exec, s[6:7]
	s_and_saveexec_b64 s[6:7], s[0:1]
	s_cbranch_execz .LBB145_51
.LBB145_77:
	v_cvt_f16_f32_e32 v6, v6
	v_add_u32_e32 v12, v10, v1
	v_mov_b32_e32 v13, 0
	s_waitcnt lgkmcnt(0)
	v_lshl_add_u64 v[12:13], v[12:13], 1, s[12:13]
	global_store_short v[12:13], v6, off
	s_or_b64 exec, exec, s[6:7]
	s_and_saveexec_b64 s[6:7], s[2:3]
	s_cbranch_execz .LBB145_52
.LBB145_78:
	v_cvt_f16_f32_e32 v4, v4
	v_add_u32_e32 v12, v10, v30
	v_mov_b32_e32 v13, 0
	s_waitcnt lgkmcnt(0)
	v_lshl_add_u64 v[12:13], v[12:13], 1, s[12:13]
	global_store_short v[12:13], v4, off
	s_or_b64 exec, exec, s[6:7]
	s_and_saveexec_b64 s[6:7], s[4:5]
	s_cbranch_execnz .LBB145_53
	s_branch .LBB145_54
.LBB145_79:
	v_cvt_f16_f32_e32 v4, v9
	v_add_u32_e32 v8, v2, v0
	v_mov_b32_e32 v9, 0
	s_waitcnt lgkmcnt(0)
	v_lshl_add_u64 v[8:9], v[8:9], 1, s[12:13]
	global_store_short v[8:9], v4, off
	s_or_b64 exec, exec, s[6:7]
	s_and_saveexec_b64 s[6:7], s[0:1]
	s_cbranch_execz .LBB145_57
.LBB145_80:
	v_cvt_f16_f32_e32 v4, v7
	v_add_u32_e32 v0, v2, v1
	v_mov_b32_e32 v1, 0
	s_waitcnt lgkmcnt(0)
	v_lshl_add_u64 v[0:1], v[0:1], 1, s[12:13]
	global_store_short v[0:1], v4, off
	s_or_b64 exec, exec, s[6:7]
	s_and_saveexec_b64 s[0:1], s[2:3]
	s_cbranch_execz .LBB145_58
.LBB145_81:
	v_cvt_f16_f32_e32 v4, v5
	v_add_u32_e32 v0, v2, v30
	v_mov_b32_e32 v1, 0
	s_waitcnt lgkmcnt(0)
	v_lshl_add_u64 v[0:1], v[0:1], 1, s[12:13]
	global_store_short v[0:1], v4, off
	s_or_b64 exec, exec, s[0:1]
	s_and_b64 exec, exec, s[4:5]
	s_cbranch_execnz .LBB145_59
	s_branch .LBB145_60
	.section	.rodata,"a",@progbits
	.p2align	6, 0x0
	.amdhsa_kernel _ZL12mul_mat_q8_0IN3c104HalfELb0EEvPKvS3_PT_iiiii
		.amdhsa_group_segment_fixed_size 28224
		.amdhsa_private_segment_fixed_size 0
		.amdhsa_kernarg_size 44
		.amdhsa_user_sgpr_count 2
		.amdhsa_user_sgpr_dispatch_ptr 0
		.amdhsa_user_sgpr_queue_ptr 0
		.amdhsa_user_sgpr_kernarg_segment_ptr 1
		.amdhsa_user_sgpr_dispatch_id 0
		.amdhsa_user_sgpr_kernarg_preload_length 0
		.amdhsa_user_sgpr_kernarg_preload_offset 0
		.amdhsa_user_sgpr_private_segment_size 0
		.amdhsa_uses_dynamic_stack 0
		.amdhsa_enable_private_segment 0
		.amdhsa_system_sgpr_workgroup_id_x 1
		.amdhsa_system_sgpr_workgroup_id_y 1
		.amdhsa_system_sgpr_workgroup_id_z 0
		.amdhsa_system_sgpr_workgroup_info 0
		.amdhsa_system_vgpr_workitem_id 1
		.amdhsa_next_free_vgpr 163
		.amdhsa_next_free_sgpr 18
		.amdhsa_accum_offset 164
		.amdhsa_reserve_vcc 1
		.amdhsa_float_round_mode_32 0
		.amdhsa_float_round_mode_16_64 0
		.amdhsa_float_denorm_mode_32 3
		.amdhsa_float_denorm_mode_16_64 3
		.amdhsa_dx10_clamp 1
		.amdhsa_ieee_mode 1
		.amdhsa_fp16_overflow 0
		.amdhsa_tg_split 0
		.amdhsa_exception_fp_ieee_invalid_op 0
		.amdhsa_exception_fp_denorm_src 0
		.amdhsa_exception_fp_ieee_div_zero 0
		.amdhsa_exception_fp_ieee_overflow 0
		.amdhsa_exception_fp_ieee_underflow 0
		.amdhsa_exception_fp_ieee_inexact 0
		.amdhsa_exception_int_div_zero 0
	.end_amdhsa_kernel
	.section	.text._ZL12mul_mat_q8_0IN3c104HalfELb0EEvPKvS3_PT_iiiii,"axG",@progbits,_ZL12mul_mat_q8_0IN3c104HalfELb0EEvPKvS3_PT_iiiii,comdat
.Lfunc_end145:
	.size	_ZL12mul_mat_q8_0IN3c104HalfELb0EEvPKvS3_PT_iiiii, .Lfunc_end145-_ZL12mul_mat_q8_0IN3c104HalfELb0EEvPKvS3_PT_iiiii
                                        ; -- End function
	.section	.AMDGPU.csdata,"",@progbits
; Kernel info:
; codeLenInByte = 6180
; NumSgprs: 24
; NumVgprs: 163
; NumAgprs: 0
; TotalNumVgprs: 163
; ScratchSize: 0
; MemoryBound: 0
; FloatMode: 240
; IeeeMode: 1
; LDSByteSize: 28224 bytes/workgroup (compile time only)
; SGPRBlocks: 2
; VGPRBlocks: 20
; NumSGPRsForWavesPerEU: 24
; NumVGPRsForWavesPerEU: 163
; AccumOffset: 164
; Occupancy: 2
; WaveLimiterHint : 0
; COMPUTE_PGM_RSRC2:SCRATCH_EN: 0
; COMPUTE_PGM_RSRC2:USER_SGPR: 2
; COMPUTE_PGM_RSRC2:TRAP_HANDLER: 0
; COMPUTE_PGM_RSRC2:TGID_X_EN: 1
; COMPUTE_PGM_RSRC2:TGID_Y_EN: 1
; COMPUTE_PGM_RSRC2:TGID_Z_EN: 0
; COMPUTE_PGM_RSRC2:TIDIG_COMP_CNT: 1
; COMPUTE_PGM_RSRC3_GFX90A:ACCUM_OFFSET: 40
; COMPUTE_PGM_RSRC3_GFX90A:TG_SPLIT: 0
	.section	.text._ZL12mul_mat_q8_0IN3c104HalfELb1EEvPKvS3_PT_iiiii,"axG",@progbits,_ZL12mul_mat_q8_0IN3c104HalfELb1EEvPKvS3_PT_iiiii,comdat
	.globl	_ZL12mul_mat_q8_0IN3c104HalfELb1EEvPKvS3_PT_iiiii ; -- Begin function _ZL12mul_mat_q8_0IN3c104HalfELb1EEvPKvS3_PT_iiiii
	.p2align	8
	.type	_ZL12mul_mat_q8_0IN3c104HalfELb1EEvPKvS3_PT_iiiii,@function
_ZL12mul_mat_q8_0IN3c104HalfELb1EEvPKvS3_PT_iiiii: ; @_ZL12mul_mat_q8_0IN3c104HalfELb1EEvPKvS3_PT_iiiii
; %bb.0:
	s_load_dwordx4 s[8:11], s[0:1], 0x18
	s_load_dword s14, s[0:1], 0x28
	s_lshl_b32 s15, s3, 6
	v_bfe_u32 v37, v0, 10, 10
	s_waitcnt lgkmcnt(0)
	s_cmp_gt_i32 s8, 31
	s_cbranch_scc1 .LBB146_2
; %bb.1:
	v_bfe_u32 v34, v0, 10, 10
	v_and_b32_e32 v1, 0x3ff, v0
	v_add_u32_e32 v39, s15, v34
	s_mov_b64 s[4:5], 0
	s_mov_b32 s3, 0
	s_branch .LBB146_3
.LBB146_2:
	s_mov_b64 s[4:5], -1
                                        ; implicit-def: $sgpr3
                                        ; implicit-def: $vgpr34
                                        ; implicit-def: $vgpr1
                                        ; implicit-def: $vgpr39
.LBB146_3:
	s_load_dwordx2 s[12:13], s[0:1], 0x10
	s_lshl_b32 s6, s2, 7
	s_andn2_b64 vcc, exec, s[4:5]
	v_mov_b32_e32 v3, s3
	v_mov_b32_e32 v2, s3
	v_mov_b32_e32 v11, s3
	v_mov_b32_e32 v10, s3
	v_mov_b32_e32 v19, s3
	v_mov_b32_e32 v18, s3
	v_mov_b32_e32 v27, s3
	v_mov_b32_e32 v26, s3
	v_mov_b32_e32 v5, s3
	v_mov_b32_e32 v4, s3
	v_mov_b32_e32 v13, s3
	v_mov_b32_e32 v12, s3
	v_mov_b32_e32 v21, s3
	v_mov_b32_e32 v20, s3
	v_mov_b32_e32 v29, s3
	v_mov_b32_e32 v28, s3
	v_mov_b32_e32 v7, s3
	v_mov_b32_e32 v6, s3
	v_mov_b32_e32 v15, s3
	v_mov_b32_e32 v14, s3
	v_mov_b32_e32 v23, s3
	v_mov_b32_e32 v22, s3
	v_mov_b32_e32 v31, s3
	v_mov_b32_e32 v30, s3
	v_mov_b32_e32 v9, s3
	v_mov_b32_e32 v8, s3
	v_mov_b32_e32 v17, s3
	v_mov_b32_e32 v16, s3
	v_mov_b32_e32 v25, s3
	v_mov_b32_e32 v24, s3
	v_mov_b32_e32 v33, s3
	v_mov_b32_e32 v32, s3
	s_cbranch_vccnz .LBB146_9
; %bb.4:
	s_ashr_i32 s4, s8, 31
	s_load_dwordx4 s[0:3], s[0:1], 0x0
	s_lshr_b32 s4, s4, 27
	s_ashr_i32 s5, s11, 31
	s_add_i32 s4, s8, s4
	s_lshr_b32 s5, s5, 27
	s_ashr_i32 s4, s4, 5
	s_add_i32 s5, s11, s5
	s_ashr_i32 s11, s5, 5
	s_mul_i32 s5, s4, s6
	s_mul_hi_i32 s7, s5, 34
	s_mul_i32 s5, s5, 34
	s_waitcnt lgkmcnt(0)
	s_add_u32 s5, s0, s5
	s_addc_u32 s7, s1, s7
	s_not_b32 s0, s6
	s_add_i32 s1, s0, s9
	v_and_b32_e32 v1, 0x3ff, v0
	v_lshlrev_b32_e32 v2, 2, v1
	v_min_i32_e32 v3, s1, v37
	s_movk_i32 s16, 0x84
	v_add_u32_e32 v6, 8, v37
	v_mul_lo_u32 v36, v3, s4
	v_mad_u64_u32 v[38:39], s[8:9], v3, s16, v[2:3]
	v_min_i32_e32 v3, s1, v6
	v_add_u32_e32 v7, 16, v37
	v_mul_lo_u32 v40, v3, s4
	v_mad_u64_u32 v[42:43], s[8:9], v3, s16, v[2:3]
	v_min_i32_e32 v3, s1, v7
	;; [unrolled: 4-line block ×7, first 2 shown]
	v_mul_lo_u32 v64, v3, s4
	v_mad_u64_u32 v[66:67], s[8:9], v3, s16, v[2:3]
	v_add_u32_e32 v3, 64, v37
	v_min_i32_e32 v3, s1, v3
	v_mul_lo_u32 v68, v3, s4
	v_mad_u64_u32 v[70:71], s[8:9], v3, s16, v[2:3]
	v_add_u32_e32 v3, 0x48, v37
	v_min_i32_e32 v3, s1, v3
	;; [unrolled: 4-line block ×8, first 2 shown]
	v_and_b32_e32 v34, 28, v2
	v_mad_u64_u32 v[98:99], s[8:9], v3, s16, v[2:3]
	v_lshrrev_b32_e32 v2, 2, v1
	v_lshl_add_u32 v4, v37, 3, v2
	v_min_i32_e32 v2, s1, v4
	v_mul_lo_u32 v96, v3, s4
	v_ashrrev_i32_e32 v3, 31, v2
	v_lshrrev_b32_e32 v3, 29, v3
	v_add_u32_e32 v3, v2, v3
	v_and_b32_e32 v100, 3, v1
	v_mul_lo_u32 v102, v2, s4
	v_ashrrev_i32_e32 v3, 3, v3
	v_lshlrev_b32_e32 v14, 4, v2
	v_add_u32_e32 v2, 64, v4
	v_lshlrev_b32_e32 v3, 2, v3
	v_lshlrev_b32_e32 v5, 2, v100
	s_movk_i32 s16, 0x6200
	v_min_i32_e32 v2, s1, v2
	v_add3_u32 v13, v3, v5, s16
	v_ashrrev_i32_e32 v3, 31, v2
	v_lshrrev_b32_e32 v3, 29, v3
	v_add_u32_e32 v3, v2, v3
	v_ashrrev_i32_e32 v3, 3, v3
	v_and_b32_e32 v4, 63, v4
	v_lshlrev_b32_e32 v3, 2, v3
	v_add_u32_e32 v39, s15, v37
	s_add_i32 s1, s10, -1
	v_or_b32_e32 v18, s15, v4
	v_lshl_or_b32 v4, v4, 4, v5
	v_mul_lo_u32 v104, v2, s4
	v_add3_u32 v15, v3, v5, s16
	v_lshlrev_b32_e32 v16, 4, v2
	v_cvt_f64_i32_e32 v[2:3], s1
	v_add_u32_e32 v41, 0x6a40, v4
	v_cvt_f64_u32_e32 v[4:5], v39
	v_and_b32_e32 v17, 31, v1
	v_min_i32_e32 v18, s1, v18
	v_min_f64 v[4:5], v[4:5], v[2:3]
	v_mad_u64_u32 v[108:109], s[8:9], v18, s11, v[100:101]
	v_cvt_i32_f64_e32 v4, v[4:5]
	v_lshlrev_b32_e32 v17, 2, v17
	v_lshlrev_b32_e32 v18, 7, v37
	v_mul_lo_u32 v43, s11, v4
	v_or_b32_e32 v4, v18, v17
	v_add_u32_e32 v45, 0x4200, v4
	v_add_u32_e32 v4, 8, v39
	v_cvt_f64_u32_e32 v[4:5], v4
	v_min_f64 v[4:5], v[4:5], v[2:3]
	v_cvt_i32_f64_e32 v4, v[4:5]
	v_mul_lo_u32 v47, s11, v4
	v_lshl_or_b32 v4, v6, 7, v17
	v_add_u32_e32 v49, 0x4200, v4
	v_add_u32_e32 v4, 16, v39
	v_cvt_f64_u32_e32 v[4:5], v4
	v_min_f64 v[4:5], v[4:5], v[2:3]
	v_cvt_i32_f64_e32 v4, v[4:5]
	v_mul_lo_u32 v51, s11, v4
	v_lshl_or_b32 v4, v7, 7, v17
	;; [unrolled: 7-line block ×6, first 2 shown]
	v_add_u32_e32 v69, 0x4200, v4
	v_add_u32_e32 v4, 56, v39
	v_cvt_f64_u32_e32 v[4:5], v4
	v_min_f64 v[2:3], v[4:5], v[2:3]
	v_cvt_i32_f64_e32 v2, v[2:3]
	v_add_u32_e32 v4, 0x60, v1
	v_mul_lo_u32 v71, s11, v2
	v_lshl_or_b32 v2, v12, 7, v17
	v_add_u32_e32 v3, 64, v1
	v_lshrrev_b32_e32 v4, 1, v4
	v_add_u32_e32 v73, 0x4200, v2
	v_add_u32_e32 v2, 32, v1
	v_lshlrev_b32_e32 v5, 4, v1
	v_and_b32_e32 v4, 0xfc, v4
	s_movk_i32 s1, 0x6800
	v_lshrrev_b32_e32 v3, 1, v3
	v_add3_u32 v79, v5, v4, s1
	v_and_b32_e32 v3, 0xfc, v3
	s_movk_i32 s1, 0x6600
	v_lshrrev_b32_e32 v2, 1, v2
	v_lshrrev_b32_e32 v0, 3, v1
	v_add3_u32 v81, v5, v3, s1
	v_and_b32_e32 v2, 0xfc, v2
	s_movk_i32 s1, 0x6400
	s_mov_b32 s0, 0
	v_add3_u32 v83, v5, v2, s1
	v_lshlrev_b32_e32 v2, 2, v0
	v_mov_b32_e32 v35, 0
	v_add3_u32 v85, v5, v2, s16
	v_mov_b32_e32 v2, 0x6a40
	s_mov_b32 s1, s0
	v_lshl_add_u64 v[106:107], s[2:3], 0, v[34:35]
	v_mul_u32_u24_e32 v75, 0x84, v1
	v_add_u32_e32 v77, 0x4200, v18
	v_lshl_add_u32 v87, v37, 4, v2
	v_mov_b64_e32 v[32:33], s[0:1]
	v_add_u32_e32 v89, v13, v14
	v_add_u32_e32 v91, v15, v16
	v_mov_b64_e32 v[24:25], s[0:1]
	v_mov_b64_e32 v[16:17], s[0:1]
	;; [unrolled: 1-line block ×15, first 2 shown]
.LBB146_5:                              ; =>This Loop Header: Depth=1
                                        ;     Child Loop BB146_6 Depth 2
	s_mul_i32 s8, s0, 34
	s_mul_hi_u32 s1, s0, 34
	s_add_u32 s8, s5, s8
	s_addc_u32 s9, s7, s1
	v_mad_u64_u32 v[110:111], s[16:17], v0, 34, s[8:9]
	v_lshl_add_u64 v[110:111], v[110:111], 0, v[34:35]
	v_lshl_add_u64 v[110:111], v[110:111], 0, 2
	v_mad_i64_i32 v[112:113], s[16:17], v36, 34, v[110:111]
	v_mad_i64_i32 v[114:115], s[16:17], v40, 34, v[110:111]
	;; [unrolled: 1-line block ×8, first 2 shown]
	global_load_dword v93, v[112:113], off
	global_load_dword v95, v[114:115], off
	;; [unrolled: 1-line block ×8, first 2 shown]
	v_mad_i64_i32 v[112:113], s[16:17], v68, 34, v[110:111]
	v_mad_i64_i32 v[114:115], s[16:17], v72, 34, v[110:111]
	;; [unrolled: 1-line block ×8, first 2 shown]
	global_load_dword v128, v[112:113], off
	global_load_dword v129, v[114:115], off
                                        ; kill: killed $vgpr114_vgpr115
                                        ; kill: killed $vgpr112_vgpr113
	global_load_dword v130, v[116:117], off
	global_load_dword v131, v[118:119], off
	;; [unrolled: 1-line block ×4, first 2 shown]
                                        ; kill: killed $vgpr116_vgpr117
                                        ; kill: killed $vgpr122_vgpr123
                                        ; kill: killed $vgpr120_vgpr121
                                        ; kill: killed $vgpr118_vgpr119
	global_load_dword v134, v[124:125], off
	global_load_dword v135, v[110:111], off
	v_mad_u64_u32 v[110:111], s[8:9], v100, 34, s[8:9]
	v_mad_i64_i32 v[112:113], s[8:9], v102, 34, v[110:111]
	v_mad_i64_i32 v[110:111], s[8:9], v104, 34, v[110:111]
	v_add_u32_e32 v124, s0, v0
	global_load_ushort v136, v[112:113], off
	global_load_ushort v137, v[110:111], off
	v_add_u32_e32 v110, v124, v43
	v_add_u32_e32 v112, v124, v47
	;; [unrolled: 1-line block ×5, first 2 shown]
	v_mad_i64_i32 v[110:111], s[8:9], v110, 36, v[106:107]
	v_mad_i64_i32 v[112:113], s[8:9], v112, 36, v[106:107]
	;; [unrolled: 1-line block ×5, first 2 shown]
	v_add_u32_e32 v120, v124, v63
	v_add_u32_e32 v122, v124, v67
	;; [unrolled: 1-line block ×4, first 2 shown]
	v_mad_i64_i32 v[120:121], s[8:9], v120, 36, v[106:107]
	v_mad_i64_i32 v[122:123], s[8:9], v122, 36, v[106:107]
	;; [unrolled: 1-line block ×3, first 2 shown]
	v_mad_u64_u32 v[126:127], s[8:9], v126, 36, s[2:3]
	global_load_dword v110, v[110:111], off offset:4
	s_nop 0
	global_load_dword v111, v[112:113], off offset:4
	s_nop 0
	global_load_dword v112, v[114:115], off offset:4
	global_load_dword v113, v[116:117], off offset:4
	s_nop 0
	global_load_dword v114, v[118:119], off offset:4
	global_load_dword v115, v[126:127], off
	global_load_dword v116, v[120:121], off offset:4
	global_load_dword v117, v[122:123], off offset:4
	s_nop 0
	global_load_dword v118, v[124:125], off offset:4
	s_mov_b32 s1, -8
	s_waitcnt vmcnt(26)
	ds_write_b32 v38, v93
	s_waitcnt vmcnt(25)
	ds_write_b32 v42, v95
	;; [unrolled: 2-line block ×14, first 2 shown]
	v_mov_b32_e32 v97, v83
	v_mov_b32_e32 v99, v81
	;; [unrolled: 1-line block ×5, first 2 shown]
	s_waitcnt vmcnt(10)
	v_cvt_f32_f16_e32 v93, v136
	s_waitcnt vmcnt(9)
	v_cvt_f32_f16_e32 v95, v137
	ds_write_b32 v94, v134
	ds_write_b32 v98, v135
	;; [unrolled: 1-line block ×4, first 2 shown]
	s_waitcnt vmcnt(8)
	ds_write_b32 v45, v110
	s_waitcnt vmcnt(7)
	ds_write_b32 v49, v111
	;; [unrolled: 2-line block ×5, first 2 shown]
	s_waitcnt vmcnt(3)
	v_cvt_f32_f16_e32 v93, v115
	s_waitcnt vmcnt(2)
	ds_write_b32 v65, v116
	s_waitcnt vmcnt(1)
	ds_write_b32 v69, v117
	s_waitcnt vmcnt(0)
	ds_write_b32 v73, v118
	ds_write_b32 v41, v93
	v_mov_b32_e32 v93, v87
	v_mov_b32_e32 v95, v85
	s_waitcnt lgkmcnt(0)
	s_barrier
.LBB146_6:                              ;   Parent Loop BB146_5 Depth=1
                                        ; =>  This Inner Loop Header: Depth=2
	v_add_u32_e32 v112, 0x1088, v105
	ds_read2_b32 v[150:151], v93 offset1:32
	ds_read_b128 v[152:155], v103
	ds_read_b128 v[156:159], v103 offset:16
	ds_read_b32 v114, v95
	ds_read2_b32 v[122:123], v105 offset1:1
	ds_read2_b32 v[130:131], v105 offset0:2 offset1:3
	ds_read2_b32 v[136:137], v105 offset0:4 offset1:5
	;; [unrolled: 1-line block ×3, first 2 shown]
	v_add_u32_e32 v111, 0x1080, v105
	ds_read_b32 v110, v97
	ds_read2_b32 v[116:117], v111 offset1:1
	ds_read2_b32 v[124:125], v112 offset1:1
	v_add_u32_e32 v112, 0x1090, v105
	ds_read2_b32 v[132:133], v112 offset1:1
	v_add_u32_e32 v112, 0x1098, v105
	v_add_u32_e32 v115, 0x2108, v105
	ds_read2_b32 v[142:143], v112 offset1:1
	v_add_u32_e32 v113, 0x2100, v105
	ds_read_b32 v112, v99
	ds_read2_b32 v[120:121], v113 offset1:1
	ds_read2_b32 v[128:129], v115 offset1:1
	v_add_u32_e32 v115, 0x2110, v105
	ds_read2_b32 v[138:139], v115 offset1:1
	v_add_u32_e32 v115, 0x2118, v105
	;; [unrolled: 2-line block ×3, first 2 shown]
	ds_read_b32 v118, v101
	ds_read2_b32 v[126:127], v115 offset1:1
	v_add_u32_e32 v119, 0x3188, v105
	ds_read2_b32 v[134:135], v119 offset1:1
	v_add_u32_e32 v119, 0x3190, v105
	v_mov_b32_e32 v109, 0
	v_mov_b32_e32 v111, 0
	;; [unrolled: 1-line block ×4, first 2 shown]
	ds_read2_b32 v[144:145], v119 offset1:1
	s_waitcnt lgkmcnt(14)
	v_dot4c_i32_i8_e32 v109, v122, v152
	s_waitcnt lgkmcnt(12)
	v_dot4c_i32_i8_e32 v111, v116, v152
	;; [unrolled: 2-line block ×4, first 2 shown]
	v_add_u32_e32 v119, 0x3198, v105
	v_dot4c_i32_i8_e32 v109, v123, v153
	v_dot4c_i32_i8_e32 v111, v117, v153
	;; [unrolled: 1-line block ×4, first 2 shown]
	ds_read2_b32 v[148:149], v119 offset1:1
	v_dot4c_i32_i8_e32 v109, v130, v154
	v_dot4c_i32_i8_e32 v111, v124, v154
	v_dot4c_i32_i8_e32 v113, v128, v154
	s_waitcnt lgkmcnt(2)
	v_dot4c_i32_i8_e32 v115, v134, v154
	v_dot4c_i32_i8_e32 v109, v131, v155
	v_dot4c_i32_i8_e32 v111, v125, v155
	v_dot4c_i32_i8_e32 v113, v129, v155
	v_dot4c_i32_i8_e32 v115, v135, v155
	v_dot4c_i32_i8_e32 v109, v136, v156
	v_dot4c_i32_i8_e32 v111, v132, v156
	v_dot4c_i32_i8_e32 v113, v138, v156
	s_waitcnt lgkmcnt(1)
	v_dot4c_i32_i8_e32 v115, v144, v156
	v_dot4c_i32_i8_e32 v109, v137, v157
	v_dot4c_i32_i8_e32 v111, v133, v157
	v_dot4c_i32_i8_e32 v113, v139, v157
	v_dot4c_i32_i8_e32 v115, v145, v157
	;; [unrolled: 9-line block ×3, first 2 shown]
	ds_read_b128 v[152:155], v103 offset:1024
	ds_read_b128 v[156:159], v103 offset:1040
	v_mov_b32_e32 v119, 0
	v_cvt_f32_i32_e32 v162, v109
	v_mov_b32_e32 v109, 0
	s_waitcnt lgkmcnt(1)
	v_dot4c_i32_i8_e32 v119, v122, v152
	v_dot4c_i32_i8_e32 v119, v123, v153
	v_dot4c_i32_i8_e32 v119, v130, v154
	v_dot4c_i32_i8_e32 v119, v131, v155
	s_waitcnt lgkmcnt(0)
	v_dot4c_i32_i8_e32 v119, v136, v156
	v_dot4c_i32_i8_e32 v109, v116, v152
	;; [unrolled: 1-line block ×10, first 2 shown]
	v_cvt_f32_i32_e32 v163, v119
	v_dot4c_i32_i8_e32 v109, v142, v158
	v_pk_mul_f32 v[160:161], v[114:115], v[150:151] op_sel_hi:[0,1]
	v_dot4c_i32_i8_e32 v109, v143, v159
	v_pk_fma_f32 v[32:33], v[160:161], v[162:163], v[32:33]
	v_cvt_f32_i32_e32 v162, v111
	v_pk_mul_f32 v[160:161], v[110:111], v[150:151] op_sel_hi:[0,1]
	v_cvt_f32_i32_e32 v163, v109
	v_mov_b32_e32 v109, 0
	v_dot4c_i32_i8_e32 v109, v120, v152
	v_dot4c_i32_i8_e32 v109, v121, v153
	;; [unrolled: 1-line block ×8, first 2 shown]
	v_pk_fma_f32 v[30:31], v[160:161], v[162:163], v[30:31]
	v_pk_mul_f32 v[160:161], v[112:113], v[150:151] op_sel_hi:[0,1]
	v_pk_mul_f32 v[150:151], v[118:119], v[150:151] op_sel_hi:[0,1]
	v_cvt_f32_i32_e32 v163, v109
	v_mov_b32_e32 v109, 0
	v_dot4c_i32_i8_e32 v109, v126, v152
	v_dot4c_i32_i8_e32 v109, v127, v153
	;; [unrolled: 1-line block ×8, first 2 shown]
	v_cvt_f32_i32_e32 v152, v115
	v_cvt_f32_i32_e32 v162, v113
	v_mov_b32_e32 v111, 0
	v_cvt_f32_i32_e32 v153, v109
	v_mov_b32_e32 v109, 0
	v_mov_b32_e32 v113, 0
	;; [unrolled: 1-line block ×3, first 2 shown]
	v_pk_fma_f32 v[26:27], v[150:151], v[152:153], v[26:27]
	ds_read2_b32 v[150:151], v93 offset0:64 offset1:96
	ds_read_b128 v[152:155], v103 offset:2048
	ds_read_b128 v[156:159], v103 offset:2064
	v_mov_b32_e32 v119, 0
	v_pk_fma_f32 v[28:29], v[160:161], v[162:163], v[28:29]
	s_add_i32 s1, s1, 8
	s_waitcnt lgkmcnt(1)
	v_dot4c_i32_i8_e32 v109, v122, v152
	v_dot4c_i32_i8_e32 v111, v116, v152
	;; [unrolled: 1-line block ×16, first 2 shown]
	s_waitcnt lgkmcnt(0)
	v_dot4c_i32_i8_e32 v109, v136, v156
	v_dot4c_i32_i8_e32 v111, v132, v156
	;; [unrolled: 1-line block ×16, first 2 shown]
	ds_read_b128 v[152:155], v103 offset:3072
	ds_read_b128 v[156:159], v103 offset:3088
	v_cvt_f32_i32_e32 v162, v109
	v_mov_b32_e32 v109, 0
	v_pk_mul_f32 v[160:161], v[114:115], v[150:151] op_sel_hi:[0,1]
	s_waitcnt lgkmcnt(1)
	v_dot4c_i32_i8_e32 v119, v122, v152
	v_dot4c_i32_i8_e32 v119, v123, v153
	;; [unrolled: 1-line block ×4, first 2 shown]
	s_waitcnt lgkmcnt(0)
	v_dot4c_i32_i8_e32 v119, v136, v156
	v_dot4c_i32_i8_e32 v109, v116, v152
	;; [unrolled: 1-line block ×10, first 2 shown]
	v_cvt_f32_i32_e32 v163, v119
	v_dot4c_i32_i8_e32 v109, v142, v158
	v_dot4c_i32_i8_e32 v109, v143, v159
	v_add_u32_e32 v105, 32, v105
	v_pk_fma_f32 v[24:25], v[160:161], v[162:163], v[24:25]
	v_cvt_f32_i32_e32 v162, v111
	v_cvt_f32_i32_e32 v163, v109
	v_mov_b32_e32 v109, 0
	v_dot4c_i32_i8_e32 v109, v120, v152
	v_dot4c_i32_i8_e32 v109, v121, v153
	;; [unrolled: 1-line block ×7, first 2 shown]
	v_pk_mul_f32 v[160:161], v[110:111], v[150:151] op_sel_hi:[0,1]
	v_dot4c_i32_i8_e32 v109, v147, v159
	v_pk_fma_f32 v[22:23], v[160:161], v[162:163], v[22:23]
	v_pk_mul_f32 v[160:161], v[112:113], v[150:151] op_sel_hi:[0,1]
	v_pk_mul_f32 v[150:151], v[118:119], v[150:151] op_sel_hi:[0,1]
	v_cvt_f32_i32_e32 v163, v109
	v_mov_b32_e32 v109, 0
	v_dot4c_i32_i8_e32 v109, v126, v152
	v_dot4c_i32_i8_e32 v109, v127, v153
	;; [unrolled: 1-line block ×8, first 2 shown]
	v_cvt_f32_i32_e32 v152, v115
	v_cvt_f32_i32_e32 v162, v113
	v_mov_b32_e32 v111, 0
	v_cvt_f32_i32_e32 v153, v109
	v_mov_b32_e32 v109, 0
	v_mov_b32_e32 v113, 0
	;; [unrolled: 1-line block ×3, first 2 shown]
	v_pk_fma_f32 v[18:19], v[150:151], v[152:153], v[18:19]
	ds_read2_b32 v[150:151], v93 offset0:128 offset1:160
	ds_read_b128 v[152:155], v103 offset:4096
	ds_read_b128 v[156:159], v103 offset:4112
	v_mov_b32_e32 v119, 0
	v_pk_fma_f32 v[20:21], v[160:161], v[162:163], v[20:21]
	v_add_u32_e32 v101, 4, v101
	s_waitcnt lgkmcnt(1)
	v_dot4c_i32_i8_e32 v109, v122, v152
	v_dot4c_i32_i8_e32 v111, v116, v152
	;; [unrolled: 1-line block ×16, first 2 shown]
	s_waitcnt lgkmcnt(0)
	v_dot4c_i32_i8_e32 v109, v136, v156
	v_dot4c_i32_i8_e32 v111, v132, v156
	;; [unrolled: 1-line block ×16, first 2 shown]
	ds_read_b128 v[152:155], v103 offset:5120
	ds_read_b128 v[156:159], v103 offset:5136
	v_cvt_f32_i32_e32 v162, v109
	v_mov_b32_e32 v109, 0
	v_pk_mul_f32 v[160:161], v[114:115], v[150:151] op_sel_hi:[0,1]
	s_waitcnt lgkmcnt(1)
	v_dot4c_i32_i8_e32 v119, v122, v152
	v_dot4c_i32_i8_e32 v119, v123, v153
	v_dot4c_i32_i8_e32 v119, v130, v154
	v_dot4c_i32_i8_e32 v119, v131, v155
	s_waitcnt lgkmcnt(0)
	v_dot4c_i32_i8_e32 v119, v136, v156
	v_dot4c_i32_i8_e32 v109, v116, v152
	;; [unrolled: 1-line block ×10, first 2 shown]
	v_cvt_f32_i32_e32 v163, v119
	v_dot4c_i32_i8_e32 v109, v142, v158
	v_dot4c_i32_i8_e32 v109, v143, v159
	v_add_u32_e32 v99, 4, v99
	v_pk_fma_f32 v[16:17], v[160:161], v[162:163], v[16:17]
	v_cvt_f32_i32_e32 v162, v111
	v_cvt_f32_i32_e32 v163, v109
	v_mov_b32_e32 v109, 0
	v_dot4c_i32_i8_e32 v109, v120, v152
	v_dot4c_i32_i8_e32 v109, v121, v153
	;; [unrolled: 1-line block ×7, first 2 shown]
	v_pk_mul_f32 v[160:161], v[110:111], v[150:151] op_sel_hi:[0,1]
	v_dot4c_i32_i8_e32 v109, v147, v159
	v_pk_fma_f32 v[14:15], v[160:161], v[162:163], v[14:15]
	v_pk_mul_f32 v[160:161], v[112:113], v[150:151] op_sel_hi:[0,1]
	v_cvt_f32_i32_e32 v162, v113
	v_cvt_f32_i32_e32 v163, v109
	v_mov_b32_e32 v109, 0
	v_dot4c_i32_i8_e32 v109, v126, v152
	v_dot4c_i32_i8_e32 v109, v127, v153
	;; [unrolled: 1-line block ×8, first 2 shown]
	v_cvt_f32_i32_e32 v152, v115
	v_pk_mul_f32 v[150:151], v[118:119], v[150:151] op_sel_hi:[0,1]
	v_pk_fma_f32 v[12:13], v[160:161], v[162:163], v[12:13]
	v_cvt_f32_i32_e32 v153, v109
	v_mov_b32_e32 v109, 0
	v_mov_b32_e32 v113, 0
	;; [unrolled: 1-line block ×3, first 2 shown]
	v_pk_fma_f32 v[10:11], v[150:151], v[152:153], v[10:11]
	ds_read2_b32 v[150:151], v93 offset0:192 offset1:224
	ds_read_b128 v[152:155], v103 offset:6144
	ds_read_b128 v[156:159], v103 offset:6160
	v_mov_b32_e32 v160, 0
	v_mov_b32_e32 v111, 0
	s_waitcnt lgkmcnt(2)
	v_pk_mul_f32 v[114:115], v[114:115], v[150:151] op_sel_hi:[0,1]
	s_waitcnt lgkmcnt(1)
	v_dot4c_i32_i8_e32 v109, v122, v152
	v_dot4c_i32_i8_e32 v113, v116, v152
	;; [unrolled: 1-line block ×16, first 2 shown]
	s_waitcnt lgkmcnt(0)
	v_dot4c_i32_i8_e32 v109, v136, v156
	v_dot4c_i32_i8_e32 v113, v132, v156
	;; [unrolled: 1-line block ×16, first 2 shown]
	ds_read_b128 v[152:155], v103 offset:7168
	ds_read_b128 v[156:159], v103 offset:7184
	v_add_u32_e32 v103, 32, v103
	v_add_u32_e32 v97, 4, v97
	;; [unrolled: 1-line block ×3, first 2 shown]
	s_waitcnt lgkmcnt(1)
	v_dot4c_i32_i8_e32 v111, v122, v152
	v_dot4c_i32_i8_e32 v111, v123, v153
	;; [unrolled: 1-line block ×4, first 2 shown]
	v_cvt_f32_i32_e32 v122, v109
	v_mov_b32_e32 v109, 0
	s_waitcnt lgkmcnt(0)
	v_dot4c_i32_i8_e32 v111, v136, v156
	v_dot4c_i32_i8_e32 v109, v116, v152
	;; [unrolled: 1-line block ×10, first 2 shown]
	v_cvt_f32_i32_e32 v123, v111
	v_dot4c_i32_i8_e32 v109, v142, v158
	v_dot4c_i32_i8_e32 v109, v143, v159
	v_pk_mul_f32 v[110:111], v[110:111], v[150:151] op_sel_hi:[0,1]
	v_pk_fma_f32 v[8:9], v[114:115], v[122:123], v[8:9]
	v_cvt_f32_i32_e32 v114, v113
	v_cvt_f32_i32_e32 v115, v109
	v_mov_b32_e32 v109, 0
	v_dot4c_i32_i8_e32 v109, v120, v152
	v_dot4c_i32_i8_e32 v109, v121, v153
	;; [unrolled: 1-line block ×8, first 2 shown]
	v_pk_fma_f32 v[6:7], v[110:111], v[114:115], v[6:7]
	v_pk_mul_f32 v[110:111], v[112:113], v[150:151] op_sel_hi:[0,1]
	v_cvt_f32_i32_e32 v112, v119
	v_cvt_f32_i32_e32 v113, v109
	v_mov_b32_e32 v109, 0
	v_dot4c_i32_i8_e32 v109, v126, v152
	v_dot4c_i32_i8_e32 v109, v127, v153
	;; [unrolled: 1-line block ×8, first 2 shown]
	v_pk_fma_f32 v[4:5], v[110:111], v[112:113], v[4:5]
	v_cvt_f32_i32_e32 v112, v160
	v_pk_mul_f32 v[110:111], v[118:119], v[150:151] op_sel_hi:[0,1]
	v_cvt_f32_i32_e32 v113, v109
	v_add_u32_e32 v93, 4, v93
	s_cmp_lt_u32 s1, 24
	v_pk_fma_f32 v[2:3], v[110:111], v[112:113], v[2:3]
	s_cbranch_scc1 .LBB146_6
; %bb.7:                                ;   in Loop: Header=BB146_5 Depth=1
	s_add_i32 s0, s0, 4
	s_cmp_ge_i32 s0, s4
	s_barrier
	s_cbranch_scc0 .LBB146_5
; %bb.8:
	v_mov_b32_e32 v34, v37
.LBB146_9:
	v_cmp_gt_u32_e32 vcc, s10, v39
	s_and_saveexec_b64 s[0:1], vcc
	s_cbranch_execz .LBB146_60
; %bb.10:
	v_add_u32_e32 v0, s6, v1
	v_mul_lo_u32 v35, v39, s14
	v_cmp_gt_u32_e32 vcc, s14, v0
	s_and_saveexec_b64 s[0:1], vcc
	s_cbranch_execz .LBB146_12
; %bb.11:
	v_cvt_f16_f32_e32 v1, v32
	v_add_u32_e32 v36, v0, v35
	v_mov_b32_e32 v37, 0
	s_waitcnt lgkmcnt(0)
	v_lshl_add_u64 v[36:37], v[36:37], 1, s[12:13]
	global_store_short v[36:37], v1, off
.LBB146_12:
	s_or_b64 exec, exec, s[0:1]
	v_add_u32_e32 v1, 32, v0
	v_cmp_gt_u32_e64 s[0:1], s14, v1
	s_and_saveexec_b64 s[2:3], s[0:1]
	s_cbranch_execz .LBB146_14
; %bb.13:
	v_cvt_f16_f32_e32 v30, v30
	v_add_u32_e32 v36, v1, v35
	v_mov_b32_e32 v37, 0
	s_waitcnt lgkmcnt(0)
	v_lshl_add_u64 v[36:37], v[36:37], 1, s[12:13]
	global_store_short v[36:37], v30, off
.LBB146_14:
	s_or_b64 exec, exec, s[2:3]
	v_add_u32_e32 v30, 64, v0
	v_cmp_gt_u32_e64 s[2:3], s14, v30
	s_and_saveexec_b64 s[4:5], s[2:3]
	;; [unrolled: 13-line block ×3, first 2 shown]
	s_cbranch_execz .LBB146_18
; %bb.17:
	v_cvt_f16_f32_e32 v26, v26
	v_add_u32_e32 v36, v28, v35
	v_mov_b32_e32 v37, 0
	s_waitcnt lgkmcnt(0)
	v_lshl_add_u64 v[36:37], v[36:37], 1, s[12:13]
	global_store_short v[36:37], v26, off
.LBB146_18:
	s_or_b64 exec, exec, s[6:7]
	v_add3_u32 v26, v34, s15, 8
	v_cmp_gt_u32_e64 s[6:7], s10, v26
	s_and_b64 exec, exec, s[6:7]
	s_cbranch_execz .LBB146_60
; %bb.19:
	v_mul_lo_u32 v26, v26, s14
	s_and_saveexec_b64 s[6:7], vcc
	s_cbranch_execnz .LBB146_61
; %bb.20:
	s_or_b64 exec, exec, s[6:7]
	s_and_saveexec_b64 s[6:7], s[0:1]
	s_cbranch_execnz .LBB146_62
.LBB146_21:
	s_or_b64 exec, exec, s[6:7]
	s_and_saveexec_b64 s[6:7], s[2:3]
	s_cbranch_execnz .LBB146_63
.LBB146_22:
	s_or_b64 exec, exec, s[6:7]
	s_and_saveexec_b64 s[6:7], s[4:5]
	s_cbranch_execz .LBB146_24
.LBB146_23:
	v_cvt_f16_f32_e32 v29, v27
	v_add_u32_e32 v26, v26, v28
	v_mov_b32_e32 v27, 0
	s_waitcnt lgkmcnt(0)
	v_lshl_add_u64 v[26:27], v[26:27], 1, s[12:13]
	global_store_short v[26:27], v29, off
.LBB146_24:
	s_or_b64 exec, exec, s[6:7]
	v_add3_u32 v26, v34, s15, 16
	v_cmp_gt_u32_e64 s[6:7], s10, v26
	s_and_b64 exec, exec, s[6:7]
	s_cbranch_execz .LBB146_60
; %bb.25:
	v_mul_lo_u32 v26, v26, s14
	s_and_saveexec_b64 s[6:7], vcc
	s_cbranch_execnz .LBB146_64
; %bb.26:
	s_or_b64 exec, exec, s[6:7]
	s_and_saveexec_b64 s[6:7], s[0:1]
	s_cbranch_execnz .LBB146_65
.LBB146_27:
	s_or_b64 exec, exec, s[6:7]
	s_and_saveexec_b64 s[6:7], s[2:3]
	s_cbranch_execnz .LBB146_66
.LBB146_28:
	s_or_b64 exec, exec, s[6:7]
	s_and_saveexec_b64 s[6:7], s[4:5]
	s_cbranch_execz .LBB146_30
.LBB146_29:
	v_cvt_f16_f32_e32 v18, v18
	v_add_u32_e32 v26, v26, v28
	v_mov_b32_e32 v27, 0
	s_waitcnt lgkmcnt(0)
	v_lshl_add_u64 v[26:27], v[26:27], 1, s[12:13]
	global_store_short v[26:27], v18, off
.LBB146_30:
	s_or_b64 exec, exec, s[6:7]
	v_add3_u32 v18, v34, s15, 24
	v_cmp_gt_u32_e64 s[6:7], s10, v18
	s_and_b64 exec, exec, s[6:7]
	s_cbranch_execz .LBB146_60
; %bb.31:
	v_mul_lo_u32 v18, v18, s14
	s_and_saveexec_b64 s[6:7], vcc
	s_cbranch_execnz .LBB146_67
; %bb.32:
	s_or_b64 exec, exec, s[6:7]
	s_and_saveexec_b64 s[6:7], s[0:1]
	s_cbranch_execnz .LBB146_68
.LBB146_33:
	s_or_b64 exec, exec, s[6:7]
	s_and_saveexec_b64 s[6:7], s[2:3]
	s_cbranch_execnz .LBB146_69
.LBB146_34:
	s_or_b64 exec, exec, s[6:7]
	s_and_saveexec_b64 s[6:7], s[4:5]
	s_cbranch_execz .LBB146_36
.LBB146_35:
	v_cvt_f16_f32_e32 v20, v19
	v_add_u32_e32 v18, v18, v28
	v_mov_b32_e32 v19, 0
	s_waitcnt lgkmcnt(0)
	v_lshl_add_u64 v[18:19], v[18:19], 1, s[12:13]
	global_store_short v[18:19], v20, off
.LBB146_36:
	s_or_b64 exec, exec, s[6:7]
	v_add3_u32 v18, v34, s15, 32
	v_cmp_gt_u32_e64 s[6:7], s10, v18
	s_and_b64 exec, exec, s[6:7]
	s_cbranch_execz .LBB146_60
; %bb.37:
	v_mul_lo_u32 v18, v18, s14
	s_and_saveexec_b64 s[6:7], vcc
	s_cbranch_execnz .LBB146_70
; %bb.38:
	s_or_b64 exec, exec, s[6:7]
	s_and_saveexec_b64 s[6:7], s[0:1]
	s_cbranch_execnz .LBB146_71
.LBB146_39:
	s_or_b64 exec, exec, s[6:7]
	s_and_saveexec_b64 s[6:7], s[2:3]
	s_cbranch_execnz .LBB146_72
.LBB146_40:
	s_or_b64 exec, exec, s[6:7]
	s_and_saveexec_b64 s[6:7], s[4:5]
	s_cbranch_execz .LBB146_42
.LBB146_41:
	v_cvt_f16_f32_e32 v10, v10
	v_add_u32_e32 v18, v18, v28
	v_mov_b32_e32 v19, 0
	s_waitcnt lgkmcnt(0)
	v_lshl_add_u64 v[18:19], v[18:19], 1, s[12:13]
	global_store_short v[18:19], v10, off
.LBB146_42:
	s_or_b64 exec, exec, s[6:7]
	v_add3_u32 v10, v34, s15, 40
	v_cmp_gt_u32_e64 s[6:7], s10, v10
	s_and_b64 exec, exec, s[6:7]
	s_cbranch_execz .LBB146_60
; %bb.43:
	v_mul_lo_u32 v10, v10, s14
	s_and_saveexec_b64 s[6:7], vcc
	s_cbranch_execnz .LBB146_73
; %bb.44:
	s_or_b64 exec, exec, s[6:7]
	s_and_saveexec_b64 s[6:7], s[0:1]
	s_cbranch_execnz .LBB146_74
.LBB146_45:
	s_or_b64 exec, exec, s[6:7]
	s_and_saveexec_b64 s[6:7], s[2:3]
	s_cbranch_execnz .LBB146_75
.LBB146_46:
	s_or_b64 exec, exec, s[6:7]
	s_and_saveexec_b64 s[6:7], s[4:5]
	s_cbranch_execz .LBB146_48
.LBB146_47:
	v_cvt_f16_f32_e32 v12, v11
	v_add_u32_e32 v10, v10, v28
	v_mov_b32_e32 v11, 0
	s_waitcnt lgkmcnt(0)
	v_lshl_add_u64 v[10:11], v[10:11], 1, s[12:13]
	global_store_short v[10:11], v12, off
.LBB146_48:
	s_or_b64 exec, exec, s[6:7]
	v_add3_u32 v10, v34, s15, 48
	v_cmp_gt_u32_e64 s[6:7], s10, v10
	s_and_b64 exec, exec, s[6:7]
	s_cbranch_execz .LBB146_60
; %bb.49:
	v_mul_lo_u32 v10, v10, s14
	s_and_saveexec_b64 s[6:7], vcc
	s_cbranch_execnz .LBB146_76
; %bb.50:
	s_or_b64 exec, exec, s[6:7]
	s_and_saveexec_b64 s[6:7], s[0:1]
	s_cbranch_execnz .LBB146_77
.LBB146_51:
	s_or_b64 exec, exec, s[6:7]
	s_and_saveexec_b64 s[6:7], s[2:3]
	s_cbranch_execnz .LBB146_78
.LBB146_52:
	s_or_b64 exec, exec, s[6:7]
	s_and_saveexec_b64 s[6:7], s[4:5]
	s_cbranch_execz .LBB146_54
.LBB146_53:
	v_cvt_f16_f32_e32 v2, v2
	v_add_u32_e32 v10, v10, v28
	v_mov_b32_e32 v11, 0
	s_waitcnt lgkmcnt(0)
	v_lshl_add_u64 v[10:11], v[10:11], 1, s[12:13]
	global_store_short v[10:11], v2, off
.LBB146_54:
	s_or_b64 exec, exec, s[6:7]
	v_add3_u32 v2, v34, s15, 56
	v_cmp_gt_u32_e64 s[6:7], s10, v2
	s_and_b64 exec, exec, s[6:7]
	s_cbranch_execz .LBB146_60
; %bb.55:
	v_mul_lo_u32 v2, v2, s14
	s_and_saveexec_b64 s[6:7], vcc
	s_cbranch_execnz .LBB146_79
; %bb.56:
	s_or_b64 exec, exec, s[6:7]
	s_and_saveexec_b64 s[6:7], s[0:1]
	s_cbranch_execnz .LBB146_80
.LBB146_57:
	s_or_b64 exec, exec, s[6:7]
	s_and_saveexec_b64 s[0:1], s[2:3]
	s_cbranch_execnz .LBB146_81
.LBB146_58:
	s_or_b64 exec, exec, s[0:1]
	s_and_b64 exec, exec, s[4:5]
	s_cbranch_execz .LBB146_60
.LBB146_59:
	v_cvt_f16_f32_e32 v3, v3
	v_add_u32_e32 v0, v2, v28
	v_mov_b32_e32 v1, 0
	s_waitcnt lgkmcnt(0)
	v_lshl_add_u64 v[0:1], v[0:1], 1, s[12:13]
	global_store_short v[0:1], v3, off
.LBB146_60:
	s_endpgm
.LBB146_61:
	v_cvt_f16_f32_e32 v35, v33
	v_add_u32_e32 v32, v26, v0
	v_mov_b32_e32 v33, 0
	s_waitcnt lgkmcnt(0)
	v_lshl_add_u64 v[32:33], v[32:33], 1, s[12:13]
	global_store_short v[32:33], v35, off
	s_or_b64 exec, exec, s[6:7]
	s_and_saveexec_b64 s[6:7], s[0:1]
	s_cbranch_execz .LBB146_21
.LBB146_62:
	v_cvt_f16_f32_e32 v31, v31
	v_add_u32_e32 v32, v26, v1
	v_mov_b32_e32 v33, 0
	s_waitcnt lgkmcnt(0)
	v_lshl_add_u64 v[32:33], v[32:33], 1, s[12:13]
	global_store_short v[32:33], v31, off
	s_or_b64 exec, exec, s[6:7]
	s_and_saveexec_b64 s[6:7], s[2:3]
	s_cbranch_execz .LBB146_22
.LBB146_63:
	v_cvt_f16_f32_e32 v29, v29
	v_add_u32_e32 v32, v26, v30
	v_mov_b32_e32 v33, 0
	s_waitcnt lgkmcnt(0)
	v_lshl_add_u64 v[32:33], v[32:33], 1, s[12:13]
	global_store_short v[32:33], v29, off
	s_or_b64 exec, exec, s[6:7]
	s_and_saveexec_b64 s[6:7], s[4:5]
	s_cbranch_execnz .LBB146_23
	s_branch .LBB146_24
.LBB146_64:
	v_cvt_f16_f32_e32 v24, v24
	v_add_u32_e32 v32, v26, v0
	v_mov_b32_e32 v33, 0
	s_waitcnt lgkmcnt(0)
	v_lshl_add_u64 v[32:33], v[32:33], 1, s[12:13]
	global_store_short v[32:33], v24, off
	s_or_b64 exec, exec, s[6:7]
	s_and_saveexec_b64 s[6:7], s[0:1]
	s_cbranch_execz .LBB146_27
.LBB146_65:
	v_cvt_f16_f32_e32 v22, v22
	v_add_u32_e32 v32, v26, v1
	v_mov_b32_e32 v33, 0
	s_waitcnt lgkmcnt(0)
	v_lshl_add_u64 v[32:33], v[32:33], 1, s[12:13]
	global_store_short v[32:33], v22, off
	s_or_b64 exec, exec, s[6:7]
	s_and_saveexec_b64 s[6:7], s[2:3]
	s_cbranch_execz .LBB146_28
.LBB146_66:
	v_cvt_f16_f32_e32 v20, v20
	v_add_u32_e32 v32, v26, v30
	v_mov_b32_e32 v33, 0
	s_waitcnt lgkmcnt(0)
	v_lshl_add_u64 v[32:33], v[32:33], 1, s[12:13]
	global_store_short v[32:33], v20, off
	s_or_b64 exec, exec, s[6:7]
	s_and_saveexec_b64 s[6:7], s[4:5]
	s_cbranch_execnz .LBB146_29
	s_branch .LBB146_30
.LBB146_67:
	v_cvt_f16_f32_e32 v20, v25
	v_add_u32_e32 v24, v18, v0
	v_mov_b32_e32 v25, 0
	s_waitcnt lgkmcnt(0)
	v_lshl_add_u64 v[24:25], v[24:25], 1, s[12:13]
	global_store_short v[24:25], v20, off
	s_or_b64 exec, exec, s[6:7]
	s_and_saveexec_b64 s[6:7], s[0:1]
	s_cbranch_execz .LBB146_33
.LBB146_68:
	v_cvt_f16_f32_e32 v20, v23
	v_add_u32_e32 v22, v18, v1
	v_mov_b32_e32 v23, 0
	s_waitcnt lgkmcnt(0)
	v_lshl_add_u64 v[22:23], v[22:23], 1, s[12:13]
	global_store_short v[22:23], v20, off
	s_or_b64 exec, exec, s[6:7]
	s_and_saveexec_b64 s[6:7], s[2:3]
	s_cbranch_execz .LBB146_34
.LBB146_69:
	v_cvt_f16_f32_e32 v22, v21
	v_add_u32_e32 v20, v18, v30
	v_mov_b32_e32 v21, 0
	s_waitcnt lgkmcnt(0)
	v_lshl_add_u64 v[20:21], v[20:21], 1, s[12:13]
	global_store_short v[20:21], v22, off
	s_or_b64 exec, exec, s[6:7]
	s_and_saveexec_b64 s[6:7], s[4:5]
	s_cbranch_execnz .LBB146_35
	s_branch .LBB146_36
.LBB146_70:
	v_cvt_f16_f32_e32 v16, v16
	v_add_u32_e32 v20, v18, v0
	v_mov_b32_e32 v21, 0
	s_waitcnt lgkmcnt(0)
	v_lshl_add_u64 v[20:21], v[20:21], 1, s[12:13]
	global_store_short v[20:21], v16, off
	s_or_b64 exec, exec, s[6:7]
	s_and_saveexec_b64 s[6:7], s[0:1]
	s_cbranch_execz .LBB146_39
.LBB146_71:
	v_cvt_f16_f32_e32 v14, v14
	v_add_u32_e32 v20, v18, v1
	v_mov_b32_e32 v21, 0
	s_waitcnt lgkmcnt(0)
	v_lshl_add_u64 v[20:21], v[20:21], 1, s[12:13]
	global_store_short v[20:21], v14, off
	s_or_b64 exec, exec, s[6:7]
	s_and_saveexec_b64 s[6:7], s[2:3]
	s_cbranch_execz .LBB146_40
.LBB146_72:
	v_cvt_f16_f32_e32 v12, v12
	v_add_u32_e32 v20, v18, v30
	v_mov_b32_e32 v21, 0
	s_waitcnt lgkmcnt(0)
	v_lshl_add_u64 v[20:21], v[20:21], 1, s[12:13]
	global_store_short v[20:21], v12, off
	s_or_b64 exec, exec, s[6:7]
	s_and_saveexec_b64 s[6:7], s[4:5]
	s_cbranch_execnz .LBB146_41
	s_branch .LBB146_42
.LBB146_73:
	v_cvt_f16_f32_e32 v12, v17
	v_add_u32_e32 v16, v10, v0
	v_mov_b32_e32 v17, 0
	s_waitcnt lgkmcnt(0)
	v_lshl_add_u64 v[16:17], v[16:17], 1, s[12:13]
	global_store_short v[16:17], v12, off
	s_or_b64 exec, exec, s[6:7]
	s_and_saveexec_b64 s[6:7], s[0:1]
	s_cbranch_execz .LBB146_45
.LBB146_74:
	v_cvt_f16_f32_e32 v12, v15
	v_add_u32_e32 v14, v10, v1
	v_mov_b32_e32 v15, 0
	s_waitcnt lgkmcnt(0)
	v_lshl_add_u64 v[14:15], v[14:15], 1, s[12:13]
	global_store_short v[14:15], v12, off
	s_or_b64 exec, exec, s[6:7]
	s_and_saveexec_b64 s[6:7], s[2:3]
	s_cbranch_execz .LBB146_46
.LBB146_75:
	v_cvt_f16_f32_e32 v14, v13
	v_add_u32_e32 v12, v10, v30
	v_mov_b32_e32 v13, 0
	s_waitcnt lgkmcnt(0)
	v_lshl_add_u64 v[12:13], v[12:13], 1, s[12:13]
	global_store_short v[12:13], v14, off
	s_or_b64 exec, exec, s[6:7]
	s_and_saveexec_b64 s[6:7], s[4:5]
	s_cbranch_execnz .LBB146_47
	s_branch .LBB146_48
.LBB146_76:
	v_cvt_f16_f32_e32 v8, v8
	v_add_u32_e32 v12, v10, v0
	v_mov_b32_e32 v13, 0
	s_waitcnt lgkmcnt(0)
	v_lshl_add_u64 v[12:13], v[12:13], 1, s[12:13]
	global_store_short v[12:13], v8, off
	s_or_b64 exec, exec, s[6:7]
	s_and_saveexec_b64 s[6:7], s[0:1]
	s_cbranch_execz .LBB146_51
.LBB146_77:
	v_cvt_f16_f32_e32 v6, v6
	v_add_u32_e32 v12, v10, v1
	v_mov_b32_e32 v13, 0
	s_waitcnt lgkmcnt(0)
	v_lshl_add_u64 v[12:13], v[12:13], 1, s[12:13]
	global_store_short v[12:13], v6, off
	s_or_b64 exec, exec, s[6:7]
	s_and_saveexec_b64 s[6:7], s[2:3]
	s_cbranch_execz .LBB146_52
.LBB146_78:
	v_cvt_f16_f32_e32 v4, v4
	v_add_u32_e32 v12, v10, v30
	v_mov_b32_e32 v13, 0
	s_waitcnt lgkmcnt(0)
	v_lshl_add_u64 v[12:13], v[12:13], 1, s[12:13]
	global_store_short v[12:13], v4, off
	s_or_b64 exec, exec, s[6:7]
	s_and_saveexec_b64 s[6:7], s[4:5]
	s_cbranch_execnz .LBB146_53
	s_branch .LBB146_54
.LBB146_79:
	v_cvt_f16_f32_e32 v4, v9
	v_add_u32_e32 v8, v2, v0
	v_mov_b32_e32 v9, 0
	s_waitcnt lgkmcnt(0)
	v_lshl_add_u64 v[8:9], v[8:9], 1, s[12:13]
	global_store_short v[8:9], v4, off
	s_or_b64 exec, exec, s[6:7]
	s_and_saveexec_b64 s[6:7], s[0:1]
	s_cbranch_execz .LBB146_57
.LBB146_80:
	v_cvt_f16_f32_e32 v4, v7
	v_add_u32_e32 v0, v2, v1
	v_mov_b32_e32 v1, 0
	s_waitcnt lgkmcnt(0)
	v_lshl_add_u64 v[0:1], v[0:1], 1, s[12:13]
	global_store_short v[0:1], v4, off
	s_or_b64 exec, exec, s[6:7]
	s_and_saveexec_b64 s[0:1], s[2:3]
	s_cbranch_execz .LBB146_58
.LBB146_81:
	v_cvt_f16_f32_e32 v4, v5
	v_add_u32_e32 v0, v2, v30
	v_mov_b32_e32 v1, 0
	s_waitcnt lgkmcnt(0)
	v_lshl_add_u64 v[0:1], v[0:1], 1, s[12:13]
	global_store_short v[0:1], v4, off
	s_or_b64 exec, exec, s[0:1]
	s_and_b64 exec, exec, s[4:5]
	s_cbranch_execnz .LBB146_59
	s_branch .LBB146_60
	.section	.rodata,"a",@progbits
	.p2align	6, 0x0
	.amdhsa_kernel _ZL12mul_mat_q8_0IN3c104HalfELb1EEvPKvS3_PT_iiiii
		.amdhsa_group_segment_fixed_size 28224
		.amdhsa_private_segment_fixed_size 0
		.amdhsa_kernarg_size 44
		.amdhsa_user_sgpr_count 2
		.amdhsa_user_sgpr_dispatch_ptr 0
		.amdhsa_user_sgpr_queue_ptr 0
		.amdhsa_user_sgpr_kernarg_segment_ptr 1
		.amdhsa_user_sgpr_dispatch_id 0
		.amdhsa_user_sgpr_kernarg_preload_length 0
		.amdhsa_user_sgpr_kernarg_preload_offset 0
		.amdhsa_user_sgpr_private_segment_size 0
		.amdhsa_uses_dynamic_stack 0
		.amdhsa_enable_private_segment 0
		.amdhsa_system_sgpr_workgroup_id_x 1
		.amdhsa_system_sgpr_workgroup_id_y 1
		.amdhsa_system_sgpr_workgroup_id_z 0
		.amdhsa_system_sgpr_workgroup_info 0
		.amdhsa_system_vgpr_workitem_id 1
		.amdhsa_next_free_vgpr 164
		.amdhsa_next_free_sgpr 18
		.amdhsa_accum_offset 164
		.amdhsa_reserve_vcc 1
		.amdhsa_float_round_mode_32 0
		.amdhsa_float_round_mode_16_64 0
		.amdhsa_float_denorm_mode_32 3
		.amdhsa_float_denorm_mode_16_64 3
		.amdhsa_dx10_clamp 1
		.amdhsa_ieee_mode 1
		.amdhsa_fp16_overflow 0
		.amdhsa_tg_split 0
		.amdhsa_exception_fp_ieee_invalid_op 0
		.amdhsa_exception_fp_denorm_src 0
		.amdhsa_exception_fp_ieee_div_zero 0
		.amdhsa_exception_fp_ieee_overflow 0
		.amdhsa_exception_fp_ieee_underflow 0
		.amdhsa_exception_fp_ieee_inexact 0
		.amdhsa_exception_int_div_zero 0
	.end_amdhsa_kernel
	.section	.text._ZL12mul_mat_q8_0IN3c104HalfELb1EEvPKvS3_PT_iiiii,"axG",@progbits,_ZL12mul_mat_q8_0IN3c104HalfELb1EEvPKvS3_PT_iiiii,comdat
.Lfunc_end146:
	.size	_ZL12mul_mat_q8_0IN3c104HalfELb1EEvPKvS3_PT_iiiii, .Lfunc_end146-_ZL12mul_mat_q8_0IN3c104HalfELb1EEvPKvS3_PT_iiiii
                                        ; -- End function
	.section	.AMDGPU.csdata,"",@progbits
; Kernel info:
; codeLenInByte = 6460
; NumSgprs: 24
; NumVgprs: 164
; NumAgprs: 0
; TotalNumVgprs: 164
; ScratchSize: 0
; MemoryBound: 0
; FloatMode: 240
; IeeeMode: 1
; LDSByteSize: 28224 bytes/workgroup (compile time only)
; SGPRBlocks: 2
; VGPRBlocks: 20
; NumSGPRsForWavesPerEU: 24
; NumVGPRsForWavesPerEU: 164
; AccumOffset: 164
; Occupancy: 2
; WaveLimiterHint : 0
; COMPUTE_PGM_RSRC2:SCRATCH_EN: 0
; COMPUTE_PGM_RSRC2:USER_SGPR: 2
; COMPUTE_PGM_RSRC2:TRAP_HANDLER: 0
; COMPUTE_PGM_RSRC2:TGID_X_EN: 1
; COMPUTE_PGM_RSRC2:TGID_Y_EN: 1
; COMPUTE_PGM_RSRC2:TGID_Z_EN: 0
; COMPUTE_PGM_RSRC2:TIDIG_COMP_CNT: 1
; COMPUTE_PGM_RSRC3_GFX90A:ACCUM_OFFSET: 40
; COMPUTE_PGM_RSRC3_GFX90A:TG_SPLIT: 0
	.section	.text._ZL12mul_mat_q2_KIN3c104HalfELb0EEvPKvS3_PT_iiiii,"axG",@progbits,_ZL12mul_mat_q2_KIN3c104HalfELb0EEvPKvS3_PT_iiiii,comdat
	.globl	_ZL12mul_mat_q2_KIN3c104HalfELb0EEvPKvS3_PT_iiiii ; -- Begin function _ZL12mul_mat_q2_KIN3c104HalfELb0EEvPKvS3_PT_iiiii
	.p2align	8
	.type	_ZL12mul_mat_q2_KIN3c104HalfELb0EEvPKvS3_PT_iiiii,@function
_ZL12mul_mat_q2_KIN3c104HalfELb0EEvPKvS3_PT_iiiii: ; @_ZL12mul_mat_q2_KIN3c104HalfELb0EEvPKvS3_PT_iiiii
; %bb.0:
	s_load_dword s15, s[0:1], 0x18
	s_load_dwordx4 s[8:11], s[0:1], 0x20
	s_waitcnt lgkmcnt(0)
	s_lshl_b32 s11, s3, 6
	v_bfe_u32 v45, v0, 10, 10
	s_cmpk_gt_i32 s15, 0xff
	s_cbranch_scc1 .LBB147_2
; %bb.1:
	v_bfe_u32 v1, v0, 10, 10
	s_mov_b32 s4, 0
	v_and_b32_e32 v41, 0x3ff, v0
	v_add_u32_e32 v49, s11, v1
	s_mov_b32 s5, s4
	s_mov_b64 s[6:7], 0
	s_branch .LBB147_3
.LBB147_2:
	s_mov_b64 s[6:7], -1
                                        ; implicit-def: $sgpr4_sgpr5
                                        ; implicit-def: $vgpr1
                                        ; implicit-def: $vgpr41
                                        ; implicit-def: $vgpr49
.LBB147_3:
	s_load_dwordx2 s[12:13], s[0:1], 0x10
	s_lshl_b32 s14, s2, 7
	s_andn2_b64 vcc, exec, s[6:7]
	v_mov_b64_e32 v[16:17], s[4:5]
	v_mov_b64_e32 v[24:25], s[4:5]
	;; [unrolled: 1-line block ×16, first 2 shown]
	s_cbranch_vccnz .LBB147_17
; %bb.4:
	s_ashr_i32 s4, s15, 31
	s_load_dwordx4 s[0:3], s[0:1], 0x0
	s_lshr_b32 s4, s4, 24
	s_add_i32 s15, s15, s4
	s_ashr_i32 s5, s9, 31
	s_ashr_i32 s4, s15, 8
	s_lshr_b32 s5, s5, 27
	s_add_i32 s5, s9, s5
	s_mul_i32 s6, s4, s14
	s_ashr_i32 s9, s5, 5
	s_mul_hi_i32 s7, s6, 0x54
	s_mulk_i32 s6, 0x54
	s_waitcnt lgkmcnt(0)
	s_add_u32 s6, s0, s6
	s_addc_u32 s7, s1, s7
	s_lshl_b32 s15, s4, 3
	v_and_b32_e32 v41, 0x3ff, v0
	v_mov_b32_e32 v0, s15
	v_mad_i32_i24 v46, s4, v45, v0
	v_add_u32_e32 v48, s15, v46
	v_add_u32_e32 v50, s15, v48
	;; [unrolled: 1-line block ×11, first 2 shown]
	v_lshlrev_b32_e32 v87, 4, v45
	v_lshrrev_b32_e32 v0, 1, v41
	v_add_u32_e32 v70, s15, v68
	v_and_b32_e32 v78, 1, v41
	v_add_u32_e32 v0, v0, v87
	v_add_u32_e32 v72, s15, v70
	v_and_b32_e32 v1, 0x7f, v0
	v_lshlrev_b32_e32 v3, 2, v78
	v_lshrrev_b32_e32 v0, 2, v0
	v_add_u32_e32 v74, s15, v72
	v_mul_i32_i24_e32 v80, s4, v1
	v_lshl_or_b32 v1, v1, 3, v3
	v_and_b32_e32 v0, 28, v0
	s_movk_i32 s15, 0x7280
	v_lshrrev_b32_e32 v93, 3, v41
	v_add3_u32 v91, v1, v0, s15
	v_lshl_add_u32 v0, v45, 2, v93
	v_and_b32_e32 v1, 7, v41
	v_cmp_lt_u32_e32 vcc, 3, v1
	v_and_b32_e32 v3, 0x7fc, v0
	v_lshlrev_b32_e32 v1, 2, v1
	s_movk_i32 s16, 0x6200
	s_lshl_b32 s17, s4, 5
	v_add3_u32 v4, v3, v1, s16
	v_add_u32_e32 v3, 32, v0
	v_mov_b32_e32 v6, s17
	v_mul_i32_i24_e32 v90, s4, v0
	v_lshlrev_b32_e32 v5, 5, v0
	v_mad_i32_i24 v92, s4, v0, v6
	v_and_b32_e32 v6, 0xffc, v3
	v_lshlrev_b32_e32 v7, 5, v3
	v_add_u32_e32 v3, 64, v0
	v_add_u32_e32 v0, 0x60, v0
	v_mov_b32_e32 v43, 0
	v_lshlrev_b32_e32 v2, 2, v41
	s_movk_i32 s1, 0x84
	v_and_b32_e32 v8, 0xffc, v3
	v_lshlrev_b32_e32 v9, 5, v3
	v_and_b32_e32 v3, 0xffc, v0
	v_and_b32_e32 v42, 60, v2
	v_mad_u32_u24 v47, v45, s1, v2
	v_and_b32_e32 v88, 12, v2
	v_add3_u32 v10, v3, v1, s16
	v_and_b32_e32 v2, 28, v2
	v_mov_b32_e32 v3, v43
	v_lshl_add_u64 v[100:101], s[2:3], 0, v[2:3]
	v_lshrrev_b32_e32 v2, 2, v41
	v_lshl_add_u32 v2, v45, 3, v2
	v_and_b32_e32 v3, 63, v2
	v_add3_u32 v6, v6, v1, s16
	v_add3_u32 v8, v8, v1, s16
	s_add_i32 s16, s8, -1
	v_or_b32_e32 v13, s11, v3
	v_add_u32_e32 v96, s17, v92
	v_and_b32_e32 v2, 3, v41
	v_min_i32_e32 v13, s16, v13
	v_add_u32_e32 v98, s17, v96
	v_lshlrev_b32_e32 v11, 5, v0
	v_cvt_f64_i32_e32 v[0:1], s16
	v_mad_u64_u32 v[102:103], s[16:17], v13, s9, v[2:3]
	v_lshlrev_b32_e32 v2, 2, v2
	v_add_u32_e32 v49, s11, v45
	v_lshl_or_b32 v2, v3, 4, v2
	v_add_u32_e32 v97, 0x76a0, v2
	v_cvt_f64_u32_e32 v[2:3], v49
	v_min_f64 v[2:3], v[2:3], v[0:1]
	v_cvt_i32_f64_e32 v2, v[2:3]
	v_mul_lo_u32 v99, s9, v2
	v_add_u32_e32 v2, 8, v49
	v_cvt_f64_u32_e32 v[2:3], v2
	v_min_f64 v[2:3], v[2:3], v[0:1]
	v_cvt_i32_f64_e32 v2, v[2:3]
	v_mul_lo_u32 v107, s9, v2
	;; [unrolled: 5-line block ×7, first 2 shown]
	v_add_u32_e32 v2, 56, v49
	v_cvt_f64_u32_e32 v[2:3], v2
	v_min_f64 v[0:1], v[2:3], v[0:1]
	v_lshrrev_b32_e32 v40, 4, v41
	v_cvt_i32_f64_e32 v0, v[0:1]
	v_mul_lo_u32 v133, s9, v0
	v_lshlrev_b32_e32 v0, 3, v41
	v_lshlrev_b32_e32 v15, 2, v40
	v_add_u32_e32 v1, 32, v41
	v_add3_u32 v136, v15, v0, s15
	v_mov_b32_e32 v0, 0x1080
	v_mad_u32_u24 v137, v41, s1, v0
	v_lshrrev_b32_e32 v0, 2, v1
	v_lshlrev_b32_e32 v2, 3, v1
	v_and_b32_e32 v0, 0x7c, v0
	v_and_b32_e32 v12, 31, v41
	v_lshlrev_b32_e32 v103, 7, v45
	v_add_u32_e32 v3, 64, v41
	v_add3_u32 v138, v2, v0, s15
	v_mov_b32_e32 v0, 0x2100
	v_lshl_or_b32 v12, v12, 2, v103
	v_mad_u32_u24 v139, v41, s1, v0
	v_lshrrev_b32_e32 v0, 2, v3
	v_add_u32_e32 v105, 0x4200, v12
	v_add_u32_e32 v109, 0x4600, v12
	;; [unrolled: 1-line block ×8, first 2 shown]
	v_lshlrev_b32_e32 v12, 3, v3
	v_and_b32_e32 v0, 0x7c, v0
	s_mov_b32 s0, 0
	v_add_u32_e32 v13, 0x60, v41
	v_add3_u32 v140, v12, v0, s15
	v_mov_b32_e32 v0, 0x3180
	v_mad_u32_u24 v141, v41, s1, v0
	v_lshrrev_b32_e32 v0, 2, v13
	s_mov_b32 s1, s0
	v_lshlrev_b32_e32 v14, 3, v13
	v_and_b32_e32 v0, 0x7c, v0
	v_and_b32_e32 v146, 0x1fc, v13
	v_lshlrev_b32_e32 v148, 5, v41
	v_and_b32_e32 v149, 0x1fc, v3
	v_and_b32_e32 v151, 0x1fc, v1
	;; [unrolled: 1-line block ×3, first 2 shown]
	v_mov_b64_e32 v[82:83], s[0:1]
	s_movk_i32 s5, 0x54
	v_mul_i32_i24_e32 v44, s4, v45
	v_add_u32_e32 v51, 0x420, v47
	v_add_u32_e32 v53, 0x840, v47
	;; [unrolled: 1-line block ×15, first 2 shown]
	v_cndmask_b32_e64 v86, 0, 1, vcc
	v_mov_b32_e32 v89, v43
	v_mul_u32_u24_e32 v135, 0x84, v41
	v_add3_u32 v142, v14, v0, s15
	v_lshrrev_b32_e32 v143, 3, v1
	v_lshrrev_b32_e32 v144, 3, v3
	;; [unrolled: 1-line block ×3, first 2 shown]
	v_or_b32_e32 v147, 0x4200, v146
	v_or_b32_e32 v150, 0x4200, v149
	;; [unrolled: 1-line block ×4, first 2 shown]
	v_add_u32_e32 v155, 0x6e08, v146
	v_add_u32_e32 v156, 0x6a08, v149
	;; [unrolled: 1-line block ×14, first 2 shown]
	s_mov_b32 s1, 0x1010101
	v_mov_b32_e32 v169, 4
	v_mov_b32_e32 v170, 15
	v_mov_b64_e32 v[38:39], v[82:83]
	v_mov_b64_e32 v[30:31], v[82:83]
	;; [unrolled: 1-line block ×15, first 2 shown]
	s_branch .LBB147_6
.LBB147_5:                              ;   in Loop: Header=BB147_6 Depth=1
	s_add_i32 s0, s0, 2
	s_cmp_ge_i32 s0, s4
	s_cbranch_scc1 .LBB147_16
.LBB147_6:                              ; =>This Loop Header: Depth=1
                                        ;     Child Loop BB147_7 Depth 2
                                        ;     Child Loop BB147_9 Depth 2
	;; [unrolled: 1-line block ×4, first 2 shown]
	s_mul_i32 s15, s0, 0x54
	s_mul_hi_u32 s9, s0, 0x54
	s_add_u32 s16, s6, s15
	s_addc_u32 s17, s7, s9
	v_mov_b64_e32 v[0:1], s[16:17]
	v_mad_u64_u32 v[2:3], s[16:17], v40, s5, v[0:1]
	v_lshl_add_u64 v[2:3], v[2:3], 0, v[42:43]
	v_lshl_add_u64 v[2:3], v[2:3], 0, 16
	v_mad_u64_u32 v[4:5], s[16:17], v44, s5, v[2:3]
	v_mad_u64_u32 v[6:7], s[16:17], v46, s5, v[2:3]
	;; [unrolled: 1-line block ×8, first 2 shown]
	global_load_dword v104, v[4:5], off
	global_load_dword v106, v[6:7], off
	;; [unrolled: 1-line block ×8, first 2 shown]
	v_mad_u64_u32 v[4:5], s[16:17], v60, s5, v[2:3]
	v_mad_u64_u32 v[6:7], s[16:17], v62, s5, v[2:3]
	;; [unrolled: 1-line block ×8, first 2 shown]
	global_load_dword v120, v[4:5], off
	global_load_dword v121, v[6:7], off
	;; [unrolled: 1-line block ×8, first 2 shown]
	v_mad_u64_u32 v[2:3], s[16:17], v80, s5, v[0:1]
	v_mad_u64_u32 v[0:1], s[16:17], v86, s5, v[0:1]
	v_lshl_add_u64 v[0:1], v[0:1], 0, v[88:89]
	s_lshl_b32 s9, s0, 3
	v_mad_u64_u32 v[2:3], s[16:17], v78, s5, v[2:3]
	v_mad_u64_u32 v[4:5], s[16:17], v90, s5, v[0:1]
	;; [unrolled: 1-line block ×5, first 2 shown]
	v_add_u32_e32 v112, s9, v93
	global_load_dword v175, v[2:3], off offset:80
	global_load_dword v176, v[4:5], off
	global_load_dword v177, v[6:7], off
	s_nop 0
	global_load_dword v8, v[8:9], off
	s_nop 0
	global_load_dword v178, v[0:1], off
	v_add_u32_e32 v0, v112, v99
	v_add_u32_e32 v2, v112, v107
	;; [unrolled: 1-line block ×6, first 2 shown]
	v_mad_i64_i32 v[0:1], s[16:17], v0, 36, v[100:101]
	v_mad_i64_i32 v[2:3], s[16:17], v2, 36, v[100:101]
	v_mad_i64_i32 v[4:5], s[16:17], v4, 36, v[100:101]
	v_mad_i64_i32 v[6:7], s[16:17], v6, 36, v[100:101]
	v_mad_i64_i32 v[10:11], s[16:17], v10, 36, v[100:101]
	v_add_u32_e32 v12, v112, v129
	v_add_u32_e32 v14, v112, v131
	;; [unrolled: 1-line block ×3, first 2 shown]
	v_mad_i64_i32 v[12:13], s[16:17], v12, 36, v[100:101]
	v_mad_i64_i32 v[14:15], s[16:17], v14, 36, v[100:101]
	;; [unrolled: 1-line block ×3, first 2 shown]
	v_mad_u64_u32 v[114:115], s[16:17], v9, 36, s[2:3]
	global_load_dword v0, v[0:1], off offset:4
	s_nop 0
	global_load_dword v1, v[2:3], off offset:4
	s_nop 0
	global_load_dword v2, v[4:5], off offset:4
	global_load_dword v3, v[6:7], off offset:4
	s_nop 0
	global_load_dword v4, v[10:11], off offset:4
	global_load_dword v5, v[114:115], off
	global_load_dword v6, v[12:13], off offset:4
	global_load_dword v7, v[14:15], off offset:4
	s_nop 0
	global_load_dword v10, v[112:113], off offset:4
	s_mov_b32 s17, -2
	v_mov_b32_e32 v11, v103
	v_mov_b32_e32 v13, v87
	s_waitcnt vmcnt(29)
	ds_write_b32 v47, v104
	s_waitcnt vmcnt(28)
	ds_write_b32 v51, v106
	;; [unrolled: 2-line block ×26, first 2 shown]
	s_waitcnt vmcnt(3)
	v_cvt_f32_f16_e32 v0, v5
	s_mov_b32 s15, 0
	s_waitcnt vmcnt(2)
	ds_write_b32 v130, v6
	s_waitcnt vmcnt(1)
	ds_write_b32 v132, v7
	s_waitcnt vmcnt(0)
	ds_write_b32 v134, v10
	ds_write_b32 v97, v0
	s_waitcnt lgkmcnt(0)
	s_barrier
.LBB147_7:                              ;   Parent Loop BB147_6 Depth=1
                                        ; =>  This Inner Loop Header: Depth=2
	s_and_b32 s16, s15, -16
	v_add_u32_e32 v104, s16, v148
	s_add_i32 s16, s17, 2
	s_and_b32 s18, s16, 0x3ffffff8
	s_lshl_b32 s18, s18, 2
	v_add_u32_e32 v0, 0x7400, v13
	v_add_u32_e32 v8, s18, v135
	ds_read2_b32 v[112:113], v0 offset0:168 offset1:200
	ds_read_b128 v[4:7], v11 offset:16896
	ds_read_b128 v[0:3], v11 offset:16912
	ds_read2_b32 v[14:15], v8 offset1:1
	ds_read2_b32 v[114:115], v8 offset0:4 offset1:5
	s_lshr_b32 s19, s16, 2
	s_and_b32 s19, s19, 0x3ffffffc
	v_mov_b32_e32 v116, 0
	s_waitcnt lgkmcnt(1)
	v_ashrrev_i32_e32 v10, s16, v14
	v_and_b32_e32 v175, 0x3030303, v10
	v_ashrrev_i32_e32 v10, s16, v15
	ds_read2_b32 v[14:15], v8 offset0:2 offset1:3
	v_and_b32_e32 v172, 0x3030303, v10
	v_mov_b32_e32 v218, 0
	v_mov_b32_e32 v219, 0
	;; [unrolled: 1-line block ×3, first 2 shown]
	s_waitcnt lgkmcnt(0)
	v_ashrrev_i32_e32 v10, s16, v14
	v_and_b32_e32 v173, 0x3030303, v10
	v_ashrrev_i32_e32 v10, s16, v15
	v_and_b32_e32 v174, 0x3030303, v10
	;; [unrolled: 2-line block ×3, first 2 shown]
	v_ashrrev_i32_e32 v10, s16, v115
	ds_read2_b32 v[114:115], v8 offset0:6 offset1:7
	v_and_b32_e32 v122, 0x3030303, v10
	v_add_u32_e32 v10, s19, v136
	v_mov_b32_e32 v220, 0
	v_mov_b32_e32 v221, 0
	s_waitcnt lgkmcnt(0)
	v_ashrrev_i32_e32 v8, s16, v114
	v_and_b32_e32 v123, 0x3030303, v8
	v_ashrrev_i32_e32 v8, s16, v115
	v_and_b32_e32 v171, 0x3030303, v8
	v_add3_u32 v8, v154, s17, v104
	ds_read_b32 v10, v10
	ds_read_u16 v12, v8 offset:8194
	s_add_i32 s15, s15, 2
	s_cmp_lt_u32 s16, 6
	s_waitcnt lgkmcnt(0)
	v_bfe_u32 v8, v12, 4, 4
	v_mul_lo_u32 v176, v8, s1
	v_mov_b32_e32 v8, 0
	v_and_b32_e32 v191, 15, v12
	v_lshrrev_b32_sdwa v14, v169, v12 dst_sel:DWORD dst_unused:UNUSED_PAD src0_sel:DWORD src1_sel:BYTE_1
	v_and_b32_sdwa v192, v12, v170 dst_sel:DWORD dst_unused:UNUSED_PAD src0_sel:BYTE_1 src1_sel:DWORD
	v_add_u32_e32 v12, s18, v137
	v_dot4c_i32_i8_e32 v8, v175, v4
	v_mul_lo_u32 v189, v14, s1
	v_mov_b32_e32 v14, 0
	ds_read2_b32 v[118:119], v12 offset1:1
	v_dot4c_i32_i8_e32 v8, v172, v5
	v_dot4c_i32_i8_e32 v14, v15, v0
	;; [unrolled: 1-line block ×8, first 2 shown]
	v_mul_lo_u32 v8, v191, v8
	v_dot4c_i32_i8_e32 v116, v176, v5
	v_mad_u64_u32 v[114:115], s[20:21], v192, v14, v[8:9]
	s_waitcnt lgkmcnt(0)
	v_ashrrev_i32_e32 v14, s16, v118
	v_and_b32_e32 v188, 0x3030303, v14
	v_ashrrev_i32_e32 v14, s16, v119
	ds_read2_b32 v[118:119], v12 offset0:2 offset1:3
	v_and_b32_e32 v185, 0x3030303, v14
	v_cvt_f32_i32_e32 v115, v114
	v_dot4c_i32_i8_e32 v116, v176, v6
	v_dot4c_i32_i8_e32 v116, v176, v7
	s_waitcnt lgkmcnt(0)
	v_ashrrev_i32_e32 v14, s16, v118
	v_and_b32_e32 v186, 0x3030303, v14
	v_ashrrev_i32_e32 v14, s16, v119
	ds_read2_b32 v[118:119], v12 offset0:4 offset1:5
	v_and_b32_e32 v187, 0x3030303, v14
	v_dot4c_i32_i8_e32 v116, v189, v0
	v_dot4c_i32_i8_e32 v116, v189, v1
	;; [unrolled: 1-line block ×3, first 2 shown]
	s_waitcnt lgkmcnt(0)
	v_ashrrev_i32_e32 v14, s16, v118
	v_and_b32_e32 v177, 0x3030303, v14
	v_ashrrev_i32_e32 v14, s16, v119
	ds_read2_b32 v[118:119], v12 offset0:6 offset1:7
	v_and_b32_e32 v178, 0x3030303, v14
	v_add_u32_e32 v14, s19, v138
	v_dot4c_i32_i8_e32 v116, v189, v3
	v_cvt_f32_f16_e32 v8, v10
	s_waitcnt lgkmcnt(0)
	v_ashrrev_i32_e32 v12, s16, v118
	v_and_b32_e32 v179, 0x3030303, v12
	v_ashrrev_i32_e32 v12, s16, v119
	v_and_b32_e32 v180, 0x3030303, v12
	v_add3_u32 v12, v152, s17, v104
	ds_read_b32 v14, v14
	ds_read_u16 v106, v12 offset:9218
	v_mov_b32_e32 v118, 0
	v_cvt_f32_f16_sdwa v10, v10 dst_sel:DWORD dst_unused:UNUSED_PAD src0_sel:WORD_1
	s_waitcnt lgkmcnt(0)
	v_bfe_u32 v12, v106, 4, 4
	v_mul_lo_u32 v190, v12, s1
	v_mov_b32_e32 v12, 0
	v_lshrrev_b32_sdwa v108, v169, v106 dst_sel:DWORD dst_unused:UNUSED_PAD src0_sel:DWORD src1_sel:BYTE_1
	v_dot4c_i32_i8_e32 v12, v188, v4
	v_mul_lo_u32 v201, v108, s1
	v_mov_b32_e32 v108, 0
	v_dot4c_i32_i8_e32 v12, v185, v5
	v_dot4c_i32_i8_e32 v108, v177, v0
	;; [unrolled: 1-line block ×5, first 2 shown]
	v_and_b32_e32 v204, 15, v106
	v_dot4c_i32_i8_e32 v108, v179, v2
	v_dot4c_i32_i8_e32 v108, v180, v3
	v_mul_lo_u32 v12, v204, v12
	v_and_b32_sdwa v205, v106, v170 dst_sel:DWORD dst_unused:UNUSED_PAD src0_sel:BYTE_1 src1_sel:DWORD
	v_add_u32_e32 v106, s18, v139
	v_mad_u64_u32 v[120:121], s[20:21], v205, v108, v[12:13]
	v_cvt_f32_i32_e32 v117, v120
	ds_read2_b32 v[120:121], v106 offset1:1
	v_dot4c_i32_i8_e32 v118, v190, v4
	v_dot4c_i32_i8_e32 v118, v190, v5
	;; [unrolled: 1-line block ×4, first 2 shown]
	s_waitcnt lgkmcnt(0)
	v_ashrrev_i32_e32 v108, s16, v120
	v_and_b32_e32 v200, 0x3030303, v108
	v_ashrrev_i32_e32 v108, s16, v121
	ds_read2_b32 v[120:121], v106 offset0:2 offset1:3
	v_and_b32_e32 v197, 0x3030303, v108
	v_dot4c_i32_i8_e32 v118, v201, v0
	v_dot4c_i32_i8_e32 v118, v201, v1
	;; [unrolled: 1-line block ×3, first 2 shown]
	s_waitcnt lgkmcnt(0)
	v_ashrrev_i32_e32 v108, s16, v120
	v_and_b32_e32 v198, 0x3030303, v108
	v_ashrrev_i32_e32 v108, s16, v121
	ds_read2_b32 v[120:121], v106 offset0:4 offset1:5
	v_and_b32_e32 v199, 0x3030303, v108
	v_dot4c_i32_i8_e32 v118, v201, v3
	v_cvt_f32_f16_e32 v12, v14
	v_cvt_f32_f16_sdwa v14, v14 dst_sel:DWORD dst_unused:UNUSED_PAD src0_sel:WORD_1
	s_waitcnt lgkmcnt(0)
	v_ashrrev_i32_e32 v108, s16, v120
	v_and_b32_e32 v193, 0x3030303, v108
	v_ashrrev_i32_e32 v108, s16, v121
	ds_read2_b32 v[120:121], v106 offset0:6 offset1:7
	v_and_b32_e32 v194, 0x3030303, v108
	v_add_u32_e32 v108, s19, v140
	s_waitcnt lgkmcnt(0)
	v_ashrrev_i32_e32 v106, s16, v120
	v_and_b32_e32 v195, 0x3030303, v106
	v_ashrrev_i32_e32 v106, s16, v121
	v_and_b32_e32 v196, 0x3030303, v106
	v_add3_u32 v106, v150, s17, v104
	ds_read_b32 v110, v108
	ds_read_u16 v108, v106 offset:10242
	v_add3_u32 v104, v147, s17, v104
	s_mov_b32 s17, s16
	s_waitcnt lgkmcnt(0)
	v_bfe_u32 v106, v108, 4, 4
	v_mul_lo_u32 v203, v106, s1
	v_mov_b32_e32 v106, 0
	v_lshrrev_b32_sdwa v114, v169, v108 dst_sel:DWORD dst_unused:UNUSED_PAD src0_sel:DWORD src1_sel:BYTE_1
	v_dot4c_i32_i8_e32 v106, v200, v4
	v_mul_lo_u32 v211, v114, s1
	v_mov_b32_e32 v114, 0
	v_dot4c_i32_i8_e32 v106, v197, v5
	v_dot4c_i32_i8_e32 v114, v193, v0
	;; [unrolled: 1-line block ×5, first 2 shown]
	v_and_b32_e32 v213, 15, v108
	v_dot4c_i32_i8_e32 v114, v195, v2
	v_dot4c_i32_i8_e32 v114, v196, v3
	v_mul_lo_u32 v106, v213, v106
	v_and_b32_sdwa v214, v108, v170 dst_sel:DWORD dst_unused:UNUSED_PAD src0_sel:BYTE_1 src1_sel:DWORD
	v_dot4c_i32_i8_e32 v218, v203, v4
	v_mad_u64_u32 v[120:121], s[20:21], v214, v114, v[106:107]
	v_add_u32_e32 v106, s18, v141
	v_cvt_f32_i32_e32 v119, v120
	ds_read2_b32 v[120:121], v106 offset1:1
	v_dot4c_i32_i8_e32 v218, v203, v5
	v_dot4c_i32_i8_e32 v218, v203, v6
	;; [unrolled: 1-line block ×4, first 2 shown]
	s_waitcnt lgkmcnt(0)
	v_ashrrev_i32_e32 v114, s16, v120
	v_and_b32_e32 v210, 0x3030303, v114
	v_ashrrev_i32_e32 v114, s16, v121
	ds_read2_b32 v[120:121], v106 offset0:2 offset1:3
	v_and_b32_e32 v207, 0x3030303, v114
	v_dot4c_i32_i8_e32 v218, v211, v1
	v_dot4c_i32_i8_e32 v218, v211, v2
	;; [unrolled: 1-line block ×3, first 2 shown]
	s_waitcnt lgkmcnt(0)
	v_ashrrev_i32_e32 v114, s16, v120
	v_and_b32_e32 v208, 0x3030303, v114
	v_ashrrev_i32_e32 v114, s16, v121
	ds_read2_b32 v[120:121], v106 offset0:4 offset1:5
	v_and_b32_e32 v209, 0x3030303, v114
	v_cvt_f32_f16_e32 v108, v110
	v_cvt_f32_f16_sdwa v110, v110 dst_sel:DWORD dst_unused:UNUSED_PAD src0_sel:WORD_1
	s_waitcnt lgkmcnt(0)
	v_ashrrev_i32_e32 v114, s16, v120
	v_and_b32_e32 v181, 0x3030303, v114
	v_ashrrev_i32_e32 v114, s16, v121
	ds_read2_b32 v[120:121], v106 offset0:6 offset1:7
	v_and_b32_e32 v182, 0x3030303, v114
	s_waitcnt lgkmcnt(0)
	v_ashrrev_i32_e32 v106, s16, v120
	v_and_b32_e32 v183, 0x3030303, v106
	v_ashrrev_i32_e32 v106, s16, v121
	v_and_b32_e32 v184, 0x3030303, v106
	v_add_u32_e32 v106, s19, v142
	ds_read_b32 v106, v106
	ds_read_u16 v104, v104 offset:11266
	v_mov_b32_e32 v120, 0
	s_waitcnt lgkmcnt(0)
	v_bfe_u32 v114, v104, 4, 4
	v_mul_lo_u32 v212, v114, s1
	v_mov_b32_e32 v114, 0
	v_dot4c_i32_i8_e32 v114, v210, v4
	v_dot4c_i32_i8_e32 v219, v212, v4
	;; [unrolled: 1-line block ×4, first 2 shown]
	v_lshrrev_b32_sdwa v5, v169, v104 dst_sel:DWORD dst_unused:UNUSED_PAD src0_sel:DWORD src1_sel:BYTE_1
	v_mul_lo_u32 v202, v5, s1
	v_mov_b32_e32 v5, 0
	v_dot4c_i32_i8_e32 v219, v212, v6
	v_dot4c_i32_i8_e32 v5, v181, v0
	;; [unrolled: 1-line block ×6, first 2 shown]
	v_and_b32_e32 v215, 15, v104
	v_dot4c_i32_i8_e32 v219, v202, v0
	v_dot4c_i32_i8_e32 v5, v183, v2
	v_mul_lo_u32 v4, v215, v114
	v_dot4c_i32_i8_e32 v219, v202, v1
	v_dot4c_i32_i8_e32 v5, v184, v3
	v_and_b32_sdwa v206, v104, v170 dst_sel:DWORD dst_unused:UNUSED_PAD src0_sel:BYTE_1 src1_sel:DWORD
	v_dot4c_i32_i8_e32 v219, v202, v2
	v_dot4c_i32_i8_e32 v219, v202, v3
	v_mad_u64_u32 v[0:1], s[18:19], v206, v5, v[4:5]
	v_cvt_f32_i32_e32 v121, v0
	ds_read_b128 v[4:7], v11 offset:17920
	ds_read_b128 v[0:3], v11 offset:17936
	v_mov_b32_e32 v114, 0
	v_cvt_f32_f16_e32 v104, v106
	v_cvt_f32_f16_sdwa v106, v106 dst_sel:DWORD dst_unused:UNUSED_PAD src0_sel:WORD_1
	s_waitcnt lgkmcnt(1)
	v_dot4c_i32_i8_e32 v120, v176, v4
	v_dot4c_i32_i8_e32 v120, v176, v5
	;; [unrolled: 1-line block ×6, first 2 shown]
	s_waitcnt lgkmcnt(0)
	v_dot4c_i32_i8_e32 v216, v15, v0
	v_dot4c_i32_i8_e32 v114, v173, v6
	;; [unrolled: 1-line block ×8, first 2 shown]
	v_mul_lo_u32 v114, v114, v191
	v_dot4c_i32_i8_e32 v216, v171, v3
	v_dot4c_i32_i8_e32 v120, v189, v3
	s_nop 1
	v_mad_u64_u32 v[216:217], s[18:19], v216, v192, v[114:115]
	v_cvt_f32_i32_e32 v114, v216
	v_cvt_f32_i32_e32 v217, v116
	;; [unrolled: 1-line block ×3, first 2 shown]
	v_mov_b32_e32 v120, 0
	v_dot4c_i32_i8_e32 v120, v190, v4
	v_dot4c_i32_i8_e32 v120, v190, v5
	v_pk_mul_f32 v[216:217], v[10:11], v[216:217] op_sel_hi:[0,1]
	v_pk_fma_f32 v[216:217], v[8:9], v[114:115], v[216:217] op_sel_hi:[0,1,1] neg_lo:[0,0,1] neg_hi:[0,0,1]
	v_mov_b32_e32 v115, v112
	v_mov_b32_e32 v112, 0
	;; [unrolled: 1-line block ×3, first 2 shown]
	v_dot4c_i32_i8_e32 v112, v188, v4
	v_dot4c_i32_i8_e32 v120, v190, v6
	v_mov_b32_e32 v113, 0
	v_dot4c_i32_i8_e32 v112, v185, v5
	v_dot4c_i32_i8_e32 v120, v190, v7
	;; [unrolled: 1-line block ×10, first 2 shown]
	v_mul_lo_u32 v112, v112, v204
	v_dot4c_i32_i8_e32 v113, v180, v3
	v_dot4c_i32_i8_e32 v120, v201, v3
	v_pk_fma_f32 v[82:83], v[114:115], v[216:217], v[82:83]
	s_nop 0
	v_mad_u64_u32 v[112:113], s[18:19], v113, v205, v[112:113]
	v_cvt_f32_i32_e32 v116, v112
	v_cvt_f32_i32_e32 v113, v118
	;; [unrolled: 1-line block ×3, first 2 shown]
	v_pk_mul_f32 v[112:113], v[14:15], v[112:113] op_sel_hi:[0,1]
	v_pk_fma_f32 v[112:113], v[12:13], v[116:117], v[112:113] op_sel_hi:[0,1,1] neg_lo:[0,0,1] neg_hi:[0,0,1]
	v_mov_b32_e32 v116, 0
	v_dot4c_i32_i8_e32 v116, v203, v4
	v_pk_fma_f32 v[94:95], v[114:115], v[112:113], v[94:95]
	v_mov_b32_e32 v112, 0
	v_dot4c_i32_i8_e32 v116, v203, v5
	v_dot4c_i32_i8_e32 v112, v200, v4
	;; [unrolled: 1-line block ×3, first 2 shown]
	v_mov_b32_e32 v113, 0
	v_dot4c_i32_i8_e32 v112, v197, v5
	v_dot4c_i32_i8_e32 v116, v203, v7
	v_dot4c_i32_i8_e32 v113, v193, v0
	v_dot4c_i32_i8_e32 v112, v198, v6
	v_dot4c_i32_i8_e32 v116, v211, v0
	v_dot4c_i32_i8_e32 v113, v194, v1
	v_dot4c_i32_i8_e32 v112, v199, v7
	v_dot4c_i32_i8_e32 v116, v211, v1
	v_dot4c_i32_i8_e32 v113, v195, v2
	v_dot4c_i32_i8_e32 v116, v211, v2
	v_mul_lo_u32 v112, v112, v213
	v_dot4c_i32_i8_e32 v113, v196, v3
	v_dot4c_i32_i8_e32 v116, v211, v3
	v_mov_b32_e32 v117, 0
	s_nop 0
	v_mad_u64_u32 v[112:113], s[18:19], v113, v214, v[112:113]
	v_cvt_f32_i32_e32 v118, v112
	v_cvt_f32_i32_e32 v113, v218
	;; [unrolled: 1-line block ×3, first 2 shown]
	v_mov_b32_e32 v218, 0
	v_pk_mul_f32 v[112:113], v[110:111], v[112:113] op_sel_hi:[0,1]
	v_pk_fma_f32 v[112:113], v[108:109], v[118:119], v[112:113] op_sel_hi:[0,1,1] neg_lo:[0,0,1] neg_hi:[0,0,1]
	v_pk_fma_f32 v[84:85], v[114:115], v[112:113], v[84:85]
	v_mov_b32_e32 v113, 0
	v_mov_b32_e32 v112, 0
	v_dot4c_i32_i8_e32 v113, v212, v4
	v_dot4c_i32_i8_e32 v112, v210, v4
	;; [unrolled: 1-line block ×5, first 2 shown]
	v_mov_b32_e32 v5, 0
	v_dot4c_i32_i8_e32 v113, v212, v7
	v_dot4c_i32_i8_e32 v5, v181, v0
	;; [unrolled: 1-line block ×9, first 2 shown]
	v_mul_lo_u32 v4, v112, v215
	v_dot4c_i32_i8_e32 v5, v184, v3
	v_dot4c_i32_i8_e32 v113, v202, v3
	v_mov_b32_e32 v119, 0
	s_nop 0
	v_mad_u64_u32 v[0:1], s[18:19], v5, v206, v[4:5]
	v_cvt_f32_i32_e32 v120, v0
	v_cvt_f32_i32_e32 v1, v219
	;; [unrolled: 1-line block ×3, first 2 shown]
	v_mov_b32_e32 v219, 0
	v_pk_mul_f32 v[0:1], v[106:107], v[0:1] op_sel_hi:[0,1]
	v_pk_fma_f32 v[0:1], v[104:105], v[120:121], v[0:1] op_sel_hi:[0,1,1] neg_lo:[0,0,1] neg_hi:[0,0,1]
	v_pk_fma_f32 v[76:77], v[114:115], v[0:1], v[76:77]
	v_add_u32_e32 v0, 0x7600, v13
	ds_read2_b32 v[112:113], v0 offset0:104 offset1:136
	ds_read_b128 v[4:7], v11 offset:18944
	ds_read_b128 v[0:3], v11 offset:18960
	v_mov_b32_e32 v114, 0
	v_mov_b32_e32 v115, 0
	s_waitcnt lgkmcnt(1)
	v_dot4c_i32_i8_e32 v114, v175, v4
	v_dot4c_i32_i8_e32 v114, v172, v5
	s_waitcnt lgkmcnt(0)
	v_dot4c_i32_i8_e32 v115, v15, v0
	v_dot4c_i32_i8_e32 v114, v173, v6
	v_dot4c_i32_i8_e32 v115, v122, v1
	v_dot4c_i32_i8_e32 v114, v174, v7
	v_dot4c_i32_i8_e32 v115, v123, v2
	v_dot4c_i32_i8_e32 v115, v171, v3
	v_dot4c_i32_i8_e32 v117, v176, v4
	v_mul_lo_u32 v114, v114, v191
	v_dot4c_i32_i8_e32 v218, v190, v4
	v_mad_u64_u32 v[114:115], s[18:19], v115, v192, v[114:115]
	v_cvt_f32_i32_e32 v120, v114
	v_mov_b32_e32 v114, 0
	v_dot4c_i32_i8_e32 v114, v188, v4
	v_mov_b32_e32 v115, 0
	v_dot4c_i32_i8_e32 v114, v185, v5
	v_dot4c_i32_i8_e32 v115, v177, v0
	;; [unrolled: 1-line block ×8, first 2 shown]
	v_mul_lo_u32 v114, v114, v204
	v_dot4c_i32_i8_e32 v220, v212, v4
	v_mad_u64_u32 v[114:115], s[18:19], v115, v205, v[114:115]
	v_cvt_f32_i32_e32 v118, v114
	v_mov_b32_e32 v114, 0
	v_dot4c_i32_i8_e32 v114, v200, v4
	v_mov_b32_e32 v115, 0
	v_dot4c_i32_i8_e32 v114, v197, v5
	v_dot4c_i32_i8_e32 v115, v193, v0
	;; [unrolled: 1-line block ×8, first 2 shown]
	v_mul_lo_u32 v114, v114, v213
	v_dot4c_i32_i8_e32 v218, v190, v5
	v_mad_u64_u32 v[114:115], s[18:19], v115, v214, v[114:115]
	v_cvt_f32_i32_e32 v116, v114
	v_mov_b32_e32 v114, 0
	v_dot4c_i32_i8_e32 v114, v210, v4
	v_dot4c_i32_i8_e32 v219, v203, v5
	;; [unrolled: 1-line block ×4, first 2 shown]
	v_mov_b32_e32 v5, 0
	v_dot4c_i32_i8_e32 v117, v176, v6
	v_dot4c_i32_i8_e32 v218, v190, v6
	;; [unrolled: 1-line block ×20, first 2 shown]
	v_mul_lo_u32 v4, v114, v215
	v_dot4c_i32_i8_e32 v220, v202, v1
	v_dot4c_i32_i8_e32 v5, v184, v3
	;; [unrolled: 1-line block ×6, first 2 shown]
	v_mad_u64_u32 v[0:1], s[18:19], v5, v206, v[4:5]
	v_dot4c_i32_i8_e32 v117, v189, v3
	v_dot4c_i32_i8_e32 v218, v201, v3
	;; [unrolled: 1-line block ×4, first 2 shown]
	v_cvt_f32_i32_e32 v114, v0
	ds_read_b128 v[4:7], v11 offset:19968
	ds_read_b128 v[0:3], v11 offset:19984
	v_mov_b32_e32 v115, 0
	s_waitcnt lgkmcnt(1)
	v_dot4c_i32_i8_e32 v115, v175, v4
	v_dot4c_i32_i8_e32 v115, v172, v5
	;; [unrolled: 1-line block ×8, first 2 shown]
	s_waitcnt lgkmcnt(0)
	v_dot4c_i32_i8_e32 v119, v189, v0
	v_mul_lo_u32 v216, v115, v191
	v_mov_b32_e32 v115, 0
	v_dot4c_i32_i8_e32 v115, v15, v0
	v_dot4c_i32_i8_e32 v115, v122, v1
	;; [unrolled: 1-line block ×7, first 2 shown]
	s_nop 1
	v_mad_u64_u32 v[216:217], s[18:19], v115, v192, v[216:217]
	v_cvt_f32_i32_e32 v121, v216
	v_cvt_f32_i32_e32 v217, v119
	;; [unrolled: 1-line block ×3, first 2 shown]
	v_mov_b32_e32 v115, 0
	v_dot4c_i32_i8_e32 v115, v188, v4
	v_mov_b32_e32 v117, 0
	v_dot4c_i32_i8_e32 v115, v185, v5
	v_pk_mul_f32 v[216:217], v[10:11], v[216:217] op_sel_hi:[0,1]
	v_dot4c_i32_i8_e32 v117, v190, v4
	v_dot4c_i32_i8_e32 v115, v186, v6
	v_pk_fma_f32 v[120:121], v[8:9], v[120:121], v[216:217] op_sel_hi:[0,1,1] neg_lo:[0,0,1] neg_hi:[0,0,1]
	v_dot4c_i32_i8_e32 v117, v190, v5
	v_dot4c_i32_i8_e32 v115, v187, v7
	v_pk_fma_f32 v[38:39], v[112:113], v[120:121], v[38:39]
	v_dot4c_i32_i8_e32 v117, v190, v6
	v_dot4c_i32_i8_e32 v117, v190, v7
	v_mul_lo_u32 v120, v115, v204
	v_mov_b32_e32 v115, 0
	v_dot4c_i32_i8_e32 v115, v177, v0
	v_dot4c_i32_i8_e32 v117, v201, v0
	;; [unrolled: 1-line block ×8, first 2 shown]
	v_add_u32_e32 v216, 0x7800, v13
	v_mov_b32_e32 v217, 0
	v_mad_u64_u32 v[120:121], s[18:19], v115, v205, v[120:121]
	v_cvt_f32_i32_e32 v119, v120
	v_cvt_f32_i32_e32 v121, v117
	;; [unrolled: 1-line block ×3, first 2 shown]
	v_mov_b32_e32 v115, 0
	v_dot4c_i32_i8_e32 v115, v200, v4
	v_dot4c_i32_i8_e32 v115, v197, v5
	v_pk_mul_f32 v[120:121], v[14:15], v[120:121] op_sel_hi:[0,1]
	v_pk_fma_f32 v[118:119], v[12:13], v[118:119], v[120:121] op_sel_hi:[0,1,1] neg_lo:[0,0,1] neg_hi:[0,0,1]
	v_mov_b32_e32 v120, 0
	v_dot4c_i32_i8_e32 v120, v203, v4
	v_dot4c_i32_i8_e32 v115, v198, v6
	;; [unrolled: 1-line block ×4, first 2 shown]
	v_pk_fma_f32 v[36:37], v[112:113], v[118:119], v[36:37]
	v_dot4c_i32_i8_e32 v120, v203, v6
	v_dot4c_i32_i8_e32 v120, v203, v7
	v_mul_lo_u32 v118, v115, v213
	v_mov_b32_e32 v115, 0
	v_dot4c_i32_i8_e32 v115, v193, v0
	v_dot4c_i32_i8_e32 v120, v211, v0
	;; [unrolled: 1-line block ×8, first 2 shown]
	s_nop 1
	v_mad_u64_u32 v[118:119], s[18:19], v115, v214, v[118:119]
	v_cvt_f32_i32_e32 v117, v118
	v_cvt_f32_i32_e32 v119, v120
	;; [unrolled: 1-line block ×3, first 2 shown]
	v_mov_b32_e32 v115, 0
	v_dot4c_i32_i8_e32 v115, v210, v4
	v_dot4c_i32_i8_e32 v115, v207, v5
	v_pk_mul_f32 v[118:119], v[110:111], v[118:119] op_sel_hi:[0,1]
	v_pk_fma_f32 v[116:117], v[108:109], v[116:117], v[118:119] op_sel_hi:[0,1,1] neg_lo:[0,0,1] neg_hi:[0,0,1]
	v_pk_fma_f32 v[34:35], v[112:113], v[116:117], v[34:35]
	v_mov_b32_e32 v116, 0
	v_dot4c_i32_i8_e32 v116, v212, v4
	v_dot4c_i32_i8_e32 v116, v212, v5
	v_dot4c_i32_i8_e32 v116, v212, v6
	v_mov_b32_e32 v5, 0
	v_dot4c_i32_i8_e32 v116, v212, v7
	v_dot4c_i32_i8_e32 v5, v181, v0
	;; [unrolled: 1-line block ×9, first 2 shown]
	v_mul_lo_u32 v4, v115, v215
	v_dot4c_i32_i8_e32 v5, v184, v3
	v_dot4c_i32_i8_e32 v116, v202, v3
	v_mov_b32_e32 v117, 0
	v_mov_b32_e32 v119, 0
	v_mad_u64_u32 v[0:1], s[18:19], v5, v206, v[4:5]
	v_cvt_f32_i32_e32 v115, v0
	v_cvt_f32_i32_e32 v1, v116
	v_cvt_f32_i32_e32 v0, v220
	v_mov_b32_e32 v220, 0
	v_pk_mul_f32 v[0:1], v[106:107], v[0:1] op_sel_hi:[0,1]
	v_pk_fma_f32 v[0:1], v[104:105], v[114:115], v[0:1] op_sel_hi:[0,1,1] neg_lo:[0,0,1] neg_hi:[0,0,1]
	v_pk_fma_f32 v[32:33], v[112:113], v[0:1], v[32:33]
	ds_read2_b32 v[112:113], v216 offset0:40 offset1:72
	ds_read_b128 v[4:7], v11 offset:20992
	ds_read_b128 v[0:3], v11 offset:21008
	v_mov_b32_e32 v114, 0
	v_mov_b32_e32 v115, 0
	s_waitcnt lgkmcnt(1)
	v_dot4c_i32_i8_e32 v114, v175, v4
	v_dot4c_i32_i8_e32 v114, v172, v5
	s_waitcnt lgkmcnt(0)
	v_dot4c_i32_i8_e32 v115, v15, v0
	v_dot4c_i32_i8_e32 v114, v173, v6
	;; [unrolled: 1-line block ×7, first 2 shown]
	v_mul_lo_u32 v114, v114, v191
	v_dot4c_i32_i8_e32 v217, v190, v4
	v_mad_u64_u32 v[114:115], s[18:19], v115, v192, v[114:115]
	v_cvt_f32_i32_e32 v120, v114
	v_mov_b32_e32 v114, 0
	v_dot4c_i32_i8_e32 v114, v188, v4
	v_mov_b32_e32 v115, 0
	v_dot4c_i32_i8_e32 v114, v185, v5
	v_dot4c_i32_i8_e32 v115, v177, v0
	v_dot4c_i32_i8_e32 v114, v186, v6
	v_dot4c_i32_i8_e32 v115, v178, v1
	v_dot4c_i32_i8_e32 v114, v187, v7
	v_dot4c_i32_i8_e32 v115, v179, v2
	v_dot4c_i32_i8_e32 v115, v180, v3
	v_dot4c_i32_i8_e32 v220, v203, v4
	v_mul_lo_u32 v114, v114, v204
	v_dot4c_i32_i8_e32 v221, v212, v4
	v_mad_u64_u32 v[114:115], s[18:19], v115, v205, v[114:115]
	v_cvt_f32_i32_e32 v118, v114
	v_mov_b32_e32 v114, 0
	v_dot4c_i32_i8_e32 v114, v200, v4
	v_mov_b32_e32 v115, 0
	v_dot4c_i32_i8_e32 v114, v197, v5
	v_dot4c_i32_i8_e32 v115, v193, v0
	;; [unrolled: 1-line block ×8, first 2 shown]
	v_mul_lo_u32 v114, v114, v213
	v_dot4c_i32_i8_e32 v217, v190, v5
	v_mad_u64_u32 v[114:115], s[18:19], v115, v214, v[114:115]
	v_cvt_f32_i32_e32 v116, v114
	v_mov_b32_e32 v114, 0
	v_dot4c_i32_i8_e32 v114, v210, v4
	v_dot4c_i32_i8_e32 v220, v203, v5
	;; [unrolled: 1-line block ×4, first 2 shown]
	v_mov_b32_e32 v5, 0
	v_dot4c_i32_i8_e32 v117, v176, v6
	v_dot4c_i32_i8_e32 v217, v190, v6
	;; [unrolled: 1-line block ×20, first 2 shown]
	v_mul_lo_u32 v4, v114, v215
	v_dot4c_i32_i8_e32 v221, v202, v1
	v_dot4c_i32_i8_e32 v5, v184, v3
	;; [unrolled: 1-line block ×6, first 2 shown]
	v_mad_u64_u32 v[0:1], s[18:19], v5, v206, v[4:5]
	v_dot4c_i32_i8_e32 v117, v189, v3
	v_dot4c_i32_i8_e32 v217, v201, v3
	;; [unrolled: 1-line block ×4, first 2 shown]
	v_cvt_f32_i32_e32 v114, v0
	ds_read_b128 v[4:7], v11 offset:22016
	ds_read_b128 v[0:3], v11 offset:22032
	v_mov_b32_e32 v115, 0
	s_waitcnt lgkmcnt(1)
	v_dot4c_i32_i8_e32 v115, v175, v4
	v_dot4c_i32_i8_e32 v115, v172, v5
	;; [unrolled: 1-line block ×8, first 2 shown]
	s_waitcnt lgkmcnt(0)
	v_dot4c_i32_i8_e32 v119, v189, v0
	v_mul_lo_u32 v218, v115, v191
	v_mov_b32_e32 v115, 0
	v_dot4c_i32_i8_e32 v115, v15, v0
	v_dot4c_i32_i8_e32 v115, v122, v1
	v_dot4c_i32_i8_e32 v119, v189, v1
	v_dot4c_i32_i8_e32 v115, v123, v2
	v_dot4c_i32_i8_e32 v119, v189, v2
	v_dot4c_i32_i8_e32 v115, v171, v3
	v_dot4c_i32_i8_e32 v119, v189, v3
	s_nop 1
	v_mad_u64_u32 v[218:219], s[18:19], v115, v192, v[218:219]
	v_cvt_f32_i32_e32 v121, v218
	v_cvt_f32_i32_e32 v219, v119
	;; [unrolled: 1-line block ×3, first 2 shown]
	v_mov_b32_e32 v115, 0
	v_dot4c_i32_i8_e32 v115, v188, v4
	v_mov_b32_e32 v117, 0
	v_dot4c_i32_i8_e32 v115, v185, v5
	v_pk_mul_f32 v[218:219], v[10:11], v[218:219] op_sel_hi:[0,1]
	v_dot4c_i32_i8_e32 v117, v190, v4
	v_dot4c_i32_i8_e32 v115, v186, v6
	v_pk_fma_f32 v[120:121], v[8:9], v[120:121], v[218:219] op_sel_hi:[0,1,1] neg_lo:[0,0,1] neg_hi:[0,0,1]
	v_dot4c_i32_i8_e32 v117, v190, v5
	v_dot4c_i32_i8_e32 v115, v187, v7
	v_pk_fma_f32 v[30:31], v[112:113], v[120:121], v[30:31]
	v_dot4c_i32_i8_e32 v117, v190, v6
	v_dot4c_i32_i8_e32 v117, v190, v7
	v_mul_lo_u32 v120, v115, v204
	v_mov_b32_e32 v115, 0
	v_dot4c_i32_i8_e32 v115, v177, v0
	v_dot4c_i32_i8_e32 v117, v201, v0
	;; [unrolled: 1-line block ×8, first 2 shown]
	v_mov_b32_e32 v218, 0
	s_nop 0
	v_mad_u64_u32 v[120:121], s[18:19], v115, v205, v[120:121]
	v_cvt_f32_i32_e32 v119, v120
	v_cvt_f32_i32_e32 v121, v117
	;; [unrolled: 1-line block ×3, first 2 shown]
	v_mov_b32_e32 v115, 0
	v_dot4c_i32_i8_e32 v115, v200, v4
	v_dot4c_i32_i8_e32 v115, v197, v5
	v_pk_mul_f32 v[120:121], v[14:15], v[120:121] op_sel_hi:[0,1]
	v_pk_fma_f32 v[118:119], v[12:13], v[118:119], v[120:121] op_sel_hi:[0,1,1] neg_lo:[0,0,1] neg_hi:[0,0,1]
	v_mov_b32_e32 v120, 0
	v_dot4c_i32_i8_e32 v120, v203, v4
	v_dot4c_i32_i8_e32 v115, v198, v6
	;; [unrolled: 1-line block ×4, first 2 shown]
	v_pk_fma_f32 v[28:29], v[112:113], v[118:119], v[28:29]
	v_dot4c_i32_i8_e32 v120, v203, v6
	v_dot4c_i32_i8_e32 v120, v203, v7
	v_mul_lo_u32 v118, v115, v213
	v_mov_b32_e32 v115, 0
	v_dot4c_i32_i8_e32 v115, v193, v0
	v_dot4c_i32_i8_e32 v120, v211, v0
	;; [unrolled: 1-line block ×8, first 2 shown]
	v_mov_b32_e32 v217, 0
	s_nop 0
	v_mad_u64_u32 v[118:119], s[18:19], v115, v214, v[118:119]
	v_cvt_f32_i32_e32 v117, v118
	v_cvt_f32_i32_e32 v119, v120
	;; [unrolled: 1-line block ×3, first 2 shown]
	v_mov_b32_e32 v115, 0
	v_dot4c_i32_i8_e32 v115, v210, v4
	v_dot4c_i32_i8_e32 v115, v207, v5
	v_pk_mul_f32 v[118:119], v[110:111], v[118:119] op_sel_hi:[0,1]
	v_pk_fma_f32 v[116:117], v[108:109], v[116:117], v[118:119] op_sel_hi:[0,1,1] neg_lo:[0,0,1] neg_hi:[0,0,1]
	v_pk_fma_f32 v[26:27], v[112:113], v[116:117], v[26:27]
	v_mov_b32_e32 v116, 0
	v_dot4c_i32_i8_e32 v116, v212, v4
	v_dot4c_i32_i8_e32 v116, v212, v5
	;; [unrolled: 1-line block ×3, first 2 shown]
	v_mov_b32_e32 v5, 0
	v_dot4c_i32_i8_e32 v116, v212, v7
	v_dot4c_i32_i8_e32 v5, v181, v0
	;; [unrolled: 1-line block ×9, first 2 shown]
	v_mul_lo_u32 v4, v115, v215
	v_dot4c_i32_i8_e32 v5, v184, v3
	v_dot4c_i32_i8_e32 v116, v202, v3
	v_mov_b32_e32 v117, 0
	v_mov_b32_e32 v119, 0
	v_mad_u64_u32 v[0:1], s[18:19], v5, v206, v[4:5]
	v_cvt_f32_i32_e32 v115, v0
	v_cvt_f32_i32_e32 v1, v116
	v_cvt_f32_i32_e32 v0, v221
	v_pk_mul_f32 v[0:1], v[106:107], v[0:1] op_sel_hi:[0,1]
	v_pk_fma_f32 v[0:1], v[104:105], v[114:115], v[0:1] op_sel_hi:[0,1,1] neg_lo:[0,0,1] neg_hi:[0,0,1]
	v_pk_fma_f32 v[24:25], v[112:113], v[0:1], v[24:25]
	ds_read2_b32 v[112:113], v216 offset0:104 offset1:136
	ds_read_b128 v[4:7], v11 offset:23040
	ds_read_b128 v[0:3], v11 offset:23056
	v_mov_b32_e32 v114, 0
	v_mov_b32_e32 v115, 0
	v_mov_b32_e32 v216, 0
	s_waitcnt lgkmcnt(1)
	v_dot4c_i32_i8_e32 v114, v175, v4
	v_dot4c_i32_i8_e32 v114, v172, v5
	s_waitcnt lgkmcnt(0)
	v_dot4c_i32_i8_e32 v115, v15, v0
	v_dot4c_i32_i8_e32 v114, v173, v6
	;; [unrolled: 1-line block ×7, first 2 shown]
	v_mul_lo_u32 v114, v114, v191
	v_dot4c_i32_i8_e32 v217, v190, v4
	v_mad_u64_u32 v[114:115], s[18:19], v115, v192, v[114:115]
	v_cvt_f32_i32_e32 v120, v114
	v_mov_b32_e32 v114, 0
	v_dot4c_i32_i8_e32 v114, v188, v4
	v_mov_b32_e32 v115, 0
	v_dot4c_i32_i8_e32 v114, v185, v5
	v_dot4c_i32_i8_e32 v115, v177, v0
	;; [unrolled: 1-line block ×8, first 2 shown]
	v_mul_lo_u32 v114, v114, v204
	v_dot4c_i32_i8_e32 v216, v212, v4
	v_mad_u64_u32 v[114:115], s[18:19], v115, v205, v[114:115]
	v_cvt_f32_i32_e32 v118, v114
	v_mov_b32_e32 v114, 0
	v_dot4c_i32_i8_e32 v114, v200, v4
	v_mov_b32_e32 v115, 0
	v_dot4c_i32_i8_e32 v114, v197, v5
	v_dot4c_i32_i8_e32 v115, v193, v0
	;; [unrolled: 1-line block ×8, first 2 shown]
	v_mul_lo_u32 v114, v114, v213
	v_dot4c_i32_i8_e32 v217, v190, v5
	v_mad_u64_u32 v[114:115], s[18:19], v115, v214, v[114:115]
	v_cvt_f32_i32_e32 v116, v114
	v_mov_b32_e32 v114, 0
	v_dot4c_i32_i8_e32 v114, v210, v4
	v_dot4c_i32_i8_e32 v218, v203, v5
	;; [unrolled: 1-line block ×4, first 2 shown]
	v_mov_b32_e32 v5, 0
	v_dot4c_i32_i8_e32 v117, v176, v6
	v_dot4c_i32_i8_e32 v217, v190, v6
	;; [unrolled: 1-line block ×20, first 2 shown]
	v_mul_lo_u32 v4, v114, v215
	v_dot4c_i32_i8_e32 v216, v202, v1
	v_dot4c_i32_i8_e32 v5, v184, v3
	;; [unrolled: 1-line block ×6, first 2 shown]
	v_mad_u64_u32 v[0:1], s[18:19], v5, v206, v[4:5]
	v_dot4c_i32_i8_e32 v117, v189, v3
	v_dot4c_i32_i8_e32 v217, v201, v3
	;; [unrolled: 1-line block ×4, first 2 shown]
	v_cvt_f32_i32_e32 v114, v0
	ds_read_b128 v[4:7], v11 offset:24064
	ds_read_b128 v[0:3], v11 offset:24080
	v_mov_b32_e32 v115, 0
	s_waitcnt lgkmcnt(1)
	v_dot4c_i32_i8_e32 v115, v175, v4
	v_dot4c_i32_i8_e32 v115, v172, v5
	v_dot4c_i32_i8_e32 v119, v176, v4
	v_dot4c_i32_i8_e32 v115, v173, v6
	v_dot4c_i32_i8_e32 v119, v176, v5
	v_dot4c_i32_i8_e32 v115, v174, v7
	v_dot4c_i32_i8_e32 v119, v176, v6
	v_dot4c_i32_i8_e32 v119, v176, v7
	s_waitcnt lgkmcnt(0)
	v_dot4c_i32_i8_e32 v119, v189, v0
	v_mul_lo_u32 v172, v115, v191
	v_mov_b32_e32 v115, 0
	v_dot4c_i32_i8_e32 v115, v15, v0
	v_dot4c_i32_i8_e32 v115, v122, v1
	;; [unrolled: 1-line block ×7, first 2 shown]
	v_mov_b32_e32 v15, 0
	v_dot4c_i32_i8_e32 v15, v177, v0
	v_mad_u64_u32 v[122:123], s[18:19], v115, v192, v[172:173]
	v_cvt_f32_i32_e32 v121, v122
	v_cvt_f32_i32_e32 v123, v119
	v_cvt_f32_i32_e32 v122, v117
	v_dot4c_i32_i8_e32 v15, v178, v1
	v_dot4c_i32_i8_e32 v15, v179, v2
	;; [unrolled: 1-line block ×3, first 2 shown]
	v_pk_mul_f32 v[122:123], v[10:11], v[122:123] op_sel_hi:[0,1]
	v_mov_b32_e32 v10, 0
	v_dot4c_i32_i8_e32 v10, v190, v4
	v_pk_fma_f32 v[120:121], v[8:9], v[120:121], v[122:123] op_sel_hi:[0,1,1] neg_lo:[0,0,1] neg_hi:[0,0,1]
	v_mov_b32_e32 v8, 0
	v_dot4c_i32_i8_e32 v10, v190, v5
	v_dot4c_i32_i8_e32 v8, v188, v4
	;; [unrolled: 1-line block ×10, first 2 shown]
	v_pk_fma_f32 v[22:23], v[112:113], v[120:121], v[22:23]
	v_mul_lo_u32 v8, v8, v204
	v_dot4c_i32_i8_e32 v10, v201, v3
	v_mad_u64_u32 v[120:121], s[18:19], v15, v205, v[8:9]
	v_cvt_f32_i32_e32 v119, v120
	s_nop 0
	v_cvt_f32_i32_e32 v121, v10
	v_cvt_f32_i32_e32 v120, v217
	v_mov_b32_e32 v10, 0
	v_dot4c_i32_i8_e32 v10, v203, v4
	v_mov_b32_e32 v8, 0
	v_pk_mul_f32 v[14:15], v[14:15], v[120:121] op_sel_hi:[0,1]
	v_dot4c_i32_i8_e32 v10, v203, v5
	v_pk_fma_f32 v[14:15], v[12:13], v[118:119], v[14:15] op_sel_hi:[0,1,1] neg_lo:[0,0,1] neg_hi:[0,0,1]
	v_dot4c_i32_i8_e32 v8, v200, v4
	v_dot4c_i32_i8_e32 v10, v203, v6
	v_mov_b32_e32 v12, 0
	v_dot4c_i32_i8_e32 v8, v197, v5
	v_dot4c_i32_i8_e32 v10, v203, v7
	v_dot4c_i32_i8_e32 v12, v193, v0
	v_dot4c_i32_i8_e32 v8, v198, v6
	v_dot4c_i32_i8_e32 v10, v211, v0
	v_dot4c_i32_i8_e32 v12, v194, v1
	v_dot4c_i32_i8_e32 v8, v199, v7
	v_dot4c_i32_i8_e32 v10, v211, v1
	v_dot4c_i32_i8_e32 v12, v195, v2
	v_dot4c_i32_i8_e32 v10, v211, v2
	v_mul_lo_u32 v8, v8, v213
	v_dot4c_i32_i8_e32 v12, v196, v3
	v_pk_fma_f32 v[20:21], v[112:113], v[14:15], v[20:21]
	v_dot4c_i32_i8_e32 v10, v211, v3
	v_add_u32_e32 v13, 4, v13
	v_mad_u64_u32 v[14:15], s[18:19], v12, v214, v[8:9]
	s_nop 0
	v_cvt_f32_i32_e32 v15, v10
	v_mov_b32_e32 v10, 0
	v_mov_b32_e32 v8, 0
	v_dot4c_i32_i8_e32 v10, v212, v4
	v_dot4c_i32_i8_e32 v8, v210, v4
	;; [unrolled: 1-line block ×5, first 2 shown]
	v_mov_b32_e32 v5, 0
	v_dot4c_i32_i8_e32 v10, v212, v7
	v_dot4c_i32_i8_e32 v5, v181, v0
	;; [unrolled: 1-line block ×9, first 2 shown]
	v_mul_lo_u32 v4, v8, v215
	v_dot4c_i32_i8_e32 v5, v184, v3
	v_dot4c_i32_i8_e32 v10, v202, v3
	v_cvt_f32_i32_e32 v117, v14
	v_cvt_f32_i32_e32 v14, v218
	v_mad_u64_u32 v[0:1], s[18:19], v5, v206, v[4:5]
	v_cvt_f32_i32_e32 v115, v0
	v_cvt_f32_i32_e32 v1, v10
	;; [unrolled: 1-line block ×3, first 2 shown]
	v_pk_mul_f32 v[14:15], v[110:111], v[14:15] op_sel_hi:[0,1]
	v_pk_fma_f32 v[14:15], v[108:109], v[116:117], v[14:15] op_sel_hi:[0,1,1] neg_lo:[0,0,1] neg_hi:[0,0,1]
	v_pk_fma_f32 v[18:19], v[112:113], v[14:15], v[18:19]
	v_pk_mul_f32 v[0:1], v[106:107], v[0:1] op_sel_hi:[0,1]
	v_pk_fma_f32 v[0:1], v[104:105], v[114:115], v[0:1] op_sel_hi:[0,1,1] neg_lo:[0,0,1] neg_hi:[0,0,1]
	v_pk_fma_f32 v[16:17], v[112:113], v[0:1], v[16:17]
	v_add_u32_e32 v11, 32, v11
	s_cbranch_scc1 .LBB147_7
; %bb.8:                                ;   in Loop: Header=BB147_6 Depth=1
	v_add_u32_e32 v8, s9, v143
	v_add_u32_e32 v0, v8, v99
	;; [unrolled: 1-line block ×9, first 2 shown]
	v_mad_i64_i32 v[112:113], s[16:17], v8, 36, v[100:101]
	v_add_u32_e32 v8, 4, v9
	v_mad_i64_i32 v[0:1], s[16:17], v0, 36, v[100:101]
	v_mad_i64_i32 v[2:3], s[16:17], v2, 36, v[100:101]
	;; [unrolled: 1-line block ×4, first 2 shown]
	v_mad_u64_u32 v[114:115], s[16:17], v8, 36, s[2:3]
	s_barrier
	v_mad_i64_i32 v[10:11], s[16:17], v10, 36, v[100:101]
	v_mad_i64_i32 v[12:13], s[16:17], v12, 36, v[100:101]
	;; [unrolled: 1-line block ×3, first 2 shown]
	global_load_dword v8, v[114:115], off
	s_nop 0
	global_load_dword v0, v[0:1], off offset:4
	s_nop 0
	global_load_dword v1, v[2:3], off offset:4
	;; [unrolled: 2-line block ×3, first 2 shown]
	global_load_dword v3, v[6:7], off offset:4
	s_nop 0
	global_load_dword v4, v[10:11], off offset:4
	global_load_dword v5, v[12:13], off offset:4
	;; [unrolled: 1-line block ×4, first 2 shown]
	s_mov_b32 s15, 8
	s_mov_b32 s16, 0
	v_mov_b32_e32 v11, v160
	v_mov_b32_e32 v13, v159
	s_waitcnt vmcnt(8)
	v_cvt_f32_f16_e32 v8, v8
	s_waitcnt vmcnt(7)
	ds_write_b32 v105, v0
	s_waitcnt vmcnt(6)
	ds_write_b32 v109, v1
	;; [unrolled: 2-line block ×8, first 2 shown]
	ds_write_b32 v97, v8
	s_waitcnt lgkmcnt(0)
	s_barrier
.LBB147_9:                              ;   Parent Loop BB147_6 Depth=1
                                        ; =>  This Inner Loop Header: Depth=2
	s_add_i32 s17, s16, 8
	s_and_b32 s19, s17, 0x3ffffff8
	s_lshl_b32 s19, s19, 2
	v_add_u32_e32 v8, s19, v135
	ds_read2_b32 v[112:113], v13 offset1:32
	ds_read_b128 v[4:7], v11
	ds_read_b128 v[0:3], v11 offset:16
	ds_read2_b32 v[14:15], v8 offset1:1
	s_lshr_b32 s20, s17, 2
	s_and_b32 s18, s15, -16
	v_add_u32_e32 v104, s16, v148
	s_and_b32 s20, s20, 0x3ffffffc
	s_waitcnt lgkmcnt(0)
	v_ashrrev_i32_e32 v10, s16, v14
	v_and_b32_e32 v187, 0x3030303, v10
	v_ashrrev_i32_e32 v10, s16, v15
	ds_read2_b32 v[14:15], v8 offset0:2 offset1:3
	v_and_b32_e32 v184, 0x3030303, v10
	v_mov_b32_e32 v213, 0
	v_mov_b32_e32 v215, 0
	;; [unrolled: 1-line block ×3, first 2 shown]
	s_waitcnt lgkmcnt(0)
	v_ashrrev_i32_e32 v10, s16, v14
	v_and_b32_e32 v185, 0x3030303, v10
	v_ashrrev_i32_e32 v10, s16, v15
	ds_read2_b32 v[14:15], v8 offset0:4 offset1:5
	v_and_b32_e32 v186, 0x3030303, v10
	v_mov_b32_e32 v221, 0
	v_mov_b32_e32 v115, 0
	;; [unrolled: 1-line block ×3, first 2 shown]
	s_waitcnt lgkmcnt(0)
	v_ashrrev_i32_e32 v10, s16, v14
	v_and_b32_e32 v177, 0x3030303, v10
	v_ashrrev_i32_e32 v10, s16, v15
	ds_read2_b32 v[14:15], v8 offset0:6 offset1:7
	v_and_b32_e32 v178, 0x3030303, v10
	v_add_u32_e32 v10, s20, v136
	v_mov_b32_e32 v216, 0
	v_mov_b32_e32 v220, 0
	s_waitcnt lgkmcnt(0)
	v_ashrrev_i32_e32 v8, s16, v14
	v_and_b32_e32 v179, 0x3030303, v8
	v_ashrrev_i32_e32 v8, s16, v15
	v_and_b32_e32 v180, 0x3030303, v8
	v_add3_u32 v8, v158, s18, v104
	ds_read_b32 v10, v10
	ds_read_u16 v8, v8
	v_dot4c_i32_i8_e32 v115, v187, v4
	v_dot4c_i32_i8_e32 v115, v184, v5
	;; [unrolled: 1-line block ×3, first 2 shown]
	s_waitcnt lgkmcnt(1)
	v_cvt_f32_f16_sdwa v14, v10 dst_sel:DWORD dst_unused:UNUSED_PAD src0_sel:WORD_1
	s_waitcnt lgkmcnt(0)
	v_bfe_u32 v12, v8, 4, 4
	v_mul_lo_u32 v205, v12, s1
	v_and_b32_e32 v196, 15, v8
	v_lshrrev_b32_sdwa v12, v169, v8 dst_sel:DWORD dst_unused:UNUSED_PAD src0_sel:DWORD src1_sel:BYTE_1
	v_and_b32_sdwa v206, v8, v170 dst_sel:DWORD dst_unused:UNUSED_PAD src0_sel:BYTE_1 src1_sel:DWORD
	v_add_u32_e32 v8, s19, v137
	v_mul_lo_u32 v204, v12, s1
	v_mov_b32_e32 v12, 0
	ds_read2_b32 v[116:117], v8 offset1:1
	v_dot4c_i32_i8_e32 v12, v177, v0
	v_dot4c_i32_i8_e32 v12, v178, v1
	v_dot4c_i32_i8_e32 v12, v179, v2
	v_dot4c_i32_i8_e32 v12, v180, v3
	v_dot4c_i32_i8_e32 v213, v205, v4
	v_dot4c_i32_i8_e32 v213, v205, v5
	v_dot4c_i32_i8_e32 v213, v205, v6
	v_mul_lo_u32 v114, v206, v12
	v_cvt_f32_f16_e32 v12, v10
	s_waitcnt lgkmcnt(0)
	v_ashrrev_i32_e32 v10, s16, v116
	v_and_b32_e32 v201, 0x3030303, v10
	v_ashrrev_i32_e32 v10, s16, v117
	ds_read2_b32 v[116:117], v8 offset0:2 offset1:3
	v_and_b32_e32 v198, 0x3030303, v10
	v_dot4c_i32_i8_e32 v214, v201, v4
	v_dot4c_i32_i8_e32 v213, v205, v7
	;; [unrolled: 1-line block ×3, first 2 shown]
	s_waitcnt lgkmcnt(0)
	v_ashrrev_i32_e32 v10, s16, v116
	v_and_b32_e32 v199, 0x3030303, v10
	v_ashrrev_i32_e32 v10, s16, v117
	ds_read2_b32 v[116:117], v8 offset0:4 offset1:5
	v_and_b32_e32 v200, 0x3030303, v10
	v_dot4c_i32_i8_e32 v213, v204, v1
	v_dot4c_i32_i8_e32 v214, v198, v5
	;; [unrolled: 1-line block ×3, first 2 shown]
	s_waitcnt lgkmcnt(0)
	v_ashrrev_i32_e32 v10, s16, v116
	v_and_b32_e32 v191, 0x3030303, v10
	v_ashrrev_i32_e32 v10, s16, v117
	ds_read2_b32 v[116:117], v8 offset0:6 offset1:7
	v_and_b32_e32 v192, 0x3030303, v10
	v_add_u32_e32 v10, s20, v138
	v_dot4c_i32_i8_e32 v214, v199, v6
	v_dot4c_i32_i8_e32 v115, v186, v7
	s_waitcnt lgkmcnt(0)
	v_ashrrev_i32_e32 v8, s16, v116
	v_and_b32_e32 v193, 0x3030303, v8
	v_ashrrev_i32_e32 v8, s16, v117
	v_and_b32_e32 v194, 0x3030303, v8
	v_add3_u32 v8, v157, s18, v104
	ds_read_b32 v10, v10
	ds_read_u16 v8, v8
	v_dot4c_i32_i8_e32 v213, v204, v3
	v_dot4c_i32_i8_e32 v214, v200, v7
	v_mov_b32_e32 v222, 0
	s_waitcnt lgkmcnt(1)
	v_cvt_f32_f16_e32 v108, v10
	s_waitcnt lgkmcnt(0)
	v_bfe_u32 v15, v8, 4, 4
	v_mul_lo_u32 v203, v15, s1
	v_and_b32_e32 v209, 15, v8
	v_lshrrev_b32_sdwa v15, v169, v8 dst_sel:DWORD dst_unused:UNUSED_PAD src0_sel:DWORD src1_sel:BYTE_1
	v_and_b32_sdwa v212, v8, v170 dst_sel:DWORD dst_unused:UNUSED_PAD src0_sel:BYTE_1 src1_sel:DWORD
	v_add_u32_e32 v8, s19, v139
	ds_read2_b32 v[118:119], v8 offset1:1
	ds_read2_b32 v[120:121], v8 offset0:6 offset1:7
	v_cvt_f32_f16_sdwa v110, v10 dst_sel:DWORD dst_unused:UNUSED_PAD src0_sel:WORD_1
	v_mul_lo_u32 v211, v15, s1
	v_mov_b32_e32 v15, 0
	s_waitcnt lgkmcnt(1)
	v_ashrrev_i32_e32 v10, s16, v118
	v_and_b32_e32 v210, 0x3030303, v10
	v_ashrrev_i32_e32 v10, s16, v119
	ds_read2_b32 v[118:119], v8 offset0:2 offset1:3
	v_and_b32_e32 v122, 0x3030303, v10
	v_dot4c_i32_i8_e32 v15, v191, v0
	v_dot4c_i32_i8_e32 v15, v192, v1
	;; [unrolled: 1-line block ×3, first 2 shown]
	s_waitcnt lgkmcnt(0)
	v_ashrrev_i32_e32 v10, s16, v118
	v_and_b32_e32 v123, 0x3030303, v10
	v_ashrrev_i32_e32 v10, s16, v119
	ds_read2_b32 v[118:119], v8 offset0:4 offset1:5
	v_dot4c_i32_i8_e32 v15, v194, v3
	v_and_b32_e32 v171, 0x3030303, v10
	v_ashrrev_i32_e32 v8, s16, v120
	v_dot4c_i32_i8_e32 v215, v203, v4
	s_waitcnt lgkmcnt(0)
	v_ashrrev_i32_e32 v10, s16, v118
	v_mul_lo_u32 v116, v212, v15
	v_and_b32_e32 v15, 0x3030303, v10
	v_ashrrev_i32_e32 v10, s16, v119
	v_and_b32_e32 v119, 0x3030303, v8
	v_ashrrev_i32_e32 v8, s16, v121
	v_and_b32_e32 v117, 0x3030303, v10
	v_and_b32_e32 v121, 0x3030303, v8
	v_add3_u32 v8, v156, s18, v104
	v_add_u32_e32 v10, s20, v140
	ds_read_b32 v10, v10
	ds_read_u16 v8, v8
	v_add3_u32 v104, v155, s18, v104
	v_dot4c_i32_i8_e32 v215, v203, v5
	v_dot4c_i32_i8_e32 v216, v210, v4
	;; [unrolled: 1-line block ×3, first 2 shown]
	s_waitcnt lgkmcnt(0)
	v_bfe_u32 v106, v8, 4, 4
	v_mul_lo_u32 v176, v106, s1
	v_lshrrev_b32_sdwa v106, v169, v8 dst_sel:DWORD dst_unused:UNUSED_PAD src0_sel:DWORD src1_sel:BYTE_1
	v_mul_lo_u32 v195, v106, s1
	v_mov_b32_e32 v106, 0
	v_dot4c_i32_i8_e32 v106, v15, v0
	v_dot4c_i32_i8_e32 v106, v117, v1
	;; [unrolled: 1-line block ×4, first 2 shown]
	v_and_b32_sdwa v197, v8, v170 dst_sel:DWORD dst_unused:UNUSED_PAD src0_sel:BYTE_1 src1_sel:DWORD
	v_dot4c_i32_i8_e32 v217, v176, v4
	v_dot4c_i32_i8_e32 v217, v176, v5
	v_mul_lo_u32 v118, v197, v106
	v_add_u32_e32 v106, s19, v141
	ds_read2_b32 v[172:173], v106 offset1:1
	ds_read2_b32 v[174:175], v106 offset0:6 offset1:7
	v_dot4c_i32_i8_e32 v217, v176, v6
	v_dot4c_i32_i8_e32 v215, v203, v7
	;; [unrolled: 1-line block ×3, first 2 shown]
	s_waitcnt lgkmcnt(1)
	v_ashrrev_i32_e32 v120, s16, v172
	v_and_b32_e32 v189, 0x3030303, v120
	v_ashrrev_i32_e32 v120, s16, v173
	ds_read2_b32 v[172:173], v106 offset0:2 offset1:3
	v_and_b32_e32 v181, 0x3030303, v120
	v_dot4c_i32_i8_e32 v220, v189, v4
	v_dot4c_i32_i8_e32 v215, v211, v0
	;; [unrolled: 1-line block ×3, first 2 shown]
	s_waitcnt lgkmcnt(0)
	v_ashrrev_i32_e32 v120, s16, v172
	v_and_b32_e32 v182, 0x3030303, v120
	v_ashrrev_i32_e32 v120, s16, v173
	ds_read2_b32 v[172:173], v106 offset0:4 offset1:5
	v_ashrrev_i32_e32 v106, s16, v174
	v_and_b32_e32 v174, 0x3030303, v106
	v_ashrrev_i32_e32 v106, s16, v175
	v_and_b32_e32 v175, 0x3030303, v106
	v_add_u32_e32 v106, s20, v142
	ds_read_b32 v106, v106
	ds_read_u16 v104, v104
	v_and_b32_e32 v183, 0x3030303, v120
	s_waitcnt lgkmcnt(2)
	v_ashrrev_i32_e32 v120, s16, v172
	v_and_b32_e32 v172, 0x3030303, v120
	v_ashrrev_i32_e32 v120, s16, v173
	v_and_b32_e32 v173, 0x3030303, v120
	s_waitcnt lgkmcnt(0)
	v_bfe_u32 v120, v104, 4, 4
	v_mul_lo_u32 v190, v120, s1
	v_dot4c_i32_i8_e32 v221, v190, v4
	v_dot4c_i32_i8_e32 v221, v190, v5
	v_lshrrev_b32_sdwa v4, v169, v104 dst_sel:DWORD dst_unused:UNUSED_PAD src0_sel:DWORD src1_sel:BYTE_1
	v_dot4c_i32_i8_e32 v221, v190, v6
	v_mul_lo_u32 v207, v4, s1
	v_mov_b32_e32 v4, 0
	v_dot4c_i32_i8_e32 v221, v190, v7
	v_dot4c_i32_i8_e32 v4, v172, v0
	;; [unrolled: 1-line block ×16, first 2 shown]
	v_and_b32_sdwa v208, v104, v170 dst_sel:DWORD dst_unused:UNUSED_PAD src0_sel:BYTE_1 src1_sel:DWORD
	v_dot4c_i32_i8_e32 v215, v211, v3
	v_dot4c_i32_i8_e32 v216, v171, v7
	;; [unrolled: 1-line block ×5, first 2 shown]
	v_mul_lo_u32 v120, v208, v4
	ds_read_b128 v[4:7], v11 offset:1024
	ds_read_b128 v[0:3], v11 offset:1040
	v_mov_b32_e32 v218, 0
	v_mov_b32_e32 v219, 0
	v_mad_u64_u32 v[114:115], s[18:19], v196, v115, v[114:115]
	s_waitcnt lgkmcnt(1)
	v_dot4c_i32_i8_e32 v222, v205, v4
	v_dot4c_i32_i8_e32 v222, v205, v5
	;; [unrolled: 1-line block ×6, first 2 shown]
	s_waitcnt lgkmcnt(0)
	v_dot4c_i32_i8_e32 v219, v177, v0
	v_dot4c_i32_i8_e32 v218, v185, v6
	;; [unrolled: 1-line block ×8, first 2 shown]
	v_mul_lo_u32 v218, v218, v196
	v_dot4c_i32_i8_e32 v219, v180, v3
	v_dot4c_i32_i8_e32 v222, v204, v3
	v_cvt_f32_i32_e32 v115, v114
	v_cvt_f32_i32_e32 v215, v215
	v_mad_u64_u32 v[218:219], s[18:19], v219, v206, v[218:219]
	v_cvt_f32_i32_e32 v114, v218
	v_cvt_f32_i32_e32 v219, v213
	;; [unrolled: 1-line block ×3, first 2 shown]
	v_mov_b32_e32 v213, 0
	v_dot4c_i32_i8_e32 v213, v203, v4
	v_dot4c_i32_i8_e32 v213, v203, v5
	v_pk_mul_f32 v[218:219], v[14:15], v[218:219] op_sel_hi:[0,1]
	v_pk_fma_f32 v[218:219], v[12:13], v[114:115], v[218:219] op_sel_hi:[0,1,1] neg_lo:[0,0,1] neg_hi:[0,0,1]
	v_mov_b32_e32 v115, v112
	v_mov_b32_e32 v112, 0
	v_dot4c_i32_i8_e32 v213, v203, v6
	v_mov_b32_e32 v114, v113
	v_dot4c_i32_i8_e32 v112, v201, v4
	v_dot4c_i32_i8_e32 v213, v203, v7
	v_mov_b32_e32 v113, 0
	v_dot4c_i32_i8_e32 v112, v198, v5
	v_dot4c_i32_i8_e32 v113, v191, v0
	;; [unrolled: 1-line block ×10, first 2 shown]
	v_mul_lo_u32 v112, v112, v209
	v_dot4c_i32_i8_e32 v213, v211, v3
	v_pk_fma_f32 v[82:83], v[114:115], v[218:219], v[82:83]
	v_mad_u64_u32 v[112:113], s[18:19], v113, v212, v[112:113]
	v_mad_u64_u32 v[218:219], s[18:19], v209, v214, v[116:117]
	v_cvt_f32_i32_e32 v214, v213
	v_cvt_f32_i32_e32 v113, v218
	;; [unrolled: 1-line block ×3, first 2 shown]
	v_mov_b32_e32 v116, 0
	v_pk_mul_f32 v[214:215], v[110:111], v[214:215] op_sel_hi:[0,1]
	v_dot4c_i32_i8_e32 v116, v176, v4
	v_pk_fma_f32 v[112:113], v[108:109], v[112:113], v[214:215] op_sel_hi:[0,1,1] neg_lo:[0,0,1] neg_hi:[0,0,1]
	v_pk_fma_f32 v[94:95], v[114:115], v[112:113], v[94:95]
	v_mov_b32_e32 v112, 0
	v_dot4c_i32_i8_e32 v116, v176, v5
	v_dot4c_i32_i8_e32 v112, v210, v4
	;; [unrolled: 1-line block ×3, first 2 shown]
	v_mov_b32_e32 v113, 0
	v_dot4c_i32_i8_e32 v112, v122, v5
	v_dot4c_i32_i8_e32 v116, v176, v7
	;; [unrolled: 1-line block ×6, first 2 shown]
	v_and_b32_e32 v188, 15, v8
	v_dot4c_i32_i8_e32 v112, v171, v7
	v_dot4c_i32_i8_e32 v116, v195, v1
	;; [unrolled: 1-line block ×4, first 2 shown]
	v_mul_lo_u32 v112, v112, v188
	v_dot4c_i32_i8_e32 v113, v121, v3
	v_dot4c_i32_i8_e32 v116, v195, v3
	v_mad_u64_u32 v[214:215], s[18:19], v188, v216, v[118:119]
	s_nop 0
	v_mad_u64_u32 v[112:113], s[18:19], v113, v197, v[112:113]
	v_cvt_f32_f16_e32 v8, v10
	v_cvt_f32_f16_sdwa v10, v10 dst_sel:DWORD dst_unused:UNUSED_PAD src0_sel:WORD_1
	v_cvt_f32_i32_e32 v113, v214
	v_cvt_f32_i32_e32 v215, v217
	;; [unrolled: 1-line block ×4, first 2 shown]
	v_and_b32_e32 v202, 15, v104
	v_cvt_f32_f16_e32 v104, v106
	v_pk_mul_f32 v[214:215], v[10:11], v[214:215] op_sel_hi:[0,1]
	v_pk_fma_f32 v[112:113], v[8:9], v[112:113], v[214:215] op_sel_hi:[0,1,1] neg_lo:[0,0,1] neg_hi:[0,0,1]
	v_pk_fma_f32 v[84:85], v[114:115], v[112:113], v[84:85]
	v_mov_b32_e32 v113, 0
	v_mov_b32_e32 v112, 0
	v_dot4c_i32_i8_e32 v113, v190, v4
	v_dot4c_i32_i8_e32 v112, v189, v4
	;; [unrolled: 1-line block ×5, first 2 shown]
	v_mov_b32_e32 v5, 0
	v_dot4c_i32_i8_e32 v113, v190, v7
	v_dot4c_i32_i8_e32 v5, v172, v0
	;; [unrolled: 1-line block ×9, first 2 shown]
	v_mul_lo_u32 v4, v112, v202
	v_dot4c_i32_i8_e32 v5, v175, v3
	v_dot4c_i32_i8_e32 v113, v207, v3
	v_mad_u64_u32 v[2:3], s[18:19], v202, v220, v[120:121]
	s_nop 0
	v_mad_u64_u32 v[0:1], s[18:19], v5, v208, v[4:5]
	v_cvt_f32_f16_sdwa v106, v106 dst_sel:DWORD dst_unused:UNUSED_PAD src0_sel:WORD_1
	v_cvt_f32_i32_e32 v1, v2
	v_cvt_f32_i32_e32 v3, v221
	;; [unrolled: 1-line block ×4, first 2 shown]
	v_mov_b32_e32 v213, 0
	v_mov_b32_e32 v219, 0
	v_pk_mul_f32 v[2:3], v[106:107], v[2:3] op_sel_hi:[0,1]
	v_pk_fma_f32 v[0:1], v[104:105], v[0:1], v[2:3] op_sel_hi:[0,1,1] neg_lo:[0,0,1] neg_hi:[0,0,1]
	v_pk_fma_f32 v[76:77], v[114:115], v[0:1], v[76:77]
	ds_read2_b32 v[112:113], v13 offset0:64 offset1:96
	ds_read_b128 v[0:3], v11 offset:2048
	ds_read_b128 v[4:7], v11 offset:2064
	v_mov_b32_e32 v114, 0
	v_mov_b32_e32 v221, 0
	v_mov_b32_e32 v223, 0
	s_waitcnt lgkmcnt(1)
	v_dot4c_i32_i8_e32 v213, v205, v0
	s_waitcnt lgkmcnt(0)
	v_dot4c_i32_i8_e32 v114, v177, v4
	v_dot4c_i32_i8_e32 v114, v178, v5
	;; [unrolled: 1-line block ×7, first 2 shown]
	v_mul_lo_u32 v120, v114, v206
	v_mov_b32_e32 v114, 0
	v_dot4c_i32_i8_e32 v114, v191, v4
	v_dot4c_i32_i8_e32 v114, v192, v5
	;; [unrolled: 1-line block ×3, first 2 shown]
	v_mov_b32_e32 v115, 0
	v_dot4c_i32_i8_e32 v213, v205, v1
	v_mov_b32_e32 v218, 0
	v_dot4c_i32_i8_e32 v219, v203, v1
	v_dot4c_i32_i8_e32 v114, v194, v7
	v_mov_b32_e32 v220, 0
	v_dot4c_i32_i8_e32 v221, v176, v1
	v_mov_b32_e32 v222, 0
	v_dot4c_i32_i8_e32 v223, v190, v1
	v_dot4c_i32_i8_e32 v115, v187, v0
	v_dot4c_i32_i8_e32 v213, v205, v2
	v_dot4c_i32_i8_e32 v218, v201, v0
	v_dot4c_i32_i8_e32 v219, v203, v2
	v_mul_lo_u32 v118, v114, v212
	v_dot4c_i32_i8_e32 v220, v210, v0
	v_dot4c_i32_i8_e32 v221, v176, v2
	v_mov_b32_e32 v114, 0
	v_dot4c_i32_i8_e32 v222, v189, v0
	v_dot4c_i32_i8_e32 v223, v190, v2
	v_mov_b32_e32 v0, 0
	v_dot4c_i32_i8_e32 v213, v205, v3
	v_dot4c_i32_i8_e32 v219, v203, v3
	;; [unrolled: 1-line block ×38, first 2 shown]
	v_mul_lo_u32 v116, v114, v197
	v_dot4c_i32_i8_e32 v222, v183, v3
	v_dot4c_i32_i8_e32 v223, v207, v7
	v_mul_lo_u32 v114, v0, v208
	ds_read_b128 v[4:7], v11 offset:3072
	ds_read_b128 v[0:3], v11 offset:3088
	v_mov_b32_e32 v224, 0
	v_mov_b32_e32 v214, 0
	;; [unrolled: 1-line block ×3, first 2 shown]
	s_waitcnt lgkmcnt(1)
	v_dot4c_i32_i8_e32 v224, v205, v4
	v_dot4c_i32_i8_e32 v214, v187, v4
	;; [unrolled: 1-line block ×5, first 2 shown]
	s_waitcnt lgkmcnt(0)
	v_dot4c_i32_i8_e32 v215, v177, v0
	v_dot4c_i32_i8_e32 v214, v185, v6
	;; [unrolled: 1-line block ×4, first 2 shown]
	v_mad_u64_u32 v[216:217], s[18:19], v115, v196, v[120:121]
	v_mov_b32_e32 v115, 0
	v_dot4c_i32_i8_e32 v214, v186, v7
	v_dot4c_i32_i8_e32 v224, v204, v0
	;; [unrolled: 1-line block ×4, first 2 shown]
	v_mul_lo_u32 v214, v214, v196
	v_dot4c_i32_i8_e32 v224, v204, v1
	v_dot4c_i32_i8_e32 v215, v180, v3
	;; [unrolled: 1-line block ×5, first 2 shown]
	v_mad_u64_u32 v[214:215], s[18:19], v215, v206, v[214:215]
	v_dot4c_i32_i8_e32 v224, v204, v3
	v_cvt_f32_i32_e32 v215, v214
	v_cvt_f32_i32_e32 v214, v216
	;; [unrolled: 1-line block ×3, first 2 shown]
	v_mov_b32_e32 v213, 0
	v_dot4c_i32_i8_e32 v115, v200, v7
	v_cvt_f32_i32_e32 v217, v224
	v_dot4c_i32_i8_e32 v213, v203, v4
	v_dot4c_i32_i8_e32 v213, v203, v5
	v_mul_lo_u32 v120, v115, v209
	v_mov_b32_e32 v115, 0
	v_dot4c_i32_i8_e32 v115, v191, v0
	v_dot4c_i32_i8_e32 v213, v203, v6
	;; [unrolled: 1-line block ×5, first 2 shown]
	v_pk_mul_f32 v[216:217], v[14:15], v[216:217] op_sel_hi:[0,1]
	v_dot4c_i32_i8_e32 v213, v211, v0
	v_dot4c_i32_i8_e32 v115, v194, v3
	v_pk_fma_f32 v[214:215], v[12:13], v[214:215], v[216:217] op_sel_hi:[0,1,1] neg_lo:[0,0,1] neg_hi:[0,0,1]
	v_dot4c_i32_i8_e32 v213, v211, v1
	v_dot4c_i32_i8_e32 v213, v211, v2
	v_mad_u64_u32 v[216:217], s[18:19], v115, v212, v[120:121]
	v_mov_b32_e32 v115, 0
	v_dot4c_i32_i8_e32 v115, v210, v4
	v_pk_fma_f32 v[38:39], v[112:113], v[214:215], v[38:39]
	v_dot4c_i32_i8_e32 v213, v211, v3
	v_mad_u64_u32 v[214:215], s[18:19], v218, v209, v[118:119]
	v_dot4c_i32_i8_e32 v115, v122, v5
	v_cvt_f32_i32_e32 v215, v216
	v_cvt_f32_i32_e32 v217, v213
	;; [unrolled: 1-line block ×3, first 2 shown]
	v_dot4c_i32_i8_e32 v115, v123, v6
	v_cvt_f32_i32_e32 v214, v214
	v_dot4c_i32_i8_e32 v115, v171, v7
	v_pk_mul_f32 v[216:217], v[110:111], v[216:217] op_sel_hi:[0,1]
	v_mov_b32_e32 v120, 0
	v_pk_fma_f32 v[214:215], v[108:109], v[214:215], v[216:217] op_sel_hi:[0,1,1] neg_lo:[0,0,1] neg_hi:[0,0,1]
	v_mul_lo_u32 v118, v115, v188
	v_mov_b32_e32 v115, 0
	v_dot4c_i32_i8_e32 v115, v15, v0
	v_dot4c_i32_i8_e32 v115, v117, v1
	;; [unrolled: 1-line block ×3, first 2 shown]
	v_pk_fma_f32 v[36:37], v[112:113], v[214:215], v[36:37]
	v_dot4c_i32_i8_e32 v115, v121, v3
	v_mad_u64_u32 v[214:215], s[18:19], v220, v188, v[116:117]
	v_mov_b32_e32 v116, 0
	v_dot4c_i32_i8_e32 v120, v176, v4
	v_mad_u64_u32 v[216:217], s[18:19], v115, v197, v[118:119]
	v_mov_b32_e32 v115, 0
	v_dot4c_i32_i8_e32 v116, v190, v4
	v_dot4c_i32_i8_e32 v120, v176, v5
	;; [unrolled: 1-line block ×7, first 2 shown]
	v_mov_b32_e32 v5, 0
	v_dot4c_i32_i8_e32 v120, v176, v7
	v_dot4c_i32_i8_e32 v116, v190, v7
	;; [unrolled: 1-line block ×12, first 2 shown]
	v_mul_lo_u32 v4, v115, v202
	v_dot4c_i32_i8_e32 v116, v207, v2
	v_dot4c_i32_i8_e32 v5, v175, v3
	;; [unrolled: 1-line block ×4, first 2 shown]
	v_mad_u64_u32 v[0:1], s[18:19], v222, v202, v[114:115]
	v_mad_u64_u32 v[2:3], s[18:19], v5, v208, v[4:5]
	v_cvt_f32_i32_e32 v215, v216
	v_cvt_f32_i32_e32 v217, v120
	;; [unrolled: 1-line block ×8, first 2 shown]
	v_pk_mul_f32 v[216:217], v[10:11], v[216:217] op_sel_hi:[0,1]
	v_pk_mul_f32 v[2:3], v[106:107], v[2:3] op_sel_hi:[0,1]
	v_pk_fma_f32 v[214:215], v[8:9], v[214:215], v[216:217] op_sel_hi:[0,1,1] neg_lo:[0,0,1] neg_hi:[0,0,1]
	v_pk_fma_f32 v[0:1], v[104:105], v[0:1], v[2:3] op_sel_hi:[0,1,1] neg_lo:[0,0,1] neg_hi:[0,0,1]
	v_pk_fma_f32 v[34:35], v[112:113], v[214:215], v[34:35]
	v_pk_fma_f32 v[32:33], v[112:113], v[0:1], v[32:33]
	ds_read2_b32 v[112:113], v13 offset0:128 offset1:160
	ds_read_b128 v[0:3], v11 offset:4096
	ds_read_b128 v[4:7], v11 offset:4112
	v_mov_b32_e32 v114, 0
	v_mov_b32_e32 v213, 0
	;; [unrolled: 1-line block ×4, first 2 shown]
	s_waitcnt lgkmcnt(0)
	v_dot4c_i32_i8_e32 v114, v177, v4
	v_dot4c_i32_i8_e32 v114, v178, v5
	;; [unrolled: 1-line block ×4, first 2 shown]
	v_mov_b32_e32 v223, 0
	v_dot4c_i32_i8_e32 v213, v205, v0
	v_dot4c_i32_i8_e32 v219, v203, v0
	v_mul_lo_u32 v120, v114, v206
	v_mov_b32_e32 v114, 0
	v_dot4c_i32_i8_e32 v114, v191, v4
	v_dot4c_i32_i8_e32 v114, v192, v5
	;; [unrolled: 1-line block ×5, first 2 shown]
	v_mov_b32_e32 v115, 0
	v_dot4c_i32_i8_e32 v213, v205, v1
	v_mov_b32_e32 v218, 0
	v_dot4c_i32_i8_e32 v219, v203, v1
	v_dot4c_i32_i8_e32 v114, v194, v7
	v_mov_b32_e32 v220, 0
	v_dot4c_i32_i8_e32 v221, v176, v1
	v_mov_b32_e32 v222, 0
	v_dot4c_i32_i8_e32 v223, v190, v1
	v_dot4c_i32_i8_e32 v115, v187, v0
	;; [unrolled: 1-line block ×5, first 2 shown]
	v_mul_lo_u32 v118, v114, v212
	v_dot4c_i32_i8_e32 v220, v210, v0
	v_dot4c_i32_i8_e32 v221, v176, v2
	v_mov_b32_e32 v114, 0
	v_dot4c_i32_i8_e32 v222, v189, v0
	v_dot4c_i32_i8_e32 v223, v190, v2
	v_mov_b32_e32 v0, 0
	v_dot4c_i32_i8_e32 v213, v205, v3
	v_dot4c_i32_i8_e32 v219, v203, v3
	;; [unrolled: 1-line block ×38, first 2 shown]
	v_mul_lo_u32 v116, v114, v197
	v_dot4c_i32_i8_e32 v222, v183, v3
	v_dot4c_i32_i8_e32 v223, v207, v7
	v_mul_lo_u32 v114, v0, v208
	ds_read_b128 v[4:7], v11 offset:5120
	ds_read_b128 v[0:3], v11 offset:5136
	v_mov_b32_e32 v224, 0
	v_mov_b32_e32 v214, 0
	;; [unrolled: 1-line block ×3, first 2 shown]
	s_waitcnt lgkmcnt(1)
	v_dot4c_i32_i8_e32 v224, v205, v4
	v_dot4c_i32_i8_e32 v214, v187, v4
	;; [unrolled: 1-line block ×5, first 2 shown]
	s_waitcnt lgkmcnt(0)
	v_dot4c_i32_i8_e32 v215, v177, v0
	v_dot4c_i32_i8_e32 v214, v185, v6
	;; [unrolled: 1-line block ×4, first 2 shown]
	v_mad_u64_u32 v[216:217], s[18:19], v115, v196, v[120:121]
	v_mov_b32_e32 v115, 0
	v_dot4c_i32_i8_e32 v214, v186, v7
	v_dot4c_i32_i8_e32 v224, v204, v0
	;; [unrolled: 1-line block ×4, first 2 shown]
	v_mul_lo_u32 v214, v214, v196
	v_dot4c_i32_i8_e32 v224, v204, v1
	v_dot4c_i32_i8_e32 v215, v180, v3
	;; [unrolled: 1-line block ×5, first 2 shown]
	v_mad_u64_u32 v[214:215], s[18:19], v215, v206, v[214:215]
	v_dot4c_i32_i8_e32 v224, v204, v3
	v_cvt_f32_i32_e32 v215, v214
	v_cvt_f32_i32_e32 v214, v216
	;; [unrolled: 1-line block ×3, first 2 shown]
	v_mov_b32_e32 v213, 0
	v_dot4c_i32_i8_e32 v115, v200, v7
	v_cvt_f32_i32_e32 v217, v224
	v_dot4c_i32_i8_e32 v213, v203, v4
	v_dot4c_i32_i8_e32 v213, v203, v5
	v_mul_lo_u32 v120, v115, v209
	v_mov_b32_e32 v115, 0
	v_dot4c_i32_i8_e32 v115, v191, v0
	v_dot4c_i32_i8_e32 v213, v203, v6
	;; [unrolled: 1-line block ×5, first 2 shown]
	v_pk_mul_f32 v[216:217], v[14:15], v[216:217] op_sel_hi:[0,1]
	v_dot4c_i32_i8_e32 v213, v211, v0
	v_dot4c_i32_i8_e32 v115, v194, v3
	v_pk_fma_f32 v[214:215], v[12:13], v[214:215], v[216:217] op_sel_hi:[0,1,1] neg_lo:[0,0,1] neg_hi:[0,0,1]
	v_dot4c_i32_i8_e32 v213, v211, v1
	v_dot4c_i32_i8_e32 v213, v211, v2
	v_mad_u64_u32 v[216:217], s[18:19], v115, v212, v[120:121]
	v_mov_b32_e32 v115, 0
	v_dot4c_i32_i8_e32 v115, v210, v4
	v_pk_fma_f32 v[30:31], v[112:113], v[214:215], v[30:31]
	v_dot4c_i32_i8_e32 v213, v211, v3
	v_mad_u64_u32 v[214:215], s[18:19], v218, v209, v[118:119]
	v_dot4c_i32_i8_e32 v115, v122, v5
	v_cvt_f32_i32_e32 v215, v216
	v_cvt_f32_i32_e32 v217, v213
	v_cvt_f32_i32_e32 v216, v219
	v_dot4c_i32_i8_e32 v115, v123, v6
	v_cvt_f32_i32_e32 v214, v214
	v_dot4c_i32_i8_e32 v115, v171, v7
	v_pk_mul_f32 v[216:217], v[110:111], v[216:217] op_sel_hi:[0,1]
	v_mov_b32_e32 v120, 0
	v_pk_fma_f32 v[214:215], v[108:109], v[214:215], v[216:217] op_sel_hi:[0,1,1] neg_lo:[0,0,1] neg_hi:[0,0,1]
	v_mul_lo_u32 v118, v115, v188
	v_mov_b32_e32 v115, 0
	v_dot4c_i32_i8_e32 v115, v15, v0
	v_dot4c_i32_i8_e32 v115, v117, v1
	;; [unrolled: 1-line block ×3, first 2 shown]
	v_pk_fma_f32 v[28:29], v[112:113], v[214:215], v[28:29]
	v_dot4c_i32_i8_e32 v115, v121, v3
	v_mad_u64_u32 v[214:215], s[18:19], v220, v188, v[116:117]
	v_mov_b32_e32 v116, 0
	v_dot4c_i32_i8_e32 v120, v176, v4
	v_mad_u64_u32 v[216:217], s[18:19], v115, v197, v[118:119]
	v_mov_b32_e32 v115, 0
	v_dot4c_i32_i8_e32 v116, v190, v4
	v_dot4c_i32_i8_e32 v120, v176, v5
	;; [unrolled: 1-line block ×7, first 2 shown]
	v_mov_b32_e32 v5, 0
	v_dot4c_i32_i8_e32 v120, v176, v7
	v_dot4c_i32_i8_e32 v116, v190, v7
	;; [unrolled: 1-line block ×12, first 2 shown]
	v_mul_lo_u32 v4, v115, v202
	v_dot4c_i32_i8_e32 v116, v207, v2
	v_dot4c_i32_i8_e32 v5, v175, v3
	;; [unrolled: 1-line block ×4, first 2 shown]
	v_mad_u64_u32 v[0:1], s[18:19], v222, v202, v[114:115]
	v_mad_u64_u32 v[2:3], s[18:19], v5, v208, v[4:5]
	v_cvt_f32_i32_e32 v215, v216
	v_cvt_f32_i32_e32 v217, v120
	;; [unrolled: 1-line block ×8, first 2 shown]
	v_pk_mul_f32 v[216:217], v[10:11], v[216:217] op_sel_hi:[0,1]
	v_pk_mul_f32 v[2:3], v[106:107], v[2:3] op_sel_hi:[0,1]
	v_pk_fma_f32 v[214:215], v[8:9], v[214:215], v[216:217] op_sel_hi:[0,1,1] neg_lo:[0,0,1] neg_hi:[0,0,1]
	v_pk_fma_f32 v[0:1], v[104:105], v[0:1], v[2:3] op_sel_hi:[0,1,1] neg_lo:[0,0,1] neg_hi:[0,0,1]
	v_pk_fma_f32 v[26:27], v[112:113], v[214:215], v[26:27]
	v_pk_fma_f32 v[24:25], v[112:113], v[0:1], v[24:25]
	ds_read2_b32 v[112:113], v13 offset0:192 offset1:224
	ds_read_b128 v[0:3], v11 offset:6144
	ds_read_b128 v[4:7], v11 offset:6160
	v_mov_b32_e32 v114, 0
	v_mov_b32_e32 v217, 0
	;; [unrolled: 1-line block ×4, first 2 shown]
	s_waitcnt lgkmcnt(0)
	v_dot4c_i32_i8_e32 v114, v177, v4
	v_dot4c_i32_i8_e32 v114, v178, v5
	;; [unrolled: 1-line block ×4, first 2 shown]
	v_mov_b32_e32 v115, 0
	v_dot4c_i32_i8_e32 v217, v205, v0
	v_dot4c_i32_i8_e32 v219, v203, v0
	v_mul_lo_u32 v120, v114, v206
	v_mov_b32_e32 v114, 0
	v_dot4c_i32_i8_e32 v114, v191, v4
	v_dot4c_i32_i8_e32 v114, v192, v5
	;; [unrolled: 1-line block ×5, first 2 shown]
	v_mov_b32_e32 v216, 0
	v_dot4c_i32_i8_e32 v217, v205, v1
	v_mov_b32_e32 v218, 0
	v_dot4c_i32_i8_e32 v219, v203, v1
	v_dot4c_i32_i8_e32 v114, v194, v7
	v_mov_b32_e32 v215, 0
	v_dot4c_i32_i8_e32 v214, v176, v1
	v_mov_b32_e32 v213, 0
	v_dot4c_i32_i8_e32 v115, v190, v1
	v_dot4c_i32_i8_e32 v216, v187, v0
	;; [unrolled: 1-line block ×5, first 2 shown]
	v_mul_lo_u32 v118, v114, v212
	v_dot4c_i32_i8_e32 v215, v210, v0
	v_dot4c_i32_i8_e32 v214, v176, v2
	v_mov_b32_e32 v114, 0
	v_dot4c_i32_i8_e32 v213, v189, v0
	v_dot4c_i32_i8_e32 v115, v190, v2
	v_mov_b32_e32 v0, 0
	v_dot4c_i32_i8_e32 v217, v205, v3
	v_dot4c_i32_i8_e32 v219, v203, v3
	;; [unrolled: 1-line block ×38, first 2 shown]
	v_mul_lo_u32 v116, v114, v197
	v_dot4c_i32_i8_e32 v213, v183, v3
	v_dot4c_i32_i8_e32 v115, v207, v7
	v_mul_lo_u32 v114, v0, v208
	ds_read_b128 v[4:7], v11 offset:7168
	ds_read_b128 v[0:3], v11 offset:7184
	v_mov_b32_e32 v220, 0
	s_add_i32 s15, s15, 2
	s_add_i32 s16, s16, 2
	s_waitcnt lgkmcnt(1)
	v_dot4c_i32_i8_e32 v220, v187, v4
	v_mov_b32_e32 v187, 0
	v_dot4c_i32_i8_e32 v187, v205, v4
	v_dot4c_i32_i8_e32 v220, v184, v5
	;; [unrolled: 1-line block ×5, first 2 shown]
	v_mov_b32_e32 v185, 0
	v_dot4c_i32_i8_e32 v187, v205, v7
	s_waitcnt lgkmcnt(0)
	v_dot4c_i32_i8_e32 v185, v177, v0
	v_dot4c_i32_i8_e32 v187, v204, v0
	;; [unrolled: 1-line block ×7, first 2 shown]
	v_mul_lo_u32 v184, v220, v196
	v_dot4c_i32_i8_e32 v185, v180, v3
	v_dot4c_i32_i8_e32 v187, v204, v3
	v_mad_u64_u32 v[178:179], s[18:19], v216, v196, v[120:121]
	s_nop 0
	v_mad_u64_u32 v[184:185], s[18:19], v185, v206, v[184:185]
	v_cvt_f32_i32_e32 v179, v184
	v_cvt_f32_i32_e32 v185, v187
	;; [unrolled: 1-line block ×4, first 2 shown]
	v_mov_b32_e32 v120, 0
	v_dot4c_i32_i8_e32 v120, v191, v0
	v_pk_mul_f32 v[184:185], v[14:15], v[184:185] op_sel_hi:[0,1]
	v_mov_b32_e32 v14, 0
	v_dot4c_i32_i8_e32 v14, v203, v4
	v_pk_fma_f32 v[178:179], v[12:13], v[178:179], v[184:185] op_sel_hi:[0,1,1] neg_lo:[0,0,1] neg_hi:[0,0,1]
	v_mov_b32_e32 v12, 0
	v_dot4c_i32_i8_e32 v14, v203, v5
	v_dot4c_i32_i8_e32 v12, v201, v4
	;; [unrolled: 1-line block ×12, first 2 shown]
	v_mul_lo_u32 v12, v12, v209
	v_dot4c_i32_i8_e32 v120, v194, v3
	v_pk_fma_f32 v[22:23], v[112:113], v[178:179], v[22:23]
	v_dot4c_i32_i8_e32 v14, v211, v3
	v_mad_u64_u32 v[178:179], s[18:19], v218, v209, v[118:119]
	v_mad_u64_u32 v[184:185], s[18:19], v120, v212, v[12:13]
	v_cvt_f32_i32_e32 v179, v184
	v_cvt_f32_i32_e32 v185, v14
	;; [unrolled: 1-line block ×4, first 2 shown]
	v_mov_b32_e32 v12, 0
	v_dot4c_i32_i8_e32 v12, v210, v4
	v_pk_mul_f32 v[184:185], v[110:111], v[184:185] op_sel_hi:[0,1]
	v_pk_fma_f32 v[178:179], v[108:109], v[178:179], v[184:185] op_sel_hi:[0,1,1] neg_lo:[0,0,1] neg_hi:[0,0,1]
	v_mov_b32_e32 v108, 0
	v_dot4c_i32_i8_e32 v108, v176, v4
	v_dot4c_i32_i8_e32 v108, v176, v5
	;; [unrolled: 1-line block ×3, first 2 shown]
	v_mov_b32_e32 v110, 0
	v_dot4c_i32_i8_e32 v12, v122, v5
	v_dot4c_i32_i8_e32 v108, v176, v7
	;; [unrolled: 1-line block ×10, first 2 shown]
	v_mul_lo_u32 v12, v12, v188
	v_dot4c_i32_i8_e32 v110, v121, v3
	v_dot4c_i32_i8_e32 v108, v195, v3
	v_mad_u64_u32 v[14:15], s[18:19], v215, v188, v[116:117]
	s_nop 0
	v_mad_u64_u32 v[116:117], s[18:19], v110, v197, v[12:13]
	v_cvt_f32_i32_e32 v15, v116
	v_cvt_f32_i32_e32 v117, v108
	;; [unrolled: 1-line block ×4, first 2 shown]
	v_pk_fma_f32 v[20:21], v[112:113], v[178:179], v[20:21]
	v_add_u32_e32 v13, 4, v13
	v_pk_mul_f32 v[116:117], v[10:11], v[116:117] op_sel_hi:[0,1]
	v_mov_b32_e32 v10, 0
	v_pk_fma_f32 v[14:15], v[8:9], v[14:15], v[116:117] op_sel_hi:[0,1,1] neg_lo:[0,0,1] neg_hi:[0,0,1]
	v_mov_b32_e32 v8, 0
	v_dot4c_i32_i8_e32 v10, v190, v4
	v_dot4c_i32_i8_e32 v8, v189, v4
	v_dot4c_i32_i8_e32 v10, v190, v5
	v_dot4c_i32_i8_e32 v8, v181, v5
	v_dot4c_i32_i8_e32 v10, v190, v6
	v_mov_b32_e32 v5, 0
	v_dot4c_i32_i8_e32 v10, v190, v7
	v_dot4c_i32_i8_e32 v5, v172, v0
	;; [unrolled: 1-line block ×9, first 2 shown]
	v_mul_lo_u32 v4, v8, v202
	v_dot4c_i32_i8_e32 v5, v175, v3
	v_dot4c_i32_i8_e32 v10, v207, v3
	v_mad_u64_u32 v[0:1], s[18:19], v213, v202, v[114:115]
	s_nop 0
	v_mad_u64_u32 v[2:3], s[18:19], v5, v208, v[4:5]
	v_cvt_f32_i32_e32 v1, v2
	v_cvt_f32_i32_e32 v3, v10
	;; [unrolled: 1-line block ×4, first 2 shown]
	v_pk_fma_f32 v[18:19], v[112:113], v[14:15], v[18:19]
	v_add_u32_e32 v11, 32, v11
	v_pk_mul_f32 v[2:3], v[106:107], v[2:3] op_sel_hi:[0,1]
	v_pk_fma_f32 v[0:1], v[104:105], v[0:1], v[2:3] op_sel_hi:[0,1,1] neg_lo:[0,0,1] neg_hi:[0,0,1]
	v_pk_fma_f32 v[16:17], v[112:113], v[0:1], v[16:17]
	s_cmp_lt_u32 s17, 14
	s_cbranch_scc1 .LBB147_9
; %bb.10:                               ;   in Loop: Header=BB147_6 Depth=1
	s_or_b32 s15, s0, 1
	s_cmp_ge_i32 s15, s4
	s_barrier
	s_cbranch_scc1 .LBB147_5
; %bb.11:                               ;   in Loop: Header=BB147_6 Depth=1
	v_add_u32_e32 v8, s9, v144
	v_add_u32_e32 v0, v8, v99
	;; [unrolled: 1-line block ×9, first 2 shown]
	v_mad_i64_i32 v[112:113], s[16:17], v8, 36, v[100:101]
	v_add_u32_e32 v8, 8, v9
	v_mad_i64_i32 v[0:1], s[16:17], v0, 36, v[100:101]
	v_mad_i64_i32 v[2:3], s[16:17], v2, 36, v[100:101]
	;; [unrolled: 1-line block ×4, first 2 shown]
	v_mad_u64_u32 v[114:115], s[16:17], v8, 36, s[2:3]
	v_mad_i64_i32 v[10:11], s[16:17], v10, 36, v[100:101]
	v_mad_i64_i32 v[12:13], s[16:17], v12, 36, v[100:101]
	;; [unrolled: 1-line block ×3, first 2 shown]
	global_load_dword v8, v[114:115], off
	s_nop 0
	global_load_dword v0, v[0:1], off offset:4
	s_nop 0
	global_load_dword v1, v[2:3], off offset:4
	;; [unrolled: 2-line block ×3, first 2 shown]
	global_load_dword v3, v[6:7], off offset:4
	s_nop 0
	global_load_dword v4, v[10:11], off offset:4
	global_load_dword v5, v[12:13], off offset:4
	;; [unrolled: 1-line block ×4, first 2 shown]
	s_mov_b32 s15, 16
	s_mov_b32 s17, 14
	v_mov_b32_e32 v11, v160
	v_mov_b32_e32 v13, v159
	s_waitcnt vmcnt(8)
	v_cvt_f32_f16_e32 v8, v8
	s_waitcnt vmcnt(7)
	ds_write_b32 v105, v0
	s_waitcnt vmcnt(6)
	ds_write_b32 v109, v1
	;; [unrolled: 2-line block ×8, first 2 shown]
	ds_write_b32 v97, v8
	s_waitcnt lgkmcnt(0)
	s_barrier
.LBB147_12:                             ;   Parent Loop BB147_6 Depth=1
                                        ; =>  This Inner Loop Header: Depth=2
	s_add_i32 s16, s17, 2
	s_and_b32 s19, s16, 0x3ffffff8
	s_lshl_b32 s19, s19, 2
	v_add_u32_e32 v8, s19, v135
	ds_read2_b32 v[112:113], v13 offset1:32
	ds_read_b128 v[4:7], v11
	ds_read_b128 v[0:3], v11 offset:16
	ds_read2_b32 v[14:15], v8 offset1:1
	s_and_b32 s18, s15, -16
	v_add_u32_e32 v12, s18, v148
	s_add_i32 s18, s17, -14
	s_lshr_b32 s20, s16, 2
	s_waitcnt lgkmcnt(0)
	v_ashrrev_i32_e32 v10, s18, v14
	v_and_b32_e32 v186, 0x3030303, v10
	v_ashrrev_i32_e32 v10, s18, v15
	ds_read2_b32 v[14:15], v8 offset0:2 offset1:3
	v_and_b32_e32 v183, 0x3030303, v10
	s_and_b32 s20, s20, 0x3ffffffc
	v_mov_b32_e32 v203, 0
	v_mov_b32_e32 v205, 0
	s_waitcnt lgkmcnt(0)
	v_ashrrev_i32_e32 v10, s18, v14
	v_and_b32_e32 v184, 0x3030303, v10
	v_ashrrev_i32_e32 v10, s18, v15
	ds_read2_b32 v[14:15], v8 offset0:4 offset1:5
	v_and_b32_e32 v185, 0x3030303, v10
	v_mov_b32_e32 v213, 0
	v_mov_b32_e32 v217, 0
	;; [unrolled: 1-line block ×3, first 2 shown]
	s_waitcnt lgkmcnt(0)
	v_ashrrev_i32_e32 v10, s18, v14
	v_and_b32_e32 v179, 0x3030303, v10
	v_ashrrev_i32_e32 v10, s18, v15
	ds_read2_b32 v[14:15], v8 offset0:6 offset1:7
	v_and_b32_e32 v180, 0x3030303, v10
	v_add_u32_e32 v10, s20, v136
	v_mov_b32_e32 v204, 0
	v_mov_b32_e32 v211, 0
	s_waitcnt lgkmcnt(0)
	v_ashrrev_i32_e32 v8, s18, v14
	v_and_b32_e32 v181, 0x3030303, v8
	v_ashrrev_i32_e32 v8, s18, v15
	v_and_b32_e32 v182, 0x3030303, v8
	v_add3_u32 v8, v153, s17, v12
	ds_read_b32 v10, v10
	ds_read_u16 v114, v8 offset:25074
	v_mov_b32_e32 v216, 0
	v_dot4c_i32_i8_e32 v115, v186, v4
	v_mov_b32_e32 v208, 0
	s_waitcnt lgkmcnt(1)
	v_cvt_f32_f16_e32 v104, v10
	s_waitcnt lgkmcnt(0)
	v_bfe_u32 v8, v114, 4, 4
	v_mul_lo_u32 v192, v8, s1
	v_lshrrev_b32_sdwa v8, v169, v114 dst_sel:DWORD dst_unused:UNUSED_PAD src0_sel:DWORD src1_sel:BYTE_1
	v_mul_lo_u32 v199, v8, s1
	v_add_u32_e32 v8, s19, v137
	ds_read2_b32 v[14:15], v8 offset1:1
	v_cvt_f32_f16_sdwa v106, v10 dst_sel:DWORD dst_unused:UNUSED_PAD src0_sel:WORD_1
	v_dot4c_i32_i8_e32 v203, v192, v4
	v_dot4c_i32_i8_e32 v203, v192, v5
	;; [unrolled: 1-line block ×3, first 2 shown]
	s_waitcnt lgkmcnt(0)
	v_ashrrev_i32_e32 v10, s18, v14
	v_and_b32_e32 v196, 0x3030303, v10
	v_ashrrev_i32_e32 v10, s18, v15
	ds_read2_b32 v[14:15], v8 offset0:2 offset1:3
	v_and_b32_e32 v193, 0x3030303, v10
	v_dot4c_i32_i8_e32 v204, v196, v4
	v_dot4c_i32_i8_e32 v203, v192, v7
	v_mov_b32_e32 v214, 0
	s_waitcnt lgkmcnt(0)
	v_ashrrev_i32_e32 v10, s18, v14
	v_and_b32_e32 v194, 0x3030303, v10
	v_ashrrev_i32_e32 v10, s18, v15
	ds_read2_b32 v[14:15], v8 offset0:4 offset1:5
	v_and_b32_e32 v195, 0x3030303, v10
	v_mov_b32_e32 v215, 0
	v_mov_b32_e32 v218, 0
	v_dot4c_i32_i8_e32 v208, v179, v0
	s_waitcnt lgkmcnt(0)
	v_ashrrev_i32_e32 v10, s18, v14
	v_and_b32_e32 v188, 0x3030303, v10
	v_ashrrev_i32_e32 v10, s18, v15
	ds_read2_b32 v[14:15], v8 offset0:6 offset1:7
	v_and_b32_e32 v189, 0x3030303, v10
	v_add_u32_e32 v10, s20, v138
	v_dot4c_i32_i8_e32 v203, v199, v0
	v_dot4c_i32_i8_e32 v214, v188, v0
	s_waitcnt lgkmcnt(0)
	v_ashrrev_i32_e32 v8, s18, v14
	v_and_b32_e32 v190, 0x3030303, v8
	v_ashrrev_i32_e32 v8, s18, v15
	v_and_b32_e32 v191, 0x3030303, v8
	v_add3_u32 v8, v151, s17, v12
	ds_read_b32 v10, v10
	ds_read_u16 v202, v8 offset:26098
	v_dot4c_i32_i8_e32 v115, v183, v5
	v_dot4c_i32_i8_e32 v208, v180, v1
	;; [unrolled: 1-line block ×3, first 2 shown]
	s_waitcnt lgkmcnt(1)
	v_cvt_f32_f16_e32 v108, v10
	s_waitcnt lgkmcnt(0)
	v_bfe_u32 v8, v202, 4, 4
	v_mul_lo_u32 v198, v8, s1
	v_lshrrev_b32_sdwa v8, v169, v202 dst_sel:DWORD dst_unused:UNUSED_PAD src0_sel:DWORD src1_sel:BYTE_1
	v_mul_lo_u32 v201, v8, s1
	v_add_u32_e32 v8, s19, v139
	ds_read2_b32 v[14:15], v8 offset1:1
	ds_read2_b32 v[116:117], v8 offset0:4 offset1:5
	v_cvt_f32_f16_sdwa v110, v10 dst_sel:DWORD dst_unused:UNUSED_PAD src0_sel:WORD_1
	ds_read2_b32 v[122:123], v8 offset0:6 offset1:7
	v_dot4c_i32_i8_e32 v205, v198, v4
	s_waitcnt lgkmcnt(2)
	v_ashrrev_i32_e32 v10, s18, v14
	v_and_b32_e32 v200, 0x3030303, v10
	v_ashrrev_i32_e32 v10, s18, v15
	ds_read2_b32 v[14:15], v8 offset0:2 offset1:3
	v_and_b32_e32 v119, 0x3030303, v10
	s_waitcnt lgkmcnt(1)
	v_ashrrev_i32_e32 v8, s18, v122
	v_dot4c_i32_i8_e32 v205, v198, v5
	v_dot4c_i32_i8_e32 v205, v198, v6
	s_waitcnt lgkmcnt(0)
	v_ashrrev_i32_e32 v10, s18, v14
	v_and_b32_e32 v120, 0x3030303, v10
	v_ashrrev_i32_e32 v10, s18, v15
	v_and_b32_e32 v121, 0x3030303, v10
	;; [unrolled: 2-line block ×4, first 2 shown]
	v_and_b32_e32 v117, 0x3030303, v8
	v_ashrrev_i32_e32 v8, s18, v123
	v_add_u32_e32 v10, s20, v140
	v_add_u32_e32 v14, s19, v141
	v_and_b32_e32 v118, 0x3030303, v8
	v_add3_u32 v8, v149, s17, v12
	ds_read_b32 v10, v10
	ds_read_u16 v210, v8 offset:27122
	ds_read2_b32 v[122:123], v14 offset1:1
	ds_read2_b32 v[206:207], v14 offset0:6 offset1:7
	v_add3_u32 v12, v146, s17, v12
	v_dot4c_i32_i8_e32 v211, v200, v4
	s_waitcnt lgkmcnt(2)
	v_bfe_u32 v8, v210, 4, 4
	s_waitcnt lgkmcnt(1)
	v_ashrrev_i32_e32 v122, s18, v122
	v_and_b32_e32 v177, 0x3030303, v122
	v_ashrrev_i32_e32 v122, s18, v123
	v_and_b32_e32 v174, 0x3030303, v122
	ds_read2_b32 v[122:123], v14 offset0:2 offset1:3
	v_mul_lo_u32 v173, v8, s1
	v_dot4c_i32_i8_e32 v213, v173, v4
	v_dot4c_i32_i8_e32 v213, v173, v5
	;; [unrolled: 1-line block ×3, first 2 shown]
	s_waitcnt lgkmcnt(0)
	v_ashrrev_i32_e32 v122, s18, v122
	v_and_b32_e32 v175, 0x3030303, v122
	v_ashrrev_i32_e32 v122, s18, v123
	v_and_b32_e32 v176, 0x3030303, v122
	ds_read2_b32 v[122:123], v14 offset0:4 offset1:5
	v_ashrrev_i32_e32 v14, s18, v206
	v_and_b32_e32 v171, 0x3030303, v14
	v_ashrrev_i32_e32 v14, s18, v207
	v_and_b32_e32 v172, 0x3030303, v14
	v_add_u32_e32 v14, s20, v142
	ds_read_b32 v14, v14
	ds_read_u16 v212, v12 offset:28146
	v_lshrrev_b32_sdwa v8, v169, v210 dst_sel:DWORD dst_unused:UNUSED_PAD src0_sel:DWORD src1_sel:BYTE_1
	s_waitcnt lgkmcnt(2)
	v_ashrrev_i32_e32 v122, s18, v122
	v_dot4c_i32_i8_e32 v216, v177, v4
	v_dot4c_i32_i8_e32 v205, v198, v7
	s_waitcnt lgkmcnt(0)
	v_bfe_u32 v12, v212, 4, 4
	v_mul_lo_u32 v178, v12, s1
	v_dot4c_i32_i8_e32 v217, v178, v4
	v_dot4c_i32_i8_e32 v217, v178, v5
	;; [unrolled: 1-line block ×3, first 2 shown]
	v_lshrrev_b32_sdwa v4, v169, v212 dst_sel:DWORD dst_unused:UNUSED_PAD src0_sel:DWORD src1_sel:BYTE_1
	v_dot4c_i32_i8_e32 v213, v173, v7
	v_mul_lo_u32 v187, v8, s1
	v_and_b32_e32 v122, 0x3030303, v122
	v_ashrrev_i32_e32 v123, s18, v123
	v_dot4c_i32_i8_e32 v217, v178, v7
	v_mul_lo_u32 v197, v4, s1
	v_dot4c_i32_i8_e32 v205, v201, v0
	v_dot4c_i32_i8_e32 v215, v15, v0
	;; [unrolled: 1-line block ×3, first 2 shown]
	v_and_b32_e32 v123, 0x3030303, v123
	v_dot4c_i32_i8_e32 v218, v122, v0
	v_dot4c_i32_i8_e32 v217, v197, v0
	;; [unrolled: 1-line block ×35, first 2 shown]
	ds_read_b128 v[4:7], v11 offset:1024
	ds_read_b128 v[0:3], v11 offset:1040
	v_mov_b32_e32 v219, 0
	v_mov_b32_e32 v209, 0
	;; [unrolled: 1-line block ×3, first 2 shown]
	s_waitcnt lgkmcnt(1)
	v_dot4c_i32_i8_e32 v219, v192, v4
	v_dot4c_i32_i8_e32 v219, v192, v5
	;; [unrolled: 1-line block ×6, first 2 shown]
	s_waitcnt lgkmcnt(0)
	v_dot4c_i32_i8_e32 v220, v179, v0
	v_dot4c_i32_i8_e32 v209, v184, v6
	;; [unrolled: 1-line block ×7, first 2 shown]
	v_and_b32_e32 v207, 15, v114
	v_and_b32_sdwa v206, v114, v170 dst_sel:DWORD dst_unused:UNUSED_PAD src0_sel:BYTE_1 src1_sel:DWORD
	v_dot4c_i32_i8_e32 v219, v199, v2
	v_dot4c_i32_i8_e32 v220, v182, v3
	v_mul_lo_u32 v114, v206, v208
	v_mul_lo_u32 v208, v207, v209
                                        ; kill: def $vgpr209 killed $sgpr0 killed $exec
	v_dot4c_i32_i8_e32 v219, v199, v3
	v_mad_u64_u32 v[208:209], s[18:19], v206, v220, v[208:209]
	v_mad_u64_u32 v[114:115], s[18:19], v207, v115, v[114:115]
	v_cvt_f32_i32_e32 v115, v114
	v_cvt_f32_i32_e32 v114, v208
	;; [unrolled: 1-line block ×4, first 2 shown]
	v_mov_b32_e32 v219, 0
	v_dot4c_i32_i8_e32 v219, v198, v4
	v_dot4c_i32_i8_e32 v219, v198, v5
	v_pk_mul_f32 v[208:209], v[106:107], v[208:209] op_sel_hi:[0,1]
	v_pk_fma_f32 v[208:209], v[104:105], v[114:115], v[208:209] op_sel_hi:[0,1,1] neg_lo:[0,0,1] neg_hi:[0,0,1]
	v_mov_b32_e32 v114, v113
	v_mov_b32_e32 v113, 0
	v_dot4c_i32_i8_e32 v113, v196, v4
	v_dot4c_i32_i8_e32 v219, v198, v6
	v_mov_b32_e32 v203, 0
	v_dot4c_i32_i8_e32 v113, v193, v5
	v_dot4c_i32_i8_e32 v219, v198, v7
	;; [unrolled: 1-line block ×3, first 2 shown]
	v_mov_b32_e32 v115, v112
	v_dot4c_i32_i8_e32 v113, v194, v6
	v_dot4c_i32_i8_e32 v219, v201, v0
	;; [unrolled: 1-line block ×3, first 2 shown]
	v_pk_fma_f32 v[82:83], v[114:115], v[208:209], v[82:83]
	v_dot4c_i32_i8_e32 v113, v195, v7
	v_dot4c_i32_i8_e32 v219, v201, v1
	v_dot4c_i32_i8_e32 v203, v190, v2
	v_and_b32_e32 v209, 15, v202
	v_and_b32_sdwa v208, v202, v170 dst_sel:DWORD dst_unused:UNUSED_PAD src0_sel:BYTE_1 src1_sel:DWORD
	v_dot4c_i32_i8_e32 v219, v201, v2
	v_dot4c_i32_i8_e32 v203, v191, v3
	v_mul_lo_u32 v112, v208, v214
	v_mul_lo_u32 v202, v209, v113
                                        ; kill: def $vgpr113 killed $sgpr0 killed $exec
	v_dot4c_i32_i8_e32 v219, v201, v3
	v_mad_u64_u32 v[202:203], s[18:19], v208, v203, v[202:203]
	v_mad_u64_u32 v[112:113], s[18:19], v209, v204, v[112:113]
	v_cvt_f32_i32_e32 v113, v112
	v_cvt_f32_i32_e32 v112, v202
	;; [unrolled: 1-line block ×4, first 2 shown]
	v_mov_b32_e32 v214, 0
	v_dot4c_i32_i8_e32 v214, v173, v4
	v_dot4c_i32_i8_e32 v214, v173, v5
	v_pk_mul_f32 v[202:203], v[110:111], v[202:203] op_sel_hi:[0,1]
	v_pk_fma_f32 v[112:113], v[108:109], v[112:113], v[202:203] op_sel_hi:[0,1,1] neg_lo:[0,0,1] neg_hi:[0,0,1]
	v_pk_fma_f32 v[94:95], v[114:115], v[112:113], v[94:95]
	v_mov_b32_e32 v113, 0
	v_dot4c_i32_i8_e32 v113, v200, v4
	v_dot4c_i32_i8_e32 v214, v173, v6
	v_mov_b32_e32 v203, 0
	v_dot4c_i32_i8_e32 v113, v119, v5
	v_dot4c_i32_i8_e32 v214, v173, v7
	;; [unrolled: 1-line block ×9, first 2 shown]
	v_and_b32_e32 v205, 15, v210
	v_and_b32_sdwa v204, v210, v170 dst_sel:DWORD dst_unused:UNUSED_PAD src0_sel:BYTE_1 src1_sel:DWORD
	v_dot4c_i32_i8_e32 v214, v187, v2
	v_dot4c_i32_i8_e32 v203, v118, v3
	v_mul_lo_u32 v112, v204, v215
	v_mul_lo_u32 v202, v205, v113
                                        ; kill: def $vgpr113 killed $sgpr0 killed $exec
	v_dot4c_i32_i8_e32 v214, v187, v3
	v_mad_u64_u32 v[202:203], s[18:19], v204, v203, v[202:203]
	v_mad_u64_u32 v[112:113], s[18:19], v205, v211, v[112:113]
	v_cvt_f32_f16_e32 v8, v10
	v_cvt_f32_f16_sdwa v10, v10 dst_sel:DWORD dst_unused:UNUSED_PAD src0_sel:WORD_1
	v_cvt_f32_i32_e32 v113, v112
	v_cvt_f32_i32_e32 v112, v202
	;; [unrolled: 1-line block ×4, first 2 shown]
	v_cvt_f32_f16_e32 v12, v14
	v_cvt_f32_f16_sdwa v14, v14 dst_sel:DWORD dst_unused:UNUSED_PAD src0_sel:WORD_1
	v_mov_b32_e32 v214, 0
	v_pk_mul_f32 v[202:203], v[10:11], v[202:203] op_sel_hi:[0,1]
	v_pk_fma_f32 v[112:113], v[8:9], v[112:113], v[202:203] op_sel_hi:[0,1,1] neg_lo:[0,0,1] neg_hi:[0,0,1]
	v_pk_fma_f32 v[84:85], v[114:115], v[112:113], v[84:85]
	v_mov_b32_e32 v113, 0
	v_dot4c_i32_i8_e32 v113, v178, v4
	v_mov_b32_e32 v112, 0
	v_dot4c_i32_i8_e32 v113, v178, v5
	v_dot4c_i32_i8_e32 v112, v177, v4
	;; [unrolled: 1-line block ×3, first 2 shown]
	v_mov_b32_e32 v4, 0
	v_dot4c_i32_i8_e32 v112, v174, v5
	v_dot4c_i32_i8_e32 v113, v178, v7
	;; [unrolled: 1-line block ×9, first 2 shown]
	v_and_b32_e32 v203, 15, v212
	v_and_b32_sdwa v202, v212, v170 dst_sel:DWORD dst_unused:UNUSED_PAD src0_sel:BYTE_1 src1_sel:DWORD
	v_dot4c_i32_i8_e32 v113, v197, v2
	v_dot4c_i32_i8_e32 v4, v172, v3
	v_mul_lo_u32 v0, v202, v218
	v_mul_lo_u32 v2, v203, v112
                                        ; kill: def $vgpr1 killed $sgpr0 killed $exec
	v_dot4c_i32_i8_e32 v113, v197, v3
	v_mad_u64_u32 v[2:3], s[18:19], v202, v4, v[2:3]
	v_mad_u64_u32 v[0:1], s[18:19], v203, v216, v[0:1]
	v_cvt_f32_i32_e32 v1, v0
	v_cvt_f32_i32_e32 v0, v2
	;; [unrolled: 1-line block ×4, first 2 shown]
	v_mov_b32_e32 v212, 0
	v_mov_b32_e32 v217, 0
	;; [unrolled: 1-line block ×3, first 2 shown]
	v_pk_mul_f32 v[2:3], v[14:15], v[2:3] op_sel_hi:[0,1]
	v_pk_fma_f32 v[0:1], v[12:13], v[0:1], v[2:3] op_sel_hi:[0,1,1] neg_lo:[0,0,1] neg_hi:[0,0,1]
	v_pk_fma_f32 v[76:77], v[114:115], v[0:1], v[76:77]
	ds_read2_b32 v[112:113], v13 offset0:64 offset1:96
	ds_read_b128 v[0:3], v11 offset:2048
	ds_read_b128 v[4:7], v11 offset:2064
	v_mov_b32_e32 v115, 0
	v_mov_b32_e32 v210, 0
	;; [unrolled: 1-line block ×3, first 2 shown]
	s_waitcnt lgkmcnt(1)
	v_dot4c_i32_i8_e32 v212, v192, v0
	v_dot4c_i32_i8_e32 v214, v198, v0
	;; [unrolled: 1-line block ×14, first 2 shown]
	v_mov_b32_e32 v215, 0
	v_mov_b32_e32 v216, 0
	v_dot4c_i32_i8_e32 v217, v173, v3
	v_mov_b32_e32 v218, 0
	v_mov_b32_e32 v219, 0
	v_dot4c_i32_i8_e32 v220, v178, v3
	v_mov_b32_e32 v221, 0
	v_dot4c_i32_i8_e32 v115, v186, v0
	s_waitcnt lgkmcnt(0)
	v_dot4c_i32_i8_e32 v210, v179, v4
	v_dot4c_i32_i8_e32 v212, v199, v4
	v_dot4c_i32_i8_e32 v213, v196, v0
	v_dot4c_i32_i8_e32 v215, v188, v4
	v_dot4c_i32_i8_e32 v214, v201, v4
	v_dot4c_i32_i8_e32 v216, v200, v0
	v_dot4c_i32_i8_e32 v218, v15, v4
	v_dot4c_i32_i8_e32 v217, v187, v4
	v_dot4c_i32_i8_e32 v219, v177, v0
	v_dot4c_i32_i8_e32 v221, v122, v4
	v_dot4c_i32_i8_e32 v220, v197, v4
	v_dot4c_i32_i8_e32 v115, v183, v1
	v_dot4c_i32_i8_e32 v210, v180, v5
	v_dot4c_i32_i8_e32 v212, v199, v5
	v_dot4c_i32_i8_e32 v213, v193, v1
	v_dot4c_i32_i8_e32 v215, v189, v5
	v_dot4c_i32_i8_e32 v214, v201, v5
	v_dot4c_i32_i8_e32 v216, v119, v1
	v_dot4c_i32_i8_e32 v218, v116, v5
	v_dot4c_i32_i8_e32 v217, v187, v5
	v_dot4c_i32_i8_e32 v219, v174, v1
	v_dot4c_i32_i8_e32 v221, v123, v5
	v_dot4c_i32_i8_e32 v220, v197, v5
	v_dot4c_i32_i8_e32 v115, v184, v2
	v_dot4c_i32_i8_e32 v210, v181, v6
	v_dot4c_i32_i8_e32 v212, v199, v6
	v_dot4c_i32_i8_e32 v213, v194, v2
	v_dot4c_i32_i8_e32 v215, v190, v6
	v_dot4c_i32_i8_e32 v214, v201, v6
	v_dot4c_i32_i8_e32 v216, v120, v2
	v_dot4c_i32_i8_e32 v218, v117, v6
	v_dot4c_i32_i8_e32 v217, v187, v6
	v_dot4c_i32_i8_e32 v219, v175, v2
	v_dot4c_i32_i8_e32 v221, v171, v6
	v_dot4c_i32_i8_e32 v220, v197, v6
	v_dot4c_i32_i8_e32 v115, v185, v3
	v_dot4c_i32_i8_e32 v210, v182, v7
	v_dot4c_i32_i8_e32 v212, v199, v7
	v_dot4c_i32_i8_e32 v213, v195, v3
	v_dot4c_i32_i8_e32 v215, v191, v7
	v_dot4c_i32_i8_e32 v214, v201, v7
	v_dot4c_i32_i8_e32 v216, v121, v3
	v_dot4c_i32_i8_e32 v218, v118, v7
	v_dot4c_i32_i8_e32 v217, v187, v7
	v_dot4c_i32_i8_e32 v219, v176, v3
	v_dot4c_i32_i8_e32 v221, v172, v7
	v_dot4c_i32_i8_e32 v220, v197, v7
	ds_read_b128 v[4:7], v11 offset:3072
	ds_read_b128 v[0:3], v11 offset:3088
	v_mov_b32_e32 v222, 0
	v_mov_b32_e32 v114, 0
	;; [unrolled: 1-line block ×3, first 2 shown]
	s_waitcnt lgkmcnt(1)
	v_dot4c_i32_i8_e32 v222, v192, v4
	v_dot4c_i32_i8_e32 v222, v192, v5
	;; [unrolled: 1-line block ×6, first 2 shown]
	s_waitcnt lgkmcnt(0)
	v_dot4c_i32_i8_e32 v223, v179, v0
	v_dot4c_i32_i8_e32 v114, v184, v6
	;; [unrolled: 1-line block ×7, first 2 shown]
	v_mul_lo_u32 v210, v210, v206
                                        ; kill: def $vgpr211 killed $sgpr0 killed $exec
	v_dot4c_i32_i8_e32 v222, v199, v2
	v_dot4c_i32_i8_e32 v223, v182, v3
	v_mul_lo_u32 v114, v114, v207
	v_mad_u64_u32 v[210:211], s[18:19], v115, v207, v[210:211]
                                        ; kill: def $vgpr115 killed $sgpr0 killed $exec
	v_dot4c_i32_i8_e32 v222, v199, v3
	v_mad_u64_u32 v[114:115], s[18:19], v223, v206, v[114:115]
	v_cvt_f32_i32_e32 v115, v114
	v_cvt_f32_i32_e32 v114, v210
	;; [unrolled: 1-line block ×4, first 2 shown]
	v_mov_b32_e32 v212, 0
	v_dot4c_i32_i8_e32 v212, v198, v4
	v_dot4c_i32_i8_e32 v212, v198, v5
	v_pk_mul_f32 v[210:211], v[106:107], v[210:211] op_sel_hi:[0,1]
	v_pk_fma_f32 v[114:115], v[104:105], v[114:115], v[210:211] op_sel_hi:[0,1,1] neg_lo:[0,0,1] neg_hi:[0,0,1]
	v_pk_fma_f32 v[38:39], v[112:113], v[114:115], v[38:39]
	v_mov_b32_e32 v114, 0
	v_dot4c_i32_i8_e32 v114, v196, v4
	v_dot4c_i32_i8_e32 v212, v198, v6
	v_mov_b32_e32 v115, 0
	v_dot4c_i32_i8_e32 v114, v193, v5
	v_dot4c_i32_i8_e32 v212, v198, v7
	;; [unrolled: 1-line block ×11, first 2 shown]
	v_mul_lo_u32 v114, v114, v209
	v_mul_lo_u32 v210, v215, v208
                                        ; kill: def $vgpr211 killed $sgpr0 killed $exec
	v_dot4c_i32_i8_e32 v212, v201, v3
	v_mad_u64_u32 v[210:211], s[18:19], v213, v209, v[210:211]
	v_mad_u64_u32 v[114:115], s[18:19], v115, v208, v[114:115]
	v_cvt_f32_i32_e32 v115, v114
	v_cvt_f32_i32_e32 v114, v210
	;; [unrolled: 1-line block ×4, first 2 shown]
	v_mov_b32_e32 v212, 0
	v_dot4c_i32_i8_e32 v212, v173, v4
	v_dot4c_i32_i8_e32 v212, v173, v5
	v_pk_mul_f32 v[210:211], v[110:111], v[210:211] op_sel_hi:[0,1]
	v_pk_fma_f32 v[114:115], v[108:109], v[114:115], v[210:211] op_sel_hi:[0,1,1] neg_lo:[0,0,1] neg_hi:[0,0,1]
	v_pk_fma_f32 v[36:37], v[112:113], v[114:115], v[36:37]
	v_mov_b32_e32 v114, 0
	v_dot4c_i32_i8_e32 v114, v200, v4
	v_dot4c_i32_i8_e32 v212, v173, v6
	v_mov_b32_e32 v115, 0
	v_dot4c_i32_i8_e32 v114, v119, v5
	v_dot4c_i32_i8_e32 v212, v173, v7
	;; [unrolled: 1-line block ×11, first 2 shown]
	v_mul_lo_u32 v114, v114, v205
	v_mul_lo_u32 v210, v218, v204
                                        ; kill: def $vgpr211 killed $sgpr0 killed $exec
	v_dot4c_i32_i8_e32 v212, v187, v3
	v_mad_u64_u32 v[210:211], s[18:19], v216, v205, v[210:211]
	v_mad_u64_u32 v[114:115], s[18:19], v115, v204, v[114:115]
	v_cvt_f32_i32_e32 v115, v114
	v_cvt_f32_i32_e32 v114, v210
	;; [unrolled: 1-line block ×4, first 2 shown]
	v_mov_b32_e32 v212, 0
	v_mov_b32_e32 v214, 0
	;; [unrolled: 1-line block ×3, first 2 shown]
	v_pk_mul_f32 v[210:211], v[10:11], v[210:211] op_sel_hi:[0,1]
	v_pk_fma_f32 v[114:115], v[8:9], v[114:115], v[210:211] op_sel_hi:[0,1,1] neg_lo:[0,0,1] neg_hi:[0,0,1]
	v_pk_fma_f32 v[34:35], v[112:113], v[114:115], v[34:35]
	v_mov_b32_e32 v115, 0
	v_dot4c_i32_i8_e32 v115, v178, v4
	v_mov_b32_e32 v114, 0
	v_dot4c_i32_i8_e32 v115, v178, v5
	v_dot4c_i32_i8_e32 v114, v177, v4
	;; [unrolled: 1-line block ×3, first 2 shown]
	v_mov_b32_e32 v4, 0
	v_dot4c_i32_i8_e32 v114, v174, v5
	v_dot4c_i32_i8_e32 v115, v178, v7
	;; [unrolled: 1-line block ×11, first 2 shown]
	v_mul_lo_u32 v0, v114, v203
	v_mul_lo_u32 v2, v221, v202
                                        ; kill: def $vgpr1 killed $sgpr0 killed $exec
	v_dot4c_i32_i8_e32 v115, v197, v3
	v_mad_u64_u32 v[2:3], s[18:19], v219, v203, v[2:3]
	v_mad_u64_u32 v[0:1], s[18:19], v4, v202, v[0:1]
	v_cvt_f32_i32_e32 v1, v0
	v_cvt_f32_i32_e32 v0, v2
	;; [unrolled: 1-line block ×4, first 2 shown]
	v_mov_b32_e32 v220, 0
	v_mov_b32_e32 v115, 0
	;; [unrolled: 1-line block ×3, first 2 shown]
	v_pk_mul_f32 v[2:3], v[14:15], v[2:3] op_sel_hi:[0,1]
	v_pk_fma_f32 v[0:1], v[12:13], v[0:1], v[2:3] op_sel_hi:[0,1,1] neg_lo:[0,0,1] neg_hi:[0,0,1]
	v_pk_fma_f32 v[32:33], v[112:113], v[0:1], v[32:33]
	ds_read2_b32 v[112:113], v13 offset0:128 offset1:160
	ds_read_b128 v[0:3], v11 offset:4096
	ds_read_b128 v[4:7], v11 offset:4112
	v_mov_b32_e32 v213, 0
	v_mov_b32_e32 v215, 0
	;; [unrolled: 1-line block ×3, first 2 shown]
	s_waitcnt lgkmcnt(1)
	v_dot4c_i32_i8_e32 v212, v192, v0
	v_dot4c_i32_i8_e32 v214, v198, v0
	;; [unrolled: 1-line block ×15, first 2 shown]
	v_mov_b32_e32 v218, 0
	v_mov_b32_e32 v219, 0
	v_dot4c_i32_i8_e32 v220, v178, v3
	v_mov_b32_e32 v221, 0
	v_dot4c_i32_i8_e32 v115, v186, v0
	s_waitcnt lgkmcnt(0)
	v_dot4c_i32_i8_e32 v210, v179, v4
	v_dot4c_i32_i8_e32 v212, v199, v4
	v_dot4c_i32_i8_e32 v213, v196, v0
	v_dot4c_i32_i8_e32 v215, v188, v4
	v_dot4c_i32_i8_e32 v214, v201, v4
	v_dot4c_i32_i8_e32 v216, v200, v0
	v_dot4c_i32_i8_e32 v218, v15, v4
	v_dot4c_i32_i8_e32 v217, v187, v4
	v_dot4c_i32_i8_e32 v219, v177, v0
	v_dot4c_i32_i8_e32 v221, v122, v4
	v_dot4c_i32_i8_e32 v220, v197, v4
	v_dot4c_i32_i8_e32 v115, v183, v1
	v_dot4c_i32_i8_e32 v210, v180, v5
	v_dot4c_i32_i8_e32 v212, v199, v5
	v_dot4c_i32_i8_e32 v213, v193, v1
	v_dot4c_i32_i8_e32 v215, v189, v5
	v_dot4c_i32_i8_e32 v214, v201, v5
	v_dot4c_i32_i8_e32 v216, v119, v1
	v_dot4c_i32_i8_e32 v218, v116, v5
	v_dot4c_i32_i8_e32 v217, v187, v5
	v_dot4c_i32_i8_e32 v219, v174, v1
	v_dot4c_i32_i8_e32 v221, v123, v5
	v_dot4c_i32_i8_e32 v220, v197, v5
	v_dot4c_i32_i8_e32 v115, v184, v2
	v_dot4c_i32_i8_e32 v210, v181, v6
	v_dot4c_i32_i8_e32 v212, v199, v6
	v_dot4c_i32_i8_e32 v213, v194, v2
	v_dot4c_i32_i8_e32 v215, v190, v6
	v_dot4c_i32_i8_e32 v214, v201, v6
	v_dot4c_i32_i8_e32 v216, v120, v2
	v_dot4c_i32_i8_e32 v218, v117, v6
	v_dot4c_i32_i8_e32 v217, v187, v6
	v_dot4c_i32_i8_e32 v219, v175, v2
	v_dot4c_i32_i8_e32 v221, v171, v6
	v_dot4c_i32_i8_e32 v220, v197, v6
	v_dot4c_i32_i8_e32 v115, v185, v3
	v_dot4c_i32_i8_e32 v210, v182, v7
	v_dot4c_i32_i8_e32 v212, v199, v7
	v_dot4c_i32_i8_e32 v213, v195, v3
	v_dot4c_i32_i8_e32 v215, v191, v7
	v_dot4c_i32_i8_e32 v214, v201, v7
	v_dot4c_i32_i8_e32 v216, v121, v3
	v_dot4c_i32_i8_e32 v218, v118, v7
	v_dot4c_i32_i8_e32 v217, v187, v7
	v_dot4c_i32_i8_e32 v219, v176, v3
	v_dot4c_i32_i8_e32 v221, v172, v7
	v_dot4c_i32_i8_e32 v220, v197, v7
	ds_read_b128 v[4:7], v11 offset:5120
	ds_read_b128 v[0:3], v11 offset:5136
	v_mov_b32_e32 v222, 0
	v_mov_b32_e32 v114, 0
	;; [unrolled: 1-line block ×3, first 2 shown]
	s_waitcnt lgkmcnt(1)
	v_dot4c_i32_i8_e32 v222, v192, v4
	v_dot4c_i32_i8_e32 v222, v192, v5
	;; [unrolled: 1-line block ×6, first 2 shown]
	s_waitcnt lgkmcnt(0)
	v_dot4c_i32_i8_e32 v223, v179, v0
	v_dot4c_i32_i8_e32 v114, v184, v6
	;; [unrolled: 1-line block ×7, first 2 shown]
	v_mul_lo_u32 v210, v210, v206
                                        ; kill: def $vgpr211 killed $sgpr0 killed $exec
	v_dot4c_i32_i8_e32 v222, v199, v2
	v_dot4c_i32_i8_e32 v223, v182, v3
	v_mul_lo_u32 v114, v114, v207
	v_mad_u64_u32 v[210:211], s[18:19], v115, v207, v[210:211]
                                        ; kill: def $vgpr115 killed $sgpr0 killed $exec
	v_dot4c_i32_i8_e32 v222, v199, v3
	v_mad_u64_u32 v[114:115], s[18:19], v223, v206, v[114:115]
	v_cvt_f32_i32_e32 v115, v114
	v_cvt_f32_i32_e32 v114, v210
	v_cvt_f32_i32_e32 v211, v222
	v_cvt_f32_i32_e32 v210, v212
	v_mov_b32_e32 v212, 0
	v_dot4c_i32_i8_e32 v212, v198, v4
	v_dot4c_i32_i8_e32 v212, v198, v5
	v_pk_mul_f32 v[210:211], v[106:107], v[210:211] op_sel_hi:[0,1]
	v_pk_fma_f32 v[114:115], v[104:105], v[114:115], v[210:211] op_sel_hi:[0,1,1] neg_lo:[0,0,1] neg_hi:[0,0,1]
	v_pk_fma_f32 v[30:31], v[112:113], v[114:115], v[30:31]
	v_mov_b32_e32 v114, 0
	v_dot4c_i32_i8_e32 v114, v196, v4
	v_dot4c_i32_i8_e32 v212, v198, v6
	v_mov_b32_e32 v115, 0
	v_dot4c_i32_i8_e32 v114, v193, v5
	v_dot4c_i32_i8_e32 v212, v198, v7
	;; [unrolled: 1-line block ×11, first 2 shown]
	v_mul_lo_u32 v114, v114, v209
	v_mul_lo_u32 v210, v215, v208
                                        ; kill: def $vgpr211 killed $sgpr0 killed $exec
	v_dot4c_i32_i8_e32 v212, v201, v3
	v_mad_u64_u32 v[210:211], s[18:19], v213, v209, v[210:211]
	v_mad_u64_u32 v[114:115], s[18:19], v115, v208, v[114:115]
	v_cvt_f32_i32_e32 v115, v114
	v_cvt_f32_i32_e32 v114, v210
	;; [unrolled: 1-line block ×4, first 2 shown]
	v_mov_b32_e32 v212, 0
	v_dot4c_i32_i8_e32 v212, v173, v4
	v_dot4c_i32_i8_e32 v212, v173, v5
	v_pk_mul_f32 v[210:211], v[110:111], v[210:211] op_sel_hi:[0,1]
	v_pk_fma_f32 v[114:115], v[108:109], v[114:115], v[210:211] op_sel_hi:[0,1,1] neg_lo:[0,0,1] neg_hi:[0,0,1]
	v_pk_fma_f32 v[28:29], v[112:113], v[114:115], v[28:29]
	v_mov_b32_e32 v114, 0
	v_dot4c_i32_i8_e32 v114, v200, v4
	v_dot4c_i32_i8_e32 v212, v173, v6
	v_mov_b32_e32 v115, 0
	v_dot4c_i32_i8_e32 v114, v119, v5
	v_dot4c_i32_i8_e32 v212, v173, v7
	;; [unrolled: 1-line block ×11, first 2 shown]
	v_mul_lo_u32 v114, v114, v205
	v_mul_lo_u32 v210, v218, v204
                                        ; kill: def $vgpr211 killed $sgpr0 killed $exec
	v_dot4c_i32_i8_e32 v212, v187, v3
	v_mad_u64_u32 v[210:211], s[18:19], v216, v205, v[210:211]
	v_mad_u64_u32 v[114:115], s[18:19], v115, v204, v[114:115]
	v_cvt_f32_i32_e32 v115, v114
	v_cvt_f32_i32_e32 v114, v210
	;; [unrolled: 1-line block ×4, first 2 shown]
	v_mov_b32_e32 v214, 0
	v_mov_b32_e32 v217, 0
	;; [unrolled: 1-line block ×3, first 2 shown]
	v_pk_mul_f32 v[210:211], v[10:11], v[210:211] op_sel_hi:[0,1]
	v_pk_fma_f32 v[114:115], v[8:9], v[114:115], v[210:211] op_sel_hi:[0,1,1] neg_lo:[0,0,1] neg_hi:[0,0,1]
	v_pk_fma_f32 v[26:27], v[112:113], v[114:115], v[26:27]
	v_mov_b32_e32 v115, 0
	v_dot4c_i32_i8_e32 v115, v178, v4
	v_mov_b32_e32 v114, 0
	v_dot4c_i32_i8_e32 v115, v178, v5
	v_dot4c_i32_i8_e32 v114, v177, v4
	;; [unrolled: 1-line block ×3, first 2 shown]
	v_mov_b32_e32 v4, 0
	v_dot4c_i32_i8_e32 v114, v174, v5
	v_dot4c_i32_i8_e32 v115, v178, v7
	;; [unrolled: 1-line block ×11, first 2 shown]
	v_mul_lo_u32 v0, v114, v203
	v_mul_lo_u32 v2, v221, v202
                                        ; kill: def $vgpr1 killed $sgpr0 killed $exec
	v_dot4c_i32_i8_e32 v115, v197, v3
	v_mad_u64_u32 v[2:3], s[18:19], v219, v203, v[2:3]
	v_mad_u64_u32 v[0:1], s[18:19], v4, v202, v[0:1]
	v_cvt_f32_i32_e32 v1, v0
	v_cvt_f32_i32_e32 v0, v2
	;; [unrolled: 1-line block ×4, first 2 shown]
	v_mov_b32_e32 v210, 0
	v_mov_b32_e32 v114, 0
	;; [unrolled: 1-line block ×3, first 2 shown]
	v_pk_mul_f32 v[2:3], v[14:15], v[2:3] op_sel_hi:[0,1]
	v_pk_fma_f32 v[0:1], v[12:13], v[0:1], v[2:3] op_sel_hi:[0,1,1] neg_lo:[0,0,1] neg_hi:[0,0,1]
	v_pk_fma_f32 v[24:25], v[112:113], v[0:1], v[24:25]
	ds_read2_b32 v[112:113], v13 offset0:192 offset1:224
	ds_read_b128 v[0:3], v11 offset:6144
	ds_read_b128 v[4:7], v11 offset:6160
	v_mov_b32_e32 v216, 0
	v_mov_b32_e32 v218, 0
	;; [unrolled: 1-line block ×3, first 2 shown]
	s_waitcnt lgkmcnt(1)
	v_dot4c_i32_i8_e32 v214, v192, v0
	v_dot4c_i32_i8_e32 v217, v198, v0
	;; [unrolled: 1-line block ×15, first 2 shown]
	v_mov_b32_e32 v219, 0
	v_mov_b32_e32 v115, 0
	v_dot4c_i32_i8_e32 v114, v178, v3
	v_mov_b32_e32 v211, 0
	v_dot4c_i32_i8_e32 v213, v186, v0
	s_waitcnt lgkmcnt(0)
	v_dot4c_i32_i8_e32 v215, v179, v4
	v_dot4c_i32_i8_e32 v214, v199, v4
	;; [unrolled: 1-line block ×47, first 2 shown]
	ds_read_b128 v[4:7], v11 offset:7168
	ds_read_b128 v[0:3], v11 offset:7184
	v_mov_b32_e32 v220, 0
	s_add_i32 s15, s15, 2
	s_cmp_lt_u32 s16, 22
	s_waitcnt lgkmcnt(1)
	v_dot4c_i32_i8_e32 v220, v186, v4
	v_mov_b32_e32 v186, 0
	v_dot4c_i32_i8_e32 v186, v192, v4
	v_dot4c_i32_i8_e32 v220, v183, v5
	;; [unrolled: 1-line block ×5, first 2 shown]
	v_mov_b32_e32 v184, 0
	v_dot4c_i32_i8_e32 v186, v192, v7
	s_waitcnt lgkmcnt(0)
	v_dot4c_i32_i8_e32 v184, v179, v0
	v_dot4c_i32_i8_e32 v186, v199, v0
	;; [unrolled: 1-line block ×8, first 2 shown]
	v_mul_lo_u32 v180, v220, v207
	v_mul_lo_u32 v182, v215, v206
	v_dot4c_i32_i8_e32 v186, v199, v3
	v_mad_u64_u32 v[182:183], s[18:19], v213, v207, v[182:183]
	v_mad_u64_u32 v[180:181], s[18:19], v184, v206, v[180:181]
	v_cvt_f32_i32_e32 v181, v180
	v_cvt_f32_i32_e32 v180, v182
	;; [unrolled: 1-line block ×4, first 2 shown]
	v_mov_b32_e32 v179, 0
	v_dot4c_i32_i8_e32 v179, v198, v4
	v_dot4c_i32_i8_e32 v179, v198, v5
	v_pk_mul_f32 v[182:183], v[106:107], v[182:183] op_sel_hi:[0,1]
	v_pk_fma_f32 v[180:181], v[104:105], v[180:181], v[182:183] op_sel_hi:[0,1,1] neg_lo:[0,0,1] neg_hi:[0,0,1]
	v_mov_b32_e32 v104, 0
	v_dot4c_i32_i8_e32 v104, v196, v4
	v_dot4c_i32_i8_e32 v179, v198, v6
	v_mov_b32_e32 v182, 0
	v_dot4c_i32_i8_e32 v104, v193, v5
	v_dot4c_i32_i8_e32 v179, v198, v7
	;; [unrolled: 1-line block ×11, first 2 shown]
	v_mul_lo_u32 v104, v104, v209
	v_mul_lo_u32 v106, v218, v208
	v_pk_fma_f32 v[22:23], v[112:113], v[180:181], v[22:23]
	v_dot4c_i32_i8_e32 v179, v201, v3
	v_mad_u64_u32 v[180:181], s[18:19], v216, v209, v[106:107]
	v_mad_u64_u32 v[182:183], s[18:19], v182, v208, v[104:105]
	v_cvt_f32_i32_e32 v181, v182
	v_cvt_f32_i32_e32 v183, v179
	;; [unrolled: 1-line block ×4, first 2 shown]
	v_mov_b32_e32 v104, 0
	v_dot4c_i32_i8_e32 v104, v200, v4
	v_pk_mul_f32 v[182:183], v[110:111], v[182:183] op_sel_hi:[0,1]
	v_pk_fma_f32 v[180:181], v[108:109], v[180:181], v[182:183] op_sel_hi:[0,1,1] neg_lo:[0,0,1] neg_hi:[0,0,1]
	v_mov_b32_e32 v108, 0
	v_dot4c_i32_i8_e32 v108, v173, v4
	v_dot4c_i32_i8_e32 v108, v173, v5
	;; [unrolled: 1-line block ×3, first 2 shown]
	v_mov_b32_e32 v110, 0
	v_dot4c_i32_i8_e32 v104, v119, v5
	v_dot4c_i32_i8_e32 v108, v173, v7
	;; [unrolled: 1-line block ×11, first 2 shown]
	v_mul_lo_u32 v104, v104, v205
	v_mul_lo_u32 v106, v219, v204
	v_dot4c_i32_i8_e32 v108, v187, v3
	v_mad_u64_u32 v[116:117], s[18:19], v212, v205, v[106:107]
	v_mad_u64_u32 v[118:119], s[18:19], v110, v204, v[104:105]
	v_cvt_f32_i32_e32 v117, v118
	v_cvt_f32_i32_e32 v119, v108
	;; [unrolled: 1-line block ×4, first 2 shown]
                                        ; kill: def $vgpr15 killed $sgpr0 killed $exec
	v_pk_fma_f32 v[20:21], v[112:113], v[180:181], v[20:21]
	s_mov_b32 s17, s16
	v_pk_mul_f32 v[118:119], v[10:11], v[118:119] op_sel_hi:[0,1]
	v_mov_b32_e32 v10, 0
	v_dot4c_i32_i8_e32 v10, v178, v4
	v_pk_fma_f32 v[116:117], v[8:9], v[116:117], v[118:119] op_sel_hi:[0,1,1] neg_lo:[0,0,1] neg_hi:[0,0,1]
	v_mov_b32_e32 v8, 0
	v_dot4c_i32_i8_e32 v10, v178, v5
	v_dot4c_i32_i8_e32 v8, v177, v4
	;; [unrolled: 1-line block ×3, first 2 shown]
	v_mov_b32_e32 v4, 0
	v_dot4c_i32_i8_e32 v8, v174, v5
	v_dot4c_i32_i8_e32 v10, v178, v7
	;; [unrolled: 1-line block ×11, first 2 shown]
	v_mul_lo_u32 v0, v8, v203
	v_mul_lo_u32 v2, v211, v202
                                        ; kill: def $vgpr1 killed $sgpr0 killed $exec
	v_dot4c_i32_i8_e32 v10, v197, v3
	v_mad_u64_u32 v[2:3], s[18:19], v115, v203, v[2:3]
	v_mad_u64_u32 v[0:1], s[18:19], v4, v202, v[0:1]
	v_cvt_f32_i32_e32 v1, v0
	v_cvt_f32_i32_e32 v0, v2
	;; [unrolled: 1-line block ×4, first 2 shown]
	v_pk_fma_f32 v[18:19], v[112:113], v[116:117], v[18:19]
	v_add_u32_e32 v11, 32, v11
	v_pk_mul_f32 v[2:3], v[14:15], v[2:3] op_sel_hi:[0,1]
	v_pk_fma_f32 v[0:1], v[12:13], v[0:1], v[2:3] op_sel_hi:[0,1,1] neg_lo:[0,0,1] neg_hi:[0,0,1]
	v_pk_fma_f32 v[16:17], v[112:113], v[0:1], v[16:17]
	v_add_u32_e32 v13, 4, v13
	s_cbranch_scc1 .LBB147_12
; %bb.13:                               ;   in Loop: Header=BB147_6 Depth=1
	v_add_u32_e32 v8, s9, v145
	v_add_u32_e32 v0, v8, v99
	;; [unrolled: 1-line block ×9, first 2 shown]
	v_mad_i64_i32 v[112:113], s[16:17], v8, 36, v[100:101]
	v_add_u32_e32 v8, 12, v9
	v_mad_i64_i32 v[0:1], s[16:17], v0, 36, v[100:101]
	v_mad_i64_i32 v[2:3], s[16:17], v2, 36, v[100:101]
	;; [unrolled: 1-line block ×4, first 2 shown]
	v_mad_u64_u32 v[8:9], s[16:17], v8, 36, s[2:3]
	s_barrier
	v_mad_i64_i32 v[10:11], s[16:17], v10, 36, v[100:101]
	v_mad_i64_i32 v[12:13], s[16:17], v12, 36, v[100:101]
	;; [unrolled: 1-line block ×3, first 2 shown]
	global_load_dword v8, v[8:9], off
	s_nop 0
	global_load_dword v0, v[0:1], off offset:4
	s_nop 0
	global_load_dword v1, v[2:3], off offset:4
	;; [unrolled: 2-line block ×3, first 2 shown]
	global_load_dword v3, v[6:7], off offset:4
	s_nop 0
	global_load_dword v4, v[10:11], off offset:4
	global_load_dword v5, v[12:13], off offset:4
	;; [unrolled: 1-line block ×4, first 2 shown]
	s_mov_b32 s9, 24
	s_mov_b32 s16, 22
	v_mov_b32_e32 v113, v160
	v_mov_b32_e32 v115, v159
	s_waitcnt vmcnt(8)
	v_cvt_f32_f16_e32 v8, v8
	s_waitcnt vmcnt(7)
	ds_write_b32 v105, v0
	s_waitcnt vmcnt(6)
	ds_write_b32 v109, v1
	;; [unrolled: 2-line block ×8, first 2 shown]
	ds_write_b32 v97, v8
	s_waitcnt lgkmcnt(0)
	s_barrier
.LBB147_14:                             ;   Parent Loop BB147_6 Depth=1
                                        ; =>  This Inner Loop Header: Depth=2
	s_add_i32 s15, s16, 2
	s_and_b32 s18, s15, 0x3ffffff8
	s_lshl_b32 s18, s18, 2
	v_add_u32_e32 v10, s18, v135
	ds_read2_b32 v[120:121], v115 offset1:32
	ds_read_b128 v[4:7], v113
	ds_read_b128 v[0:3], v113 offset:16
	ds_read2_b32 v[8:9], v10 offset1:1
	s_sub_i32 s17, s16, 22
	s_and_b32 s19, s9, -16
	s_add_i32 s16, s16, s19
	s_lshr_b32 s19, s15, 2
	s_waitcnt lgkmcnt(0)
	v_ashrrev_i32_e32 v8, s17, v8
	v_and_b32_e32 v196, 0x3030303, v8
	v_ashrrev_i32_e32 v8, s17, v9
	v_and_b32_e32 v190, 0x3030303, v8
	ds_read2_b32 v[8:9], v10 offset0:2 offset1:3
	s_and_b32 s19, s19, 0x3ffffffc
	v_add_u32_e32 v122, s16, v164
	v_add_u32_e32 v204, s16, v163
	v_mov_b32_e32 v210, 0
	s_waitcnt lgkmcnt(0)
	v_ashrrev_i32_e32 v8, s17, v8
	v_and_b32_e32 v193, 0x3030303, v8
	v_ashrrev_i32_e32 v8, s17, v9
	v_and_b32_e32 v194, 0x3030303, v8
	ds_read2_b32 v[8:9], v10 offset0:4 offset1:5
	v_mov_b32_e32 v211, 0
	v_mov_b32_e32 v213, 0
	;; [unrolled: 1-line block ×4, first 2 shown]
	s_waitcnt lgkmcnt(0)
	v_ashrrev_i32_e32 v8, s17, v8
	v_and_b32_e32 v183, 0x3030303, v8
	v_ashrrev_i32_e32 v8, s17, v9
	v_and_b32_e32 v184, 0x3030303, v8
	ds_read2_b32 v[8:9], v10 offset0:6 offset1:7
	v_add_u32_e32 v10, s18, v137
	v_dot4c_i32_i8_e32 v210, v183, v0
	v_dot4c_i32_i8_e32 v123, v196, v4
	;; [unrolled: 1-line block ×3, first 2 shown]
	s_waitcnt lgkmcnt(0)
	v_ashrrev_i32_e32 v8, s17, v8
	v_and_b32_e32 v187, 0x3030303, v8
	v_ashrrev_i32_e32 v8, s17, v9
	v_and_b32_e32 v188, 0x3030303, v8
	v_add_u32_e32 v8, s19, v136
	ds_read_b32 v8, v8
	v_mov_b32_e32 v212, 0
	v_dot4c_i32_i8_e32 v123, v190, v5
	v_dot4c_i32_i8_e32 v210, v187, v2
	;; [unrolled: 1-line block ×3, first 2 shown]
	s_waitcnt lgkmcnt(0)
	v_cvt_f32_f16_e32 v112, v8
	v_cvt_f32_f16_sdwa v114, v8 dst_sel:DWORD dst_unused:UNUSED_PAD src0_sel:WORD_1
	ds_read2_b32 v[8:9], v10 offset1:1
	v_dot4c_i32_i8_e32 v210, v188, v3
	v_dot4c_i32_i8_e32 v123, v194, v7
	v_add_u32_e32 v202, s16, v162
	v_add_u32_e32 v201, s16, v161
	s_waitcnt lgkmcnt(0)
	v_ashrrev_i32_e32 v8, s17, v8
	v_and_b32_e32 v195, 0x3030303, v8
	v_ashrrev_i32_e32 v8, s17, v9
	v_and_b32_e32 v189, 0x3030303, v8
	ds_read2_b32 v[8:9], v10 offset0:2 offset1:3
	v_mov_b32_e32 v220, 0
	v_mov_b32_e32 v221, 0
	;; [unrolled: 1-line block ×4, first 2 shown]
	s_waitcnt lgkmcnt(0)
	v_ashrrev_i32_e32 v8, s17, v8
	v_and_b32_e32 v191, 0x3030303, v8
	v_ashrrev_i32_e32 v8, s17, v9
	v_and_b32_e32 v192, 0x3030303, v8
	ds_read2_b32 v[8:9], v10 offset0:4 offset1:5
	v_dot4c_i32_i8_e32 v203, v195, v4
	v_dot4c_i32_i8_e32 v203, v189, v5
	;; [unrolled: 1-line block ×4, first 2 shown]
	s_waitcnt lgkmcnt(0)
	v_ashrrev_i32_e32 v8, s17, v8
	v_and_b32_e32 v181, 0x3030303, v8
	v_ashrrev_i32_e32 v8, s17, v9
	v_and_b32_e32 v182, 0x3030303, v8
	ds_read2_b32 v[8:9], v10 offset0:6 offset1:7
	v_add_u32_e32 v10, s18, v139
	v_dot4c_i32_i8_e32 v214, v181, v0
	v_dot4c_i32_i8_e32 v214, v182, v1
	v_mov_b32_e32 v217, 0
	s_waitcnt lgkmcnt(0)
	v_ashrrev_i32_e32 v8, s17, v8
	v_and_b32_e32 v185, 0x3030303, v8
	v_ashrrev_i32_e32 v8, s17, v9
	v_and_b32_e32 v186, 0x3030303, v8
	v_add_u32_e32 v8, s19, v138
	ds_read_b32 v8, v8
	v_dot4c_i32_i8_e32 v214, v185, v2
	v_dot4c_i32_i8_e32 v214, v186, v3
	v_mov_b32_e32 v209, 0
	v_mov_b32_e32 v215, 0
	s_waitcnt lgkmcnt(0)
	v_cvt_f32_f16_e32 v116, v8
	v_cvt_f32_f16_sdwa v118, v8 dst_sel:DWORD dst_unused:UNUSED_PAD src0_sel:WORD_1
	ds_read2_b32 v[8:9], v10 offset1:1
	v_mov_b32_e32 v216, 0
	v_mov_b32_e32 v222, 0
	s_add_i32 s9, s9, 2
	s_cmp_lt_u32 s15, 30
	s_waitcnt lgkmcnt(0)
	v_ashrrev_i32_e32 v8, s17, v8
	v_and_b32_e32 v200, 0x3030303, v8
	v_ashrrev_i32_e32 v8, s17, v9
	v_and_b32_e32 v197, 0x3030303, v8
	ds_read2_b32 v[8:9], v10 offset0:2 offset1:3
	v_dot4c_i32_i8_e32 v209, v200, v4
	v_dot4c_i32_i8_e32 v209, v197, v5
	s_waitcnt lgkmcnt(0)
	v_ashrrev_i32_e32 v8, s17, v8
	v_and_b32_e32 v198, 0x3030303, v8
	v_ashrrev_i32_e32 v8, s17, v9
	v_and_b32_e32 v199, 0x3030303, v8
	ds_read2_b32 v[8:9], v10 offset0:4 offset1:5
	v_dot4c_i32_i8_e32 v209, v198, v6
	v_dot4c_i32_i8_e32 v209, v199, v7
	s_waitcnt lgkmcnt(0)
	v_ashrrev_i32_e32 v8, s17, v8
	v_and_b32_e32 v173, 0x3030303, v8
	v_ashrrev_i32_e32 v8, s17, v9
	v_and_b32_e32 v174, 0x3030303, v8
	ds_read2_b32 v[8:9], v10 offset0:6 offset1:7
	v_add_u32_e32 v10, s18, v141
	v_dot4c_i32_i8_e32 v217, v173, v0
	v_dot4c_i32_i8_e32 v217, v174, v1
	s_waitcnt lgkmcnt(0)
	v_ashrrev_i32_e32 v8, s17, v8
	v_and_b32_e32 v175, 0x3030303, v8
	v_ashrrev_i32_e32 v8, s17, v9
	v_and_b32_e32 v176, 0x3030303, v8
	v_add_u32_e32 v8, s19, v140
	ds_read_b32 v8, v8
	v_dot4c_i32_i8_e32 v217, v175, v2
	v_dot4c_i32_i8_e32 v217, v176, v3
	s_waitcnt lgkmcnt(0)
	v_cvt_f32_f16_e32 v108, v8
	v_cvt_f32_f16_sdwa v110, v8 dst_sel:DWORD dst_unused:UNUSED_PAD src0_sel:WORD_1
	ds_read2_b32 v[8:9], v10 offset1:1
	s_waitcnt lgkmcnt(0)
	v_ashrrev_i32_e32 v8, s17, v8
	v_and_b32_e32 v180, 0x3030303, v8
	v_ashrrev_i32_e32 v8, s17, v9
	v_and_b32_e32 v177, 0x3030303, v8
	ds_read2_b32 v[8:9], v10 offset0:2 offset1:3
	v_dot4c_i32_i8_e32 v215, v180, v4
	v_dot4c_i32_i8_e32 v215, v177, v5
	s_waitcnt lgkmcnt(0)
	v_ashrrev_i32_e32 v8, s17, v8
	v_and_b32_e32 v178, 0x3030303, v8
	v_ashrrev_i32_e32 v8, s17, v9
	v_and_b32_e32 v179, 0x3030303, v8
	ds_read2_b32 v[8:9], v10 offset0:4 offset1:5
	v_dot4c_i32_i8_e32 v215, v178, v6
	v_dot4c_i32_i8_e32 v215, v179, v7
	;; [unrolled: 8-line block ×3, first 2 shown]
	s_waitcnt lgkmcnt(0)
	v_ashrrev_i32_e32 v8, s17, v8
	v_and_b32_e32 v171, 0x3030303, v8
	v_ashrrev_i32_e32 v8, s17, v9
	v_and_b32_e32 v172, 0x3030303, v8
	v_add_u32_e32 v8, s19, v142
	ds_read_b32 v8, v8
	v_dot4c_i32_i8_e32 v216, v171, v2
	v_dot4c_i32_i8_e32 v216, v172, v3
	s_waitcnt lgkmcnt(0)
	v_cvt_f32_f16_e32 v104, v8
	v_cvt_f32_f16_sdwa v106, v8 dst_sel:DWORD dst_unused:UNUSED_PAD src0_sel:WORD_1
	ds_read_b128 v[12:15], v113 offset:1024
	ds_read_b128 v[8:11], v113 offset:1040
	ds_read_u16 v122, v122 offset:25074
	ds_read_u16 v204, v204 offset:26098
	s_waitcnt lgkmcnt(3)
	v_dot4c_i32_i8_e32 v211, v196, v12
	v_dot4c_i32_i8_e32 v211, v190, v13
	s_waitcnt lgkmcnt(1)
	v_bfe_u32 v205, v122, 4, 4
	v_mul_lo_u32 v208, v205, s1
	v_dot4c_i32_i8_e32 v213, v208, v4
	v_dot4c_i32_i8_e32 v218, v208, v12
	;; [unrolled: 1-line block ×7, first 2 shown]
	v_lshrrev_b32_sdwa v205, v169, v122 dst_sel:DWORD dst_unused:UNUSED_PAD src0_sel:DWORD src1_sel:BYTE_1
	v_dot4c_i32_i8_e32 v218, v208, v14
	v_dot4c_i32_i8_e32 v211, v194, v15
	;; [unrolled: 1-line block ×4, first 2 shown]
	v_mul_lo_u32 v207, v205, s1
	v_and_b32_sdwa v205, v122, v170 dst_sel:DWORD dst_unused:UNUSED_PAD src0_sel:BYTE_1 src1_sel:DWORD
	v_and_b32_e32 v206, 15, v122
	v_dot4c_i32_i8_e32 v218, v208, v15
	v_dot4c_i32_i8_e32 v212, v187, v10
	;; [unrolled: 1-line block ×3, first 2 shown]
	v_mul_lo_u32 v122, v206, v211
	v_mul_lo_u32 v210, v205, v210
	v_dot4c_i32_i8_e32 v218, v207, v8
                                        ; kill: def $vgpr211 killed $sgpr0 killed $exec
	v_dot4c_i32_i8_e32 v212, v188, v11
	v_dot4c_i32_i8_e32 v213, v207, v1
	;; [unrolled: 1-line block ×3, first 2 shown]
	v_mad_u64_u32 v[210:211], s[16:17], v206, v123, v[210:211]
                                        ; kill: def $vgpr123 killed $sgpr0 killed $exec
	v_dot4c_i32_i8_e32 v213, v207, v2
	v_dot4c_i32_i8_e32 v218, v207, v10
	v_mad_u64_u32 v[122:123], s[16:17], v205, v212, v[122:123]
	v_dot4c_i32_i8_e32 v213, v207, v3
	v_dot4c_i32_i8_e32 v218, v207, v11
	v_cvt_f32_i32_e32 v123, v122
	v_cvt_f32_i32_e32 v122, v210
	;; [unrolled: 1-line block ×4, first 2 shown]
	v_pk_mul_f32 v[122:123], v[112:113], v[122:123] op_sel_hi:[0,1]
	v_pk_fma_f32 v[210:211], v[114:115], v[210:211], v[122:123] op_sel:[0,0,1] op_sel_hi:[0,1,0] neg_lo:[1,0,0] neg_hi:[1,0,0]
	v_mov_b32_e32 v122, v121
	v_mov_b32_e32 v123, v120
	v_pk_fma_f32 v[82:83], v[122:123], v[210:211], v[82:83]
	s_waitcnt lgkmcnt(0)
	v_bfe_u32 v210, v204, 4, 4
	v_mul_lo_u32 v213, v210, s1
	v_mov_b32_e32 v120, 0
	v_dot4c_i32_i8_e32 v220, v213, v4
	v_dot4c_i32_i8_e32 v221, v213, v12
	;; [unrolled: 1-line block ×3, first 2 shown]
	v_mov_b32_e32 v121, 0
	v_dot4c_i32_i8_e32 v220, v213, v5
	v_dot4c_i32_i8_e32 v221, v213, v13
	;; [unrolled: 1-line block ×5, first 2 shown]
	v_lshrrev_b32_sdwa v210, v169, v204 dst_sel:DWORD dst_unused:UNUSED_PAD src0_sel:DWORD src1_sel:BYTE_1
	v_dot4c_i32_i8_e32 v221, v213, v14
	v_dot4c_i32_i8_e32 v120, v191, v14
	;; [unrolled: 1-line block ×4, first 2 shown]
	v_mul_lo_u32 v212, v210, s1
	v_dot4c_i32_i8_e32 v221, v213, v15
	v_dot4c_i32_i8_e32 v120, v192, v15
	;; [unrolled: 1-line block ×4, first 2 shown]
	v_and_b32_sdwa v210, v204, v170 dst_sel:DWORD dst_unused:UNUSED_PAD src0_sel:BYTE_1 src1_sel:DWORD
	v_and_b32_e32 v211, 15, v204
	v_dot4c_i32_i8_e32 v221, v212, v8
	v_dot4c_i32_i8_e32 v121, v186, v11
	;; [unrolled: 1-line block ×3, first 2 shown]
	v_mul_lo_u32 v120, v211, v120
	v_mul_lo_u32 v204, v210, v214
	v_dot4c_i32_i8_e32 v221, v212, v9
	v_dot4c_i32_i8_e32 v220, v212, v2
	;; [unrolled: 1-line block ×3, first 2 shown]
	v_mad_u64_u32 v[218:219], s[16:17], v211, v203, v[204:205]
	v_mad_u64_u32 v[120:121], s[16:17], v210, v121, v[120:121]
	ds_read_u16 v203, v202 offset:27122
	v_dot4c_i32_i8_e32 v220, v212, v3
	v_dot4c_i32_i8_e32 v221, v212, v11
	v_cvt_f32_i32_e32 v121, v120
	v_cvt_f32_i32_e32 v120, v218
	;; [unrolled: 1-line block ×4, first 2 shown]
	s_waitcnt lgkmcnt(0)
	v_bfe_u32 v202, v203, 4, 4
	v_pk_mul_f32 v[120:121], v[116:117], v[120:121] op_sel_hi:[0,1]
	v_mul_lo_u32 v214, v202, s1
	v_pk_fma_f32 v[120:121], v[118:119], v[218:219], v[120:121] op_sel:[0,0,1] op_sel_hi:[0,1,0] neg_lo:[1,0,0] neg_hi:[1,0,0]
	v_mov_b32_e32 v220, 0
	v_mov_b32_e32 v221, 0
	v_pk_fma_f32 v[94:95], v[122:123], v[120:121], v[94:95]
	v_mov_b32_e32 v120, 0
	v_dot4c_i32_i8_e32 v220, v214, v4
	v_dot4c_i32_i8_e32 v221, v214, v12
	;; [unrolled: 1-line block ×3, first 2 shown]
	v_mov_b32_e32 v121, 0
	v_dot4c_i32_i8_e32 v220, v214, v5
	v_dot4c_i32_i8_e32 v221, v214, v13
	;; [unrolled: 1-line block ×5, first 2 shown]
	v_lshrrev_b32_sdwa v202, v169, v203 dst_sel:DWORD dst_unused:UNUSED_PAD src0_sel:DWORD src1_sel:BYTE_1
	v_dot4c_i32_i8_e32 v221, v214, v14
	v_dot4c_i32_i8_e32 v120, v198, v14
	;; [unrolled: 1-line block ×4, first 2 shown]
	v_mul_lo_u32 v204, v202, s1
	v_dot4c_i32_i8_e32 v221, v214, v15
	v_dot4c_i32_i8_e32 v120, v199, v15
	;; [unrolled: 1-line block ×4, first 2 shown]
	v_and_b32_sdwa v202, v203, v170 dst_sel:DWORD dst_unused:UNUSED_PAD src0_sel:BYTE_1 src1_sel:DWORD
	v_and_b32_e32 v203, 15, v203
	v_dot4c_i32_i8_e32 v221, v204, v8
	v_dot4c_i32_i8_e32 v121, v176, v11
	;; [unrolled: 1-line block ×3, first 2 shown]
	v_mul_lo_u32 v120, v203, v120
	v_mul_lo_u32 v218, v202, v217
	v_dot4c_i32_i8_e32 v221, v204, v9
	v_dot4c_i32_i8_e32 v220, v204, v2
	;; [unrolled: 1-line block ×3, first 2 shown]
	v_mad_u64_u32 v[218:219], s[16:17], v203, v209, v[218:219]
	v_mad_u64_u32 v[120:121], s[16:17], v202, v121, v[120:121]
	v_dot4c_i32_i8_e32 v220, v204, v3
	v_dot4c_i32_i8_e32 v221, v204, v11
	v_cvt_f32_i32_e32 v121, v120
	v_cvt_f32_i32_e32 v120, v218
	;; [unrolled: 1-line block ×4, first 2 shown]
	v_mov_b32_e32 v217, 0
	v_pk_mul_f32 v[120:121], v[108:109], v[120:121] op_sel_hi:[0,1]
	v_dot4c_i32_i8_e32 v217, v180, v12
	v_pk_fma_f32 v[120:121], v[110:111], v[218:219], v[120:121] op_sel:[0,0,1] op_sel_hi:[0,1,0] neg_lo:[1,0,0] neg_hi:[1,0,0]
	v_pk_fma_f32 v[84:85], v[122:123], v[120:121], v[84:85]
	ds_read_u16 v121, v201 offset:28146
	v_mov_b32_e32 v219, 0
	v_mov_b32_e32 v218, 0
	v_dot4c_i32_i8_e32 v217, v177, v13
	v_dot4c_i32_i8_e32 v218, v117, v8
	s_waitcnt lgkmcnt(0)
	v_bfe_u32 v120, v121, 4, 4
	v_mul_lo_u32 v209, v120, s1
	v_dot4c_i32_i8_e32 v219, v209, v4
	v_lshrrev_b32_sdwa v4, v169, v121 dst_sel:DWORD dst_unused:UNUSED_PAD src0_sel:DWORD src1_sel:BYTE_1
	v_mul_lo_u32 v201, v4, s1
	v_mov_b32_e32 v4, 0
	v_dot4c_i32_i8_e32 v219, v209, v5
	v_dot4c_i32_i8_e32 v4, v209, v12
	;; [unrolled: 1-line block ×13, first 2 shown]
	v_and_b32_sdwa v120, v121, v170 dst_sel:DWORD dst_unused:UNUSED_PAD src0_sel:BYTE_1 src1_sel:DWORD
	v_and_b32_e32 v121, 15, v121
	v_dot4c_i32_i8_e32 v4, v201, v8
	v_dot4c_i32_i8_e32 v218, v172, v11
	;; [unrolled: 1-line block ×3, first 2 shown]
	v_mul_lo_u32 v0, v121, v217
	v_mul_lo_u32 v2, v120, v216
	v_dot4c_i32_i8_e32 v4, v201, v9
                                        ; kill: def $vgpr1 killed $sgpr0 killed $exec
	v_dot4c_i32_i8_e32 v219, v201, v3
	v_dot4c_i32_i8_e32 v4, v201, v10
	v_mad_u64_u32 v[2:3], s[16:17], v121, v215, v[2:3]
	v_mad_u64_u32 v[0:1], s[16:17], v120, v218, v[0:1]
	v_dot4c_i32_i8_e32 v4, v201, v11
	v_cvt_f32_i32_e32 v1, v0
	v_cvt_f32_i32_e32 v0, v2
	;; [unrolled: 1-line block ×4, first 2 shown]
	v_mov_b32_e32 v14, 0
	v_pk_mul_f32 v[0:1], v[104:105], v[0:1] op_sel_hi:[0,1]
	v_mov_b32_e32 v216, 0
	v_pk_fma_f32 v[0:1], v[106:107], v[2:3], v[0:1] op_sel:[0,0,1] op_sel_hi:[0,1,0] neg_lo:[1,0,0] neg_hi:[1,0,0]
	v_pk_fma_f32 v[76:77], v[122:123], v[0:1], v[76:77]
	ds_read2_b32 v[8:9], v115 offset0:64 offset1:96
	ds_read_b128 v[0:3], v113 offset:2048
	ds_read_b128 v[4:7], v113 offset:2064
	v_mov_b32_e32 v122, 0
	v_mov_b32_e32 v219, 0
	;; [unrolled: 1-line block ×3, first 2 shown]
	s_waitcnt lgkmcnt(1)
	v_dot4c_i32_i8_e32 v14, v208, v0
	v_dot4c_i32_i8_e32 v122, v213, v0
	;; [unrolled: 1-line block ×13, first 2 shown]
	v_mov_b32_e32 v12, 0
	v_mov_b32_e32 v15, 0
	v_dot4c_i32_i8_e32 v122, v213, v3
	v_mov_b32_e32 v123, 0
	v_mov_b32_e32 v215, 0
	v_dot4c_i32_i8_e32 v216, v214, v3
	;; [unrolled: 3-line block ×3, first 2 shown]
	v_mov_b32_e32 v220, 0
	v_dot4c_i32_i8_e32 v11, v196, v0
	s_waitcnt lgkmcnt(0)
	v_dot4c_i32_i8_e32 v12, v183, v4
	v_dot4c_i32_i8_e32 v14, v207, v4
	;; [unrolled: 1-line block ×47, first 2 shown]
	ds_read_b128 v[4:7], v113 offset:3072
	ds_read_b128 v[0:3], v113 offset:3088
	v_mov_b32_e32 v221, 0
	v_mov_b32_e32 v10, 0
	v_mul_lo_u32 v12, v12, v205
	s_waitcnt lgkmcnt(1)
	v_dot4c_i32_i8_e32 v221, v208, v4
	v_dot4c_i32_i8_e32 v221, v208, v5
	;; [unrolled: 1-line block ×6, first 2 shown]
	s_waitcnt lgkmcnt(0)
	v_dot4c_i32_i8_e32 v222, v183, v0
	v_dot4c_i32_i8_e32 v10, v193, v6
	;; [unrolled: 1-line block ×7, first 2 shown]
                                        ; kill: def $vgpr13 killed $sgpr0 killed $exec
	v_dot4c_i32_i8_e32 v221, v207, v2
	v_dot4c_i32_i8_e32 v222, v188, v3
	v_mul_lo_u32 v10, v10, v206
	v_mad_u64_u32 v[12:13], s[16:17], v11, v206, v[12:13]
                                        ; kill: def $vgpr11 killed $sgpr0 killed $exec
	v_dot4c_i32_i8_e32 v221, v207, v3
	v_mad_u64_u32 v[10:11], s[16:17], v222, v205, v[10:11]
	v_cvt_f32_i32_e32 v11, v10
	v_cvt_f32_i32_e32 v10, v12
	;; [unrolled: 1-line block ×4, first 2 shown]
	v_mov_b32_e32 v14, 0
	v_dot4c_i32_i8_e32 v14, v213, v4
	v_dot4c_i32_i8_e32 v14, v213, v5
	v_pk_mul_f32 v[12:13], v[114:115], v[12:13] op_sel_hi:[0,1]
	v_pk_fma_f32 v[10:11], v[112:113], v[10:11], v[12:13] op_sel_hi:[0,1,1] neg_lo:[0,0,1] neg_hi:[0,0,1]
	v_pk_fma_f32 v[38:39], v[8:9], v[10:11], v[38:39]
	v_mov_b32_e32 v10, 0
	v_dot4c_i32_i8_e32 v10, v195, v4
	v_dot4c_i32_i8_e32 v14, v213, v6
	v_mov_b32_e32 v11, 0
	v_dot4c_i32_i8_e32 v10, v189, v5
	v_dot4c_i32_i8_e32 v14, v213, v7
	;; [unrolled: 1-line block ×11, first 2 shown]
	v_mul_lo_u32 v10, v10, v211
	v_mul_lo_u32 v12, v123, v210
                                        ; kill: def $vgpr13 killed $sgpr0 killed $exec
	v_dot4c_i32_i8_e32 v14, v212, v3
	v_mad_u64_u32 v[12:13], s[16:17], v15, v211, v[12:13]
	v_mad_u64_u32 v[10:11], s[16:17], v11, v210, v[10:11]
	v_cvt_f32_i32_e32 v11, v10
	v_cvt_f32_i32_e32 v10, v12
	;; [unrolled: 1-line block ×4, first 2 shown]
	v_mov_b32_e32 v14, 0
	v_dot4c_i32_i8_e32 v14, v214, v4
	v_dot4c_i32_i8_e32 v14, v214, v5
	v_pk_mul_f32 v[12:13], v[118:119], v[12:13] op_sel_hi:[0,1]
	v_pk_fma_f32 v[10:11], v[116:117], v[10:11], v[12:13] op_sel_hi:[0,1,1] neg_lo:[0,0,1] neg_hi:[0,0,1]
	v_pk_fma_f32 v[36:37], v[8:9], v[10:11], v[36:37]
	v_mov_b32_e32 v10, 0
	v_dot4c_i32_i8_e32 v10, v200, v4
	v_dot4c_i32_i8_e32 v14, v214, v6
	v_mov_b32_e32 v11, 0
	v_dot4c_i32_i8_e32 v10, v197, v5
	v_dot4c_i32_i8_e32 v14, v214, v7
	;; [unrolled: 1-line block ×11, first 2 shown]
	v_mul_lo_u32 v10, v10, v203
	v_mul_lo_u32 v12, v217, v202
                                        ; kill: def $vgpr13 killed $sgpr0 killed $exec
	v_dot4c_i32_i8_e32 v14, v204, v3
	v_mad_u64_u32 v[12:13], s[16:17], v215, v203, v[12:13]
	v_mad_u64_u32 v[10:11], s[16:17], v11, v202, v[10:11]
	v_cvt_f32_i32_e32 v11, v10
	v_cvt_f32_i32_e32 v10, v12
	v_cvt_f32_i32_e32 v13, v14
	v_cvt_f32_i32_e32 v12, v216
	v_mov_b32_e32 v14, 0
	v_mov_b32_e32 v122, 0
	;; [unrolled: 1-line block ×3, first 2 shown]
	v_pk_mul_f32 v[12:13], v[110:111], v[12:13] op_sel_hi:[0,1]
	v_pk_fma_f32 v[10:11], v[108:109], v[10:11], v[12:13] op_sel_hi:[0,1,1] neg_lo:[0,0,1] neg_hi:[0,0,1]
	v_pk_fma_f32 v[34:35], v[8:9], v[10:11], v[34:35]
	v_mov_b32_e32 v11, 0
	v_dot4c_i32_i8_e32 v11, v209, v4
	v_mov_b32_e32 v10, 0
	v_dot4c_i32_i8_e32 v11, v209, v5
	v_dot4c_i32_i8_e32 v10, v180, v4
	;; [unrolled: 1-line block ×3, first 2 shown]
	v_mov_b32_e32 v4, 0
	v_dot4c_i32_i8_e32 v10, v177, v5
	v_dot4c_i32_i8_e32 v11, v209, v7
	;; [unrolled: 1-line block ×11, first 2 shown]
	v_mul_lo_u32 v0, v10, v121
	v_mul_lo_u32 v2, v220, v120
                                        ; kill: def $vgpr1 killed $sgpr0 killed $exec
	v_dot4c_i32_i8_e32 v11, v201, v3
	v_mad_u64_u32 v[2:3], s[16:17], v218, v121, v[2:3]
	v_mad_u64_u32 v[0:1], s[16:17], v4, v120, v[0:1]
	v_cvt_f32_i32_e32 v1, v0
	v_cvt_f32_i32_e32 v0, v2
	;; [unrolled: 1-line block ×4, first 2 shown]
	v_mov_b32_e32 v219, 0
	v_mov_b32_e32 v11, 0
	v_mov_b32_e32 v12, 0
	v_pk_mul_f32 v[2:3], v[106:107], v[2:3] op_sel_hi:[0,1]
	v_pk_fma_f32 v[0:1], v[104:105], v[0:1], v[2:3] op_sel_hi:[0,1,1] neg_lo:[0,0,1] neg_hi:[0,0,1]
	v_pk_fma_f32 v[32:33], v[8:9], v[0:1], v[32:33]
	ds_read2_b32 v[8:9], v115 offset0:128 offset1:160
	ds_read_b128 v[0:3], v113 offset:4096
	ds_read_b128 v[4:7], v113 offset:4112
	v_mov_b32_e32 v15, 0
	v_mov_b32_e32 v123, 0
	;; [unrolled: 1-line block ×3, first 2 shown]
	s_waitcnt lgkmcnt(1)
	v_dot4c_i32_i8_e32 v14, v208, v0
	v_dot4c_i32_i8_e32 v122, v213, v0
	;; [unrolled: 1-line block ×15, first 2 shown]
	v_mov_b32_e32 v217, 0
	v_mov_b32_e32 v218, 0
	v_dot4c_i32_i8_e32 v219, v209, v3
	v_mov_b32_e32 v220, 0
	v_dot4c_i32_i8_e32 v11, v196, v0
	s_waitcnt lgkmcnt(0)
	v_dot4c_i32_i8_e32 v12, v183, v4
	v_dot4c_i32_i8_e32 v14, v207, v4
	;; [unrolled: 1-line block ×47, first 2 shown]
	ds_read_b128 v[4:7], v113 offset:5120
	ds_read_b128 v[0:3], v113 offset:5136
	v_mov_b32_e32 v221, 0
	v_mov_b32_e32 v10, 0
	;; [unrolled: 1-line block ×3, first 2 shown]
	s_waitcnt lgkmcnt(1)
	v_dot4c_i32_i8_e32 v221, v208, v4
	v_dot4c_i32_i8_e32 v221, v208, v5
	;; [unrolled: 1-line block ×6, first 2 shown]
	s_waitcnt lgkmcnt(0)
	v_dot4c_i32_i8_e32 v222, v183, v0
	v_dot4c_i32_i8_e32 v10, v193, v6
	;; [unrolled: 1-line block ×7, first 2 shown]
	v_mul_lo_u32 v12, v12, v205
                                        ; kill: def $vgpr13 killed $sgpr0 killed $exec
	v_dot4c_i32_i8_e32 v221, v207, v2
	v_dot4c_i32_i8_e32 v222, v188, v3
	v_mul_lo_u32 v10, v10, v206
	v_mad_u64_u32 v[12:13], s[16:17], v11, v206, v[12:13]
                                        ; kill: def $vgpr11 killed $sgpr0 killed $exec
	v_dot4c_i32_i8_e32 v221, v207, v3
	v_mad_u64_u32 v[10:11], s[16:17], v222, v205, v[10:11]
	v_cvt_f32_i32_e32 v11, v10
	v_cvt_f32_i32_e32 v10, v12
	;; [unrolled: 1-line block ×4, first 2 shown]
	v_mov_b32_e32 v14, 0
	v_dot4c_i32_i8_e32 v14, v213, v4
	v_dot4c_i32_i8_e32 v14, v213, v5
	v_pk_mul_f32 v[12:13], v[114:115], v[12:13] op_sel_hi:[0,1]
	v_pk_fma_f32 v[10:11], v[112:113], v[10:11], v[12:13] op_sel_hi:[0,1,1] neg_lo:[0,0,1] neg_hi:[0,0,1]
	v_pk_fma_f32 v[30:31], v[8:9], v[10:11], v[30:31]
	v_mov_b32_e32 v10, 0
	v_dot4c_i32_i8_e32 v10, v195, v4
	v_dot4c_i32_i8_e32 v14, v213, v6
	v_mov_b32_e32 v11, 0
	v_dot4c_i32_i8_e32 v10, v189, v5
	v_dot4c_i32_i8_e32 v14, v213, v7
	;; [unrolled: 1-line block ×11, first 2 shown]
	v_mul_lo_u32 v10, v10, v211
	v_mul_lo_u32 v12, v123, v210
                                        ; kill: def $vgpr13 killed $sgpr0 killed $exec
	v_dot4c_i32_i8_e32 v14, v212, v3
	v_mad_u64_u32 v[12:13], s[16:17], v15, v211, v[12:13]
	v_mad_u64_u32 v[10:11], s[16:17], v11, v210, v[10:11]
	v_cvt_f32_i32_e32 v11, v10
	v_cvt_f32_i32_e32 v10, v12
	;; [unrolled: 1-line block ×4, first 2 shown]
	v_mov_b32_e32 v14, 0
	v_dot4c_i32_i8_e32 v14, v214, v4
	v_dot4c_i32_i8_e32 v14, v214, v5
	v_pk_mul_f32 v[12:13], v[118:119], v[12:13] op_sel_hi:[0,1]
	v_pk_fma_f32 v[10:11], v[116:117], v[10:11], v[12:13] op_sel_hi:[0,1,1] neg_lo:[0,0,1] neg_hi:[0,0,1]
	v_pk_fma_f32 v[28:29], v[8:9], v[10:11], v[28:29]
	v_mov_b32_e32 v10, 0
	v_dot4c_i32_i8_e32 v10, v200, v4
	v_dot4c_i32_i8_e32 v14, v214, v6
	v_mov_b32_e32 v11, 0
	v_dot4c_i32_i8_e32 v10, v197, v5
	v_dot4c_i32_i8_e32 v14, v214, v7
	;; [unrolled: 1-line block ×11, first 2 shown]
	v_mul_lo_u32 v10, v10, v203
	v_mul_lo_u32 v12, v217, v202
                                        ; kill: def $vgpr13 killed $sgpr0 killed $exec
	v_dot4c_i32_i8_e32 v14, v204, v3
	v_mad_u64_u32 v[12:13], s[16:17], v215, v203, v[12:13]
	v_mad_u64_u32 v[10:11], s[16:17], v11, v202, v[10:11]
	v_cvt_f32_i32_e32 v11, v10
	v_cvt_f32_i32_e32 v10, v12
	;; [unrolled: 1-line block ×4, first 2 shown]
	v_mov_b32_e32 v215, 0
	v_mov_b32_e32 v217, 0
	;; [unrolled: 1-line block ×3, first 2 shown]
	v_pk_mul_f32 v[12:13], v[110:111], v[12:13] op_sel_hi:[0,1]
	v_pk_fma_f32 v[10:11], v[108:109], v[10:11], v[12:13] op_sel_hi:[0,1,1] neg_lo:[0,0,1] neg_hi:[0,0,1]
	v_pk_fma_f32 v[26:27], v[8:9], v[10:11], v[26:27]
	v_mov_b32_e32 v11, 0
	v_dot4c_i32_i8_e32 v11, v209, v4
	v_mov_b32_e32 v10, 0
	v_dot4c_i32_i8_e32 v11, v209, v5
	v_dot4c_i32_i8_e32 v10, v180, v4
	;; [unrolled: 1-line block ×3, first 2 shown]
	v_mov_b32_e32 v4, 0
	v_dot4c_i32_i8_e32 v10, v177, v5
	v_dot4c_i32_i8_e32 v11, v209, v7
	;; [unrolled: 1-line block ×11, first 2 shown]
	v_mul_lo_u32 v0, v10, v121
	v_mul_lo_u32 v2, v220, v120
                                        ; kill: def $vgpr1 killed $sgpr0 killed $exec
	v_dot4c_i32_i8_e32 v11, v201, v3
	v_mad_u64_u32 v[2:3], s[16:17], v218, v121, v[2:3]
	v_mad_u64_u32 v[0:1], s[16:17], v4, v120, v[0:1]
	v_cvt_f32_i32_e32 v1, v0
	v_cvt_f32_i32_e32 v0, v2
	;; [unrolled: 1-line block ×4, first 2 shown]
	v_mov_b32_e32 v13, 0
	v_mov_b32_e32 v10, 0
	;; [unrolled: 1-line block ×3, first 2 shown]
	v_pk_mul_f32 v[2:3], v[106:107], v[2:3] op_sel_hi:[0,1]
	v_pk_fma_f32 v[0:1], v[104:105], v[0:1], v[2:3] op_sel_hi:[0,1,1] neg_lo:[0,0,1] neg_hi:[0,0,1]
	v_pk_fma_f32 v[24:25], v[8:9], v[0:1], v[24:25]
	ds_read2_b32 v[8:9], v115 offset0:192 offset1:224
	ds_read_b128 v[0:3], v113 offset:6144
	ds_read_b128 v[4:7], v113 offset:6160
	v_mov_b32_e32 v216, 0
	v_mov_b32_e32 v218, 0
	;; [unrolled: 1-line block ×3, first 2 shown]
	s_waitcnt lgkmcnt(1)
	v_dot4c_i32_i8_e32 v215, v208, v0
	v_dot4c_i32_i8_e32 v217, v213, v0
	v_dot4c_i32_i8_e32 v13, v214, v0
	v_dot4c_i32_i8_e32 v10, v209, v0
	v_dot4c_i32_i8_e32 v215, v208, v1
	v_dot4c_i32_i8_e32 v217, v213, v1
	v_dot4c_i32_i8_e32 v13, v214, v1
	v_dot4c_i32_i8_e32 v10, v209, v1
	v_dot4c_i32_i8_e32 v215, v208, v2
	v_dot4c_i32_i8_e32 v217, v213, v2
	v_dot4c_i32_i8_e32 v13, v214, v2
	v_dot4c_i32_i8_e32 v10, v209, v2
	v_dot4c_i32_i8_e32 v215, v208, v3
	v_dot4c_i32_i8_e32 v217, v213, v3
	v_dot4c_i32_i8_e32 v13, v214, v3
	v_mov_b32_e32 v219, 0
	v_mov_b32_e32 v11, 0
	v_dot4c_i32_i8_e32 v10, v209, v3
	v_mov_b32_e32 v12, 0
	v_dot4c_i32_i8_e32 v15, v196, v0
	s_waitcnt lgkmcnt(0)
	v_dot4c_i32_i8_e32 v123, v183, v4
	v_dot4c_i32_i8_e32 v215, v207, v4
	;; [unrolled: 1-line block ×47, first 2 shown]
	ds_read_b128 v[4:7], v113 offset:7168
	ds_read_b128 v[0:3], v113 offset:7184
	v_mov_b32_e32 v122, 0
	s_waitcnt lgkmcnt(1)
	v_dot4c_i32_i8_e32 v122, v196, v4
	v_mov_b32_e32 v196, 0
	v_dot4c_i32_i8_e32 v196, v208, v4
	v_dot4c_i32_i8_e32 v196, v208, v5
	;; [unrolled: 1-line block ×5, first 2 shown]
	v_mov_b32_e32 v190, 0
	s_waitcnt lgkmcnt(0)
	v_dot4c_i32_i8_e32 v190, v183, v0
	v_dot4c_i32_i8_e32 v196, v207, v0
	;; [unrolled: 1-line block ×8, first 2 shown]
	v_mul_lo_u32 v184, v123, v205
	v_dot4c_i32_i8_e32 v190, v188, v3
	v_dot4c_i32_i8_e32 v196, v207, v3
	v_mul_lo_u32 v122, v122, v206
                                        ; kill: def $vgpr123 killed $sgpr0 killed $exec
	v_mad_u64_u32 v[206:207], s[16:17], v15, v206, v[184:185]
	v_mov_b32_e32 v184, 0
	v_mad_u64_u32 v[122:123], s[16:17], v190, v205, v[122:123]
	v_dot4c_i32_i8_e32 v184, v213, v4
	v_cvt_f32_i32_e32 v123, v122
	v_cvt_f32_i32_e32 v122, v206
	;; [unrolled: 1-line block ×4, first 2 shown]
	v_mov_b32_e32 v15, 0
	v_dot4c_i32_i8_e32 v184, v213, v5
	v_dot4c_i32_i8_e32 v15, v195, v4
	;; [unrolled: 1-line block ×3, first 2 shown]
	v_mov_b32_e32 v183, 0
	v_dot4c_i32_i8_e32 v15, v189, v5
	v_dot4c_i32_i8_e32 v184, v213, v7
	;; [unrolled: 1-line block ×6, first 2 shown]
	v_pk_mul_f32 v[206:207], v[114:115], v[206:207] op_sel_hi:[0,1]
	v_dot4c_i32_i8_e32 v15, v192, v7
	v_dot4c_i32_i8_e32 v184, v212, v1
	;; [unrolled: 1-line block ×3, first 2 shown]
	v_pk_fma_f32 v[122:123], v[112:113], v[122:123], v[206:207] op_sel_hi:[0,1,1] neg_lo:[0,0,1] neg_hi:[0,0,1]
	v_dot4c_i32_i8_e32 v184, v212, v2
	v_dot4c_i32_i8_e32 v183, v186, v3
	v_mul_lo_u32 v112, v15, v211
	v_mul_lo_u32 v114, v218, v210
	v_pk_fma_f32 v[22:23], v[8:9], v[122:123], v[22:23]
	v_dot4c_i32_i8_e32 v184, v212, v3
	v_mad_u64_u32 v[122:123], s[16:17], v216, v211, v[114:115]
	v_mad_u64_u32 v[182:183], s[16:17], v183, v210, v[112:113]
	v_cvt_f32_i32_e32 v123, v182
	v_cvt_f32_i32_e32 v183, v184
	;; [unrolled: 1-line block ×4, first 2 shown]
	v_mov_b32_e32 v15, 0
	v_dot4c_i32_i8_e32 v15, v200, v4
	v_pk_mul_f32 v[182:183], v[118:119], v[182:183] op_sel_hi:[0,1]
	v_pk_fma_f32 v[122:123], v[116:117], v[122:123], v[182:183] op_sel_hi:[0,1,1] neg_lo:[0,0,1] neg_hi:[0,0,1]
	v_mov_b32_e32 v116, 0
	v_dot4c_i32_i8_e32 v116, v214, v4
	v_dot4c_i32_i8_e32 v116, v214, v5
	;; [unrolled: 1-line block ×3, first 2 shown]
	v_mov_b32_e32 v118, 0
	v_dot4c_i32_i8_e32 v15, v197, v5
	v_dot4c_i32_i8_e32 v116, v214, v7
	;; [unrolled: 1-line block ×11, first 2 shown]
	v_mul_lo_u32 v112, v15, v203
	v_mul_lo_u32 v114, v219, v202
	v_pk_fma_f32 v[20:21], v[8:9], v[122:123], v[20:21]
	v_dot4c_i32_i8_e32 v116, v204, v3
	v_mad_u64_u32 v[14:15], s[16:17], v14, v203, v[114:115]
	v_mad_u64_u32 v[122:123], s[16:17], v118, v202, v[112:113]
	v_cvt_f32_i32_e32 v15, v122
	v_cvt_f32_i32_e32 v123, v116
	;; [unrolled: 1-line block ×4, first 2 shown]
	v_mov_b32_e32 v13, 0
	v_dot4c_i32_i8_e32 v13, v180, v4
	v_pk_mul_f32 v[122:123], v[110:111], v[122:123] op_sel_hi:[0,1]
	v_pk_fma_f32 v[14:15], v[108:109], v[14:15], v[122:123] op_sel_hi:[0,1,1] neg_lo:[0,0,1] neg_hi:[0,0,1]
	v_pk_fma_f32 v[18:19], v[8:9], v[14:15], v[18:19]
	v_mov_b32_e32 v14, 0
	v_dot4c_i32_i8_e32 v14, v209, v4
	v_dot4c_i32_i8_e32 v14, v209, v5
	;; [unrolled: 1-line block ×3, first 2 shown]
	v_mov_b32_e32 v4, 0
	v_dot4c_i32_i8_e32 v13, v177, v5
	v_dot4c_i32_i8_e32 v14, v209, v7
	;; [unrolled: 1-line block ×11, first 2 shown]
	v_mul_lo_u32 v0, v13, v121
	v_mul_lo_u32 v2, v12, v120
                                        ; kill: def $vgpr1 killed $sgpr0 killed $exec
	v_dot4c_i32_i8_e32 v14, v201, v3
	v_mad_u64_u32 v[2:3], s[16:17], v11, v121, v[2:3]
	v_mad_u64_u32 v[0:1], s[16:17], v4, v120, v[0:1]
	v_cvt_f32_i32_e32 v1, v0
	v_cvt_f32_i32_e32 v0, v2
	;; [unrolled: 1-line block ×4, first 2 shown]
	v_add_u32_e32 v115, 4, v115
	v_add_u32_e32 v113, 32, v113
	s_mov_b32 s16, s15
	v_pk_mul_f32 v[2:3], v[106:107], v[2:3] op_sel_hi:[0,1]
	v_pk_fma_f32 v[0:1], v[104:105], v[0:1], v[2:3] op_sel_hi:[0,1,1] neg_lo:[0,0,1] neg_hi:[0,0,1]
	v_pk_fma_f32 v[16:17], v[8:9], v[0:1], v[16:17]
	s_cbranch_scc1 .LBB147_14
; %bb.15:                               ;   in Loop: Header=BB147_6 Depth=1
	s_barrier
	s_branch .LBB147_5
.LBB147_16:
	v_mov_b32_e32 v1, v45
.LBB147_17:
	v_cmp_gt_u32_e32 vcc, s8, v49
	s_and_saveexec_b64 s[0:1], vcc
	s_cbranch_execz .LBB147_68
; %bb.18:
	v_add_u32_e32 v0, s14, v41
	v_mul_lo_u32 v5, v49, s10
	v_cmp_gt_u32_e32 vcc, s10, v0
	s_and_saveexec_b64 s[0:1], vcc
	s_cbranch_execz .LBB147_20
; %bb.19:
	v_cvt_f16_f32_e32 v4, v83
	v_add_u32_e32 v2, v0, v5
	v_mov_b32_e32 v3, 0
	s_waitcnt lgkmcnt(0)
	v_lshl_add_u64 v[2:3], v[2:3], 1, s[12:13]
	global_store_short v[2:3], v4, off
.LBB147_20:
	s_or_b64 exec, exec, s[0:1]
	v_add_u32_e32 v2, 32, v0
	v_cmp_gt_u32_e64 s[0:1], s10, v2
	s_and_saveexec_b64 s[2:3], s[0:1]
	s_cbranch_execz .LBB147_22
; %bb.21:
	v_cvt_f16_f32_e32 v3, v95
	v_add_u32_e32 v6, v2, v5
	v_mov_b32_e32 v7, 0
	s_waitcnt lgkmcnt(0)
	v_lshl_add_u64 v[6:7], v[6:7], 1, s[12:13]
	global_store_short v[6:7], v3, off
.LBB147_22:
	s_or_b64 exec, exec, s[2:3]
	v_add_u32_e32 v3, 64, v0
	v_cmp_gt_u32_e64 s[2:3], s10, v3
	s_and_saveexec_b64 s[4:5], s[2:3]
	;; [unrolled: 13-line block ×3, first 2 shown]
	s_cbranch_execz .LBB147_26
; %bb.25:
	v_cvt_f16_f32_e32 v8, v77
	v_add_u32_e32 v6, v4, v5
	v_mov_b32_e32 v7, 0
	s_waitcnt lgkmcnt(0)
	v_lshl_add_u64 v[6:7], v[6:7], 1, s[12:13]
	global_store_short v[6:7], v8, off
.LBB147_26:
	s_or_b64 exec, exec, s[6:7]
	v_add3_u32 v5, v1, s11, 8
	v_cmp_gt_u32_e64 s[6:7], s8, v5
	s_and_b64 exec, exec, s[6:7]
	s_cbranch_execz .LBB147_68
; %bb.27:
	v_mul_lo_u32 v5, v5, s10
	s_and_saveexec_b64 s[6:7], vcc
	s_cbranch_execnz .LBB147_69
; %bb.28:
	s_or_b64 exec, exec, s[6:7]
	s_and_saveexec_b64 s[6:7], s[0:1]
	s_cbranch_execnz .LBB147_70
.LBB147_29:
	s_or_b64 exec, exec, s[6:7]
	s_and_saveexec_b64 s[6:7], s[2:3]
	s_cbranch_execnz .LBB147_71
.LBB147_30:
	s_or_b64 exec, exec, s[6:7]
	s_and_saveexec_b64 s[6:7], s[4:5]
	s_cbranch_execz .LBB147_32
.LBB147_31:
	v_cvt_f16_f32_e32 v8, v76
	v_add_u32_e32 v6, v5, v4
	v_mov_b32_e32 v7, 0
	s_waitcnt lgkmcnt(0)
	v_lshl_add_u64 v[6:7], v[6:7], 1, s[12:13]
	global_store_short v[6:7], v8, off
.LBB147_32:
	s_or_b64 exec, exec, s[6:7]
	v_add3_u32 v5, v1, s11, 16
	v_cmp_gt_u32_e64 s[6:7], s8, v5
	s_and_b64 exec, exec, s[6:7]
	s_cbranch_execz .LBB147_68
; %bb.33:
	v_mul_lo_u32 v5, v5, s10
	s_and_saveexec_b64 s[6:7], vcc
	s_cbranch_execnz .LBB147_72
; %bb.34:
	s_or_b64 exec, exec, s[6:7]
	s_and_saveexec_b64 s[6:7], s[0:1]
	s_cbranch_execnz .LBB147_73
.LBB147_35:
	s_or_b64 exec, exec, s[6:7]
	s_and_saveexec_b64 s[6:7], s[2:3]
	s_cbranch_execnz .LBB147_74
.LBB147_36:
	s_or_b64 exec, exec, s[6:7]
	s_and_saveexec_b64 s[6:7], s[4:5]
	s_cbranch_execz .LBB147_38
.LBB147_37:
	v_cvt_f16_f32_e32 v8, v32
	v_add_u32_e32 v6, v5, v4
	v_mov_b32_e32 v7, 0
	s_waitcnt lgkmcnt(0)
	v_lshl_add_u64 v[6:7], v[6:7], 1, s[12:13]
	global_store_short v[6:7], v8, off
.LBB147_38:
	s_or_b64 exec, exec, s[6:7]
	v_add3_u32 v5, v1, s11, 24
	v_cmp_gt_u32_e64 s[6:7], s8, v5
	s_and_b64 exec, exec, s[6:7]
	s_cbranch_execz .LBB147_68
; %bb.39:
	v_mul_lo_u32 v5, v5, s10
	s_and_saveexec_b64 s[6:7], vcc
	s_cbranch_execnz .LBB147_75
; %bb.40:
	s_or_b64 exec, exec, s[6:7]
	s_and_saveexec_b64 s[6:7], s[0:1]
	s_cbranch_execnz .LBB147_76
.LBB147_41:
	s_or_b64 exec, exec, s[6:7]
	s_and_saveexec_b64 s[6:7], s[2:3]
	s_cbranch_execnz .LBB147_77
.LBB147_42:
	s_or_b64 exec, exec, s[6:7]
	s_and_saveexec_b64 s[6:7], s[4:5]
	s_cbranch_execz .LBB147_44
.LBB147_43:
	v_cvt_f16_f32_e32 v8, v33
	v_add_u32_e32 v6, v5, v4
	v_mov_b32_e32 v7, 0
	s_waitcnt lgkmcnt(0)
	v_lshl_add_u64 v[6:7], v[6:7], 1, s[12:13]
	global_store_short v[6:7], v8, off
.LBB147_44:
	s_or_b64 exec, exec, s[6:7]
	v_add3_u32 v5, v1, s11, 32
	v_cmp_gt_u32_e64 s[6:7], s8, v5
	s_and_b64 exec, exec, s[6:7]
	s_cbranch_execz .LBB147_68
; %bb.45:
	v_mul_lo_u32 v5, v5, s10
	s_and_saveexec_b64 s[6:7], vcc
	s_cbranch_execnz .LBB147_78
; %bb.46:
	s_or_b64 exec, exec, s[6:7]
	s_and_saveexec_b64 s[6:7], s[0:1]
	s_cbranch_execnz .LBB147_79
.LBB147_47:
	s_or_b64 exec, exec, s[6:7]
	s_and_saveexec_b64 s[6:7], s[2:3]
	s_cbranch_execnz .LBB147_80
.LBB147_48:
	s_or_b64 exec, exec, s[6:7]
	s_and_saveexec_b64 s[6:7], s[4:5]
	s_cbranch_execz .LBB147_50
.LBB147_49:
	v_cvt_f16_f32_e32 v8, v24
	v_add_u32_e32 v6, v5, v4
	v_mov_b32_e32 v7, 0
	s_waitcnt lgkmcnt(0)
	v_lshl_add_u64 v[6:7], v[6:7], 1, s[12:13]
	global_store_short v[6:7], v8, off
.LBB147_50:
	s_or_b64 exec, exec, s[6:7]
	v_add3_u32 v5, v1, s11, 40
	v_cmp_gt_u32_e64 s[6:7], s8, v5
	s_and_b64 exec, exec, s[6:7]
	s_cbranch_execz .LBB147_68
; %bb.51:
	v_mul_lo_u32 v5, v5, s10
	s_and_saveexec_b64 s[6:7], vcc
	s_cbranch_execnz .LBB147_81
; %bb.52:
	s_or_b64 exec, exec, s[6:7]
	s_and_saveexec_b64 s[6:7], s[0:1]
	s_cbranch_execnz .LBB147_82
.LBB147_53:
	s_or_b64 exec, exec, s[6:7]
	s_and_saveexec_b64 s[6:7], s[2:3]
	s_cbranch_execnz .LBB147_83
.LBB147_54:
	s_or_b64 exec, exec, s[6:7]
	s_and_saveexec_b64 s[6:7], s[4:5]
	s_cbranch_execz .LBB147_56
.LBB147_55:
	v_cvt_f16_f32_e32 v8, v25
	v_add_u32_e32 v6, v5, v4
	v_mov_b32_e32 v7, 0
	s_waitcnt lgkmcnt(0)
	v_lshl_add_u64 v[6:7], v[6:7], 1, s[12:13]
	global_store_short v[6:7], v8, off
.LBB147_56:
	s_or_b64 exec, exec, s[6:7]
	v_add3_u32 v5, v1, s11, 48
	v_cmp_gt_u32_e64 s[6:7], s8, v5
	s_and_b64 exec, exec, s[6:7]
	s_cbranch_execz .LBB147_68
; %bb.57:
	v_mul_lo_u32 v5, v5, s10
	s_and_saveexec_b64 s[6:7], vcc
	s_cbranch_execnz .LBB147_84
; %bb.58:
	s_or_b64 exec, exec, s[6:7]
	s_and_saveexec_b64 s[6:7], s[0:1]
	s_cbranch_execnz .LBB147_85
.LBB147_59:
	s_or_b64 exec, exec, s[6:7]
	s_and_saveexec_b64 s[6:7], s[2:3]
	s_cbranch_execnz .LBB147_86
.LBB147_60:
	s_or_b64 exec, exec, s[6:7]
	s_and_saveexec_b64 s[6:7], s[4:5]
	s_cbranch_execz .LBB147_62
.LBB147_61:
	v_cvt_f16_f32_e32 v8, v16
	v_add_u32_e32 v6, v5, v4
	v_mov_b32_e32 v7, 0
	s_waitcnt lgkmcnt(0)
	v_lshl_add_u64 v[6:7], v[6:7], 1, s[12:13]
	global_store_short v[6:7], v8, off
.LBB147_62:
	s_or_b64 exec, exec, s[6:7]
	v_add3_u32 v1, v1, s11, 56
	v_cmp_gt_u32_e64 s[6:7], s8, v1
	s_and_b64 exec, exec, s[6:7]
	s_cbranch_execz .LBB147_68
; %bb.63:
	v_mul_lo_u32 v1, v1, s10
	s_and_saveexec_b64 s[6:7], vcc
	s_cbranch_execnz .LBB147_87
; %bb.64:
	s_or_b64 exec, exec, s[6:7]
	s_and_saveexec_b64 s[6:7], s[0:1]
	s_cbranch_execnz .LBB147_88
.LBB147_65:
	s_or_b64 exec, exec, s[6:7]
	s_and_saveexec_b64 s[0:1], s[2:3]
	s_cbranch_execnz .LBB147_89
.LBB147_66:
	s_or_b64 exec, exec, s[0:1]
	s_and_b64 exec, exec, s[4:5]
	s_cbranch_execz .LBB147_68
.LBB147_67:
	v_cvt_f16_f32_e32 v2, v17
	v_add_u32_e32 v0, v1, v4
	v_mov_b32_e32 v1, 0
	s_waitcnt lgkmcnt(0)
	v_lshl_add_u64 v[0:1], v[0:1], 1, s[12:13]
	global_store_short v[0:1], v2, off
.LBB147_68:
	s_endpgm
.LBB147_69:
	v_cvt_f16_f32_e32 v8, v82
	v_add_u32_e32 v6, v5, v0
	v_mov_b32_e32 v7, 0
	s_waitcnt lgkmcnt(0)
	v_lshl_add_u64 v[6:7], v[6:7], 1, s[12:13]
	global_store_short v[6:7], v8, off
	s_or_b64 exec, exec, s[6:7]
	s_and_saveexec_b64 s[6:7], s[0:1]
	s_cbranch_execz .LBB147_29
.LBB147_70:
	v_cvt_f16_f32_e32 v8, v94
	v_add_u32_e32 v6, v5, v2
	v_mov_b32_e32 v7, 0
	s_waitcnt lgkmcnt(0)
	v_lshl_add_u64 v[6:7], v[6:7], 1, s[12:13]
	global_store_short v[6:7], v8, off
	s_or_b64 exec, exec, s[6:7]
	s_and_saveexec_b64 s[6:7], s[2:3]
	s_cbranch_execz .LBB147_30
.LBB147_71:
	v_cvt_f16_f32_e32 v8, v84
	v_add_u32_e32 v6, v5, v3
	v_mov_b32_e32 v7, 0
	s_waitcnt lgkmcnt(0)
	v_lshl_add_u64 v[6:7], v[6:7], 1, s[12:13]
	global_store_short v[6:7], v8, off
	s_or_b64 exec, exec, s[6:7]
	s_and_saveexec_b64 s[6:7], s[4:5]
	s_cbranch_execnz .LBB147_31
	s_branch .LBB147_32
.LBB147_72:
	v_cvt_f16_f32_e32 v8, v38
	v_add_u32_e32 v6, v5, v0
	v_mov_b32_e32 v7, 0
	s_waitcnt lgkmcnt(0)
	v_lshl_add_u64 v[6:7], v[6:7], 1, s[12:13]
	global_store_short v[6:7], v8, off
	s_or_b64 exec, exec, s[6:7]
	s_and_saveexec_b64 s[6:7], s[0:1]
	s_cbranch_execz .LBB147_35
.LBB147_73:
	v_cvt_f16_f32_e32 v8, v36
	v_add_u32_e32 v6, v5, v2
	v_mov_b32_e32 v7, 0
	s_waitcnt lgkmcnt(0)
	v_lshl_add_u64 v[6:7], v[6:7], 1, s[12:13]
	global_store_short v[6:7], v8, off
	s_or_b64 exec, exec, s[6:7]
	s_and_saveexec_b64 s[6:7], s[2:3]
	s_cbranch_execz .LBB147_36
.LBB147_74:
	v_cvt_f16_f32_e32 v8, v34
	v_add_u32_e32 v6, v5, v3
	v_mov_b32_e32 v7, 0
	s_waitcnt lgkmcnt(0)
	v_lshl_add_u64 v[6:7], v[6:7], 1, s[12:13]
	global_store_short v[6:7], v8, off
	s_or_b64 exec, exec, s[6:7]
	s_and_saveexec_b64 s[6:7], s[4:5]
	s_cbranch_execnz .LBB147_37
	s_branch .LBB147_38
.LBB147_75:
	v_cvt_f16_f32_e32 v8, v39
	v_add_u32_e32 v6, v5, v0
	v_mov_b32_e32 v7, 0
	s_waitcnt lgkmcnt(0)
	v_lshl_add_u64 v[6:7], v[6:7], 1, s[12:13]
	global_store_short v[6:7], v8, off
	s_or_b64 exec, exec, s[6:7]
	s_and_saveexec_b64 s[6:7], s[0:1]
	s_cbranch_execz .LBB147_41
.LBB147_76:
	v_cvt_f16_f32_e32 v8, v37
	v_add_u32_e32 v6, v5, v2
	v_mov_b32_e32 v7, 0
	s_waitcnt lgkmcnt(0)
	v_lshl_add_u64 v[6:7], v[6:7], 1, s[12:13]
	global_store_short v[6:7], v8, off
	s_or_b64 exec, exec, s[6:7]
	s_and_saveexec_b64 s[6:7], s[2:3]
	s_cbranch_execz .LBB147_42
.LBB147_77:
	v_cvt_f16_f32_e32 v8, v35
	v_add_u32_e32 v6, v5, v3
	v_mov_b32_e32 v7, 0
	s_waitcnt lgkmcnt(0)
	v_lshl_add_u64 v[6:7], v[6:7], 1, s[12:13]
	global_store_short v[6:7], v8, off
	s_or_b64 exec, exec, s[6:7]
	s_and_saveexec_b64 s[6:7], s[4:5]
	s_cbranch_execnz .LBB147_43
	s_branch .LBB147_44
.LBB147_78:
	v_cvt_f16_f32_e32 v8, v30
	v_add_u32_e32 v6, v5, v0
	v_mov_b32_e32 v7, 0
	s_waitcnt lgkmcnt(0)
	v_lshl_add_u64 v[6:7], v[6:7], 1, s[12:13]
	global_store_short v[6:7], v8, off
	s_or_b64 exec, exec, s[6:7]
	s_and_saveexec_b64 s[6:7], s[0:1]
	s_cbranch_execz .LBB147_47
.LBB147_79:
	v_cvt_f16_f32_e32 v8, v28
	v_add_u32_e32 v6, v5, v2
	v_mov_b32_e32 v7, 0
	s_waitcnt lgkmcnt(0)
	v_lshl_add_u64 v[6:7], v[6:7], 1, s[12:13]
	global_store_short v[6:7], v8, off
	s_or_b64 exec, exec, s[6:7]
	s_and_saveexec_b64 s[6:7], s[2:3]
	s_cbranch_execz .LBB147_48
.LBB147_80:
	v_cvt_f16_f32_e32 v8, v26
	v_add_u32_e32 v6, v5, v3
	v_mov_b32_e32 v7, 0
	s_waitcnt lgkmcnt(0)
	v_lshl_add_u64 v[6:7], v[6:7], 1, s[12:13]
	global_store_short v[6:7], v8, off
	s_or_b64 exec, exec, s[6:7]
	s_and_saveexec_b64 s[6:7], s[4:5]
	s_cbranch_execnz .LBB147_49
	s_branch .LBB147_50
.LBB147_81:
	v_cvt_f16_f32_e32 v8, v31
	v_add_u32_e32 v6, v5, v0
	v_mov_b32_e32 v7, 0
	s_waitcnt lgkmcnt(0)
	v_lshl_add_u64 v[6:7], v[6:7], 1, s[12:13]
	global_store_short v[6:7], v8, off
	s_or_b64 exec, exec, s[6:7]
	s_and_saveexec_b64 s[6:7], s[0:1]
	s_cbranch_execz .LBB147_53
.LBB147_82:
	v_cvt_f16_f32_e32 v8, v29
	v_add_u32_e32 v6, v5, v2
	v_mov_b32_e32 v7, 0
	s_waitcnt lgkmcnt(0)
	v_lshl_add_u64 v[6:7], v[6:7], 1, s[12:13]
	global_store_short v[6:7], v8, off
	s_or_b64 exec, exec, s[6:7]
	s_and_saveexec_b64 s[6:7], s[2:3]
	s_cbranch_execz .LBB147_54
.LBB147_83:
	v_cvt_f16_f32_e32 v8, v27
	v_add_u32_e32 v6, v5, v3
	v_mov_b32_e32 v7, 0
	s_waitcnt lgkmcnt(0)
	v_lshl_add_u64 v[6:7], v[6:7], 1, s[12:13]
	global_store_short v[6:7], v8, off
	s_or_b64 exec, exec, s[6:7]
	s_and_saveexec_b64 s[6:7], s[4:5]
	s_cbranch_execnz .LBB147_55
	s_branch .LBB147_56
.LBB147_84:
	v_cvt_f16_f32_e32 v8, v22
	v_add_u32_e32 v6, v5, v0
	v_mov_b32_e32 v7, 0
	s_waitcnt lgkmcnt(0)
	v_lshl_add_u64 v[6:7], v[6:7], 1, s[12:13]
	global_store_short v[6:7], v8, off
	s_or_b64 exec, exec, s[6:7]
	s_and_saveexec_b64 s[6:7], s[0:1]
	s_cbranch_execz .LBB147_59
.LBB147_85:
	v_cvt_f16_f32_e32 v8, v20
	v_add_u32_e32 v6, v5, v2
	v_mov_b32_e32 v7, 0
	s_waitcnt lgkmcnt(0)
	v_lshl_add_u64 v[6:7], v[6:7], 1, s[12:13]
	global_store_short v[6:7], v8, off
	s_or_b64 exec, exec, s[6:7]
	s_and_saveexec_b64 s[6:7], s[2:3]
	s_cbranch_execz .LBB147_60
.LBB147_86:
	v_cvt_f16_f32_e32 v8, v18
	v_add_u32_e32 v6, v5, v3
	v_mov_b32_e32 v7, 0
	s_waitcnt lgkmcnt(0)
	v_lshl_add_u64 v[6:7], v[6:7], 1, s[12:13]
	global_store_short v[6:7], v8, off
	s_or_b64 exec, exec, s[6:7]
	s_and_saveexec_b64 s[6:7], s[4:5]
	s_cbranch_execnz .LBB147_61
	s_branch .LBB147_62
.LBB147_87:
	v_cvt_f16_f32_e32 v5, v23
	v_add_u32_e32 v6, v1, v0
	v_mov_b32_e32 v7, 0
	s_waitcnt lgkmcnt(0)
	v_lshl_add_u64 v[6:7], v[6:7], 1, s[12:13]
	global_store_short v[6:7], v5, off
	s_or_b64 exec, exec, s[6:7]
	s_and_saveexec_b64 s[6:7], s[0:1]
	s_cbranch_execz .LBB147_65
.LBB147_88:
	v_cvt_f16_f32_e32 v0, v21
	v_add_u32_e32 v6, v1, v2
	v_mov_b32_e32 v7, 0
	s_waitcnt lgkmcnt(0)
	v_lshl_add_u64 v[6:7], v[6:7], 1, s[12:13]
	global_store_short v[6:7], v0, off
	s_or_b64 exec, exec, s[6:7]
	s_and_saveexec_b64 s[0:1], s[2:3]
	s_cbranch_execz .LBB147_66
.LBB147_89:
	v_cvt_f16_f32_e32 v0, v19
	v_add_u32_e32 v2, v1, v3
	v_mov_b32_e32 v3, 0
	s_waitcnt lgkmcnt(0)
	v_lshl_add_u64 v[2:3], v[2:3], 1, s[12:13]
	global_store_short v[2:3], v0, off
	s_or_b64 exec, exec, s[0:1]
	s_and_b64 exec, exec, s[4:5]
	s_cbranch_execnz .LBB147_67
	s_branch .LBB147_68
	.section	.rodata,"a",@progbits
	.p2align	6, 0x0
	.amdhsa_kernel _ZL12mul_mat_q2_KIN3c104HalfELb0EEvPKvS3_PT_iiiii
		.amdhsa_group_segment_fixed_size 31392
		.amdhsa_private_segment_fixed_size 0
		.amdhsa_kernarg_size 44
		.amdhsa_user_sgpr_count 2
		.amdhsa_user_sgpr_dispatch_ptr 0
		.amdhsa_user_sgpr_queue_ptr 0
		.amdhsa_user_sgpr_kernarg_segment_ptr 1
		.amdhsa_user_sgpr_dispatch_id 0
		.amdhsa_user_sgpr_kernarg_preload_length 0
		.amdhsa_user_sgpr_kernarg_preload_offset 0
		.amdhsa_user_sgpr_private_segment_size 0
		.amdhsa_uses_dynamic_stack 0
		.amdhsa_enable_private_segment 0
		.amdhsa_system_sgpr_workgroup_id_x 1
		.amdhsa_system_sgpr_workgroup_id_y 1
		.amdhsa_system_sgpr_workgroup_id_z 0
		.amdhsa_system_sgpr_workgroup_info 0
		.amdhsa_system_vgpr_workitem_id 1
		.amdhsa_next_free_vgpr 225
		.amdhsa_next_free_sgpr 22
		.amdhsa_accum_offset 228
		.amdhsa_reserve_vcc 1
		.amdhsa_float_round_mode_32 0
		.amdhsa_float_round_mode_16_64 0
		.amdhsa_float_denorm_mode_32 3
		.amdhsa_float_denorm_mode_16_64 3
		.amdhsa_dx10_clamp 1
		.amdhsa_ieee_mode 1
		.amdhsa_fp16_overflow 0
		.amdhsa_tg_split 0
		.amdhsa_exception_fp_ieee_invalid_op 0
		.amdhsa_exception_fp_denorm_src 0
		.amdhsa_exception_fp_ieee_div_zero 0
		.amdhsa_exception_fp_ieee_overflow 0
		.amdhsa_exception_fp_ieee_underflow 0
		.amdhsa_exception_fp_ieee_inexact 0
		.amdhsa_exception_int_div_zero 0
	.end_amdhsa_kernel
	.section	.text._ZL12mul_mat_q2_KIN3c104HalfELb0EEvPKvS3_PT_iiiii,"axG",@progbits,_ZL12mul_mat_q2_KIN3c104HalfELb0EEvPKvS3_PT_iiiii,comdat
.Lfunc_end147:
	.size	_ZL12mul_mat_q2_KIN3c104HalfELb0EEvPKvS3_PT_iiiii, .Lfunc_end147-_ZL12mul_mat_q2_KIN3c104HalfELb0EEvPKvS3_PT_iiiii
                                        ; -- End function
	.section	.AMDGPU.csdata,"",@progbits
; Kernel info:
; codeLenInByte = 24868
; NumSgprs: 28
; NumVgprs: 225
; NumAgprs: 0
; TotalNumVgprs: 225
; ScratchSize: 0
; MemoryBound: 0
; FloatMode: 240
; IeeeMode: 1
; LDSByteSize: 31392 bytes/workgroup (compile time only)
; SGPRBlocks: 3
; VGPRBlocks: 28
; NumSGPRsForWavesPerEU: 28
; NumVGPRsForWavesPerEU: 225
; AccumOffset: 228
; Occupancy: 2
; WaveLimiterHint : 0
; COMPUTE_PGM_RSRC2:SCRATCH_EN: 0
; COMPUTE_PGM_RSRC2:USER_SGPR: 2
; COMPUTE_PGM_RSRC2:TRAP_HANDLER: 0
; COMPUTE_PGM_RSRC2:TGID_X_EN: 1
; COMPUTE_PGM_RSRC2:TGID_Y_EN: 1
; COMPUTE_PGM_RSRC2:TGID_Z_EN: 0
; COMPUTE_PGM_RSRC2:TIDIG_COMP_CNT: 1
; COMPUTE_PGM_RSRC3_GFX90A:ACCUM_OFFSET: 56
; COMPUTE_PGM_RSRC3_GFX90A:TG_SPLIT: 0
	.section	.text._ZL12mul_mat_q2_KIN3c104HalfELb1EEvPKvS3_PT_iiiii,"axG",@progbits,_ZL12mul_mat_q2_KIN3c104HalfELb1EEvPKvS3_PT_iiiii,comdat
	.globl	_ZL12mul_mat_q2_KIN3c104HalfELb1EEvPKvS3_PT_iiiii ; -- Begin function _ZL12mul_mat_q2_KIN3c104HalfELb1EEvPKvS3_PT_iiiii
	.p2align	8
	.type	_ZL12mul_mat_q2_KIN3c104HalfELb1EEvPKvS3_PT_iiiii,@function
_ZL12mul_mat_q2_KIN3c104HalfELb1EEvPKvS3_PT_iiiii: ; @_ZL12mul_mat_q2_KIN3c104HalfELb1EEvPKvS3_PT_iiiii
; %bb.0:
	s_load_dwordx4 s[8:11], s[0:1], 0x18
	s_load_dword s14, s[0:1], 0x28
	s_lshl_b32 s15, s3, 6
	v_bfe_u32 v45, v0, 10, 10
	s_waitcnt lgkmcnt(0)
	s_cmpk_gt_i32 s8, 0xff
	s_cbranch_scc1 .LBB148_2
; %bb.1:
	v_bfe_u32 v1, v0, 10, 10
	s_mov_b32 s4, 0
	v_and_b32_e32 v41, 0x3ff, v0
	v_add_u32_e32 v47, s15, v1
	s_mov_b32 s5, s4
	s_mov_b64 s[6:7], 0
	s_branch .LBB148_3
.LBB148_2:
	s_mov_b64 s[6:7], -1
                                        ; implicit-def: $sgpr4_sgpr5
                                        ; implicit-def: $vgpr1
                                        ; implicit-def: $vgpr41
                                        ; implicit-def: $vgpr47
.LBB148_3:
	s_load_dwordx2 s[12:13], s[0:1], 0x10
	s_lshl_b32 s16, s2, 7
	s_andn2_b64 vcc, exec, s[6:7]
	v_mov_b64_e32 v[16:17], s[4:5]
	v_mov_b64_e32 v[24:25], s[4:5]
	;; [unrolled: 1-line block ×16, first 2 shown]
	s_cbranch_vccnz .LBB148_17
; %bb.4:
	s_ashr_i32 s4, s8, 31
	s_load_dwordx4 s[0:3], s[0:1], 0x0
	s_lshr_b32 s4, s4, 24
	s_add_i32 s4, s8, s4
	s_ashr_i32 s5, s11, 31
	s_ashr_i32 s4, s4, 8
	s_lshr_b32 s5, s5, 27
	s_add_i32 s5, s11, s5
	s_mul_i32 s6, s4, s16
	s_ashr_i32 s8, s5, 5
	s_mul_hi_i32 s7, s6, 0x54
	s_mulk_i32 s6, 0x54
	s_waitcnt lgkmcnt(0)
	s_add_u32 s6, s0, s6
	s_addc_u32 s7, s1, s7
	s_not_b32 s0, s16
	s_add_i32 s9, s0, s9
	v_and_b32_e32 v41, 0x3ff, v0
	v_lshlrev_b32_e32 v0, 2, v41
	v_min_i32_e32 v1, s9, v45
	s_movk_i32 s1, 0x84
	v_add_u32_e32 v4, 8, v45
	v_mul_lo_u32 v44, v1, s4
	v_mad_u64_u32 v[46:47], s[18:19], v1, s1, v[0:1]
	v_min_i32_e32 v1, s9, v4
	v_add_u32_e32 v5, 16, v45
	v_mul_lo_u32 v48, v1, s4
	v_mad_u64_u32 v[50:51], s[18:19], v1, s1, v[0:1]
	v_min_i32_e32 v1, s9, v5
	;; [unrolled: 4-line block ×7, first 2 shown]
	v_mul_lo_u32 v72, v1, s4
	v_mad_u64_u32 v[74:75], s[18:19], v1, s1, v[0:1]
	v_add_u32_e32 v1, 64, v45
	v_min_i32_e32 v1, s9, v1
	v_mul_lo_u32 v76, v1, s4
	v_mad_u64_u32 v[78:79], s[18:19], v1, s1, v[0:1]
	v_add_u32_e32 v1, 0x48, v45
	v_min_i32_e32 v1, s9, v1
	v_mul_lo_u32 v80, v1, s4
	v_mad_u64_u32 v[82:83], s[18:19], v1, s1, v[0:1]
	v_add_u32_e32 v1, 0x50, v45
	v_min_i32_e32 v1, s9, v1
	v_mul_lo_u32 v84, v1, s4
	v_mad_u64_u32 v[86:87], s[18:19], v1, s1, v[0:1]
	v_add_u32_e32 v1, 0x58, v45
	v_min_i32_e32 v1, s9, v1
	v_mul_lo_u32 v88, v1, s4
	v_mad_u64_u32 v[90:91], s[18:19], v1, s1, v[0:1]
	v_add_u32_e32 v1, 0x60, v45
	v_min_i32_e32 v1, s9, v1
	v_mul_lo_u32 v92, v1, s4
	v_mad_u64_u32 v[94:95], s[18:19], v1, s1, v[0:1]
	v_add_u32_e32 v1, 0x68, v45
	v_min_i32_e32 v1, s9, v1
	v_mul_lo_u32 v96, v1, s4
	v_mad_u64_u32 v[98:99], s[18:19], v1, s1, v[0:1]
	v_add_u32_e32 v1, 0x70, v45
	v_min_i32_e32 v1, s9, v1
	v_mul_lo_u32 v100, v1, s4
	v_mad_u64_u32 v[102:103], s[18:19], v1, s1, v[0:1]
	v_add_u32_e32 v1, 0x78, v45
	v_min_i32_e32 v1, s9, v1
	v_mul_lo_u32 v104, v1, s4
	v_mad_u64_u32 v[106:107], s[18:19], v1, s1, v[0:1]
	v_lshlrev_b32_e32 v49, 4, v45
	v_lshrrev_b32_e32 v1, 1, v41
	v_add_u32_e32 v1, v1, v49
	v_and_b32_e32 v1, 0x7f, v1
	v_min_i32_e32 v1, s9, v1
	v_ashrrev_i32_e32 v2, 31, v1
	v_lshrrev_b32_e32 v2, 28, v2
	v_add_u32_e32 v2, v1, v2
	v_and_b32_e32 v108, 1, v41
	v_ashrrev_i32_e32 v2, 4, v2
	v_lshrrev_b32_e32 v51, 3, v41
	v_mul_lo_u32 v112, v1, s4
	v_lshlrev_b32_e32 v2, 2, v2
	v_lshlrev_b32_e32 v3, 2, v108
	s_movk_i32 s11, 0x7280
	v_lshlrev_b32_e32 v12, 3, v1
	v_lshl_add_u32 v1, v45, 2, v51
	v_add3_u32 v11, v2, v3, s11
	v_min_i32_e32 v3, s9, v1
	v_ashrrev_i32_e32 v13, 31, v3
	v_lshrrev_b32_e32 v13, 30, v13
	v_mul_lo_u32 v120, v3, s4
	v_add_u32_e32 v13, v3, v13
	v_lshlrev_b32_e32 v14, 5, v3
	v_add_u32_e32 v3, 32, v1
	v_min_i32_e32 v3, s9, v3
	v_ashrrev_i32_e32 v15, 31, v3
	v_lshrrev_b32_e32 v15, 30, v15
	v_mul_lo_u32 v126, v3, s4
	v_add_u32_e32 v15, v3, v15
	v_lshlrev_b32_e32 v16, 5, v3
	v_add_u32_e32 v3, 64, v1
	v_min_i32_e32 v3, s9, v3
	v_ashrrev_i32_e32 v17, 31, v3
	v_add_u32_e32 v1, 0x60, v1
	v_lshrrev_b32_e32 v17, 30, v17
	v_min_i32_e32 v1, s9, v1
	v_mul_lo_u32 v128, v3, s4
	v_add_u32_e32 v17, v3, v17
	v_lshlrev_b32_e32 v18, 5, v3
	v_ashrrev_i32_e32 v3, 31, v1
	v_mov_b32_e32 v43, 0
	v_lshrrev_b32_e32 v3, 30, v3
	v_and_b32_e32 v42, 60, v0
	v_and_b32_e32 v118, 12, v0
	v_mul_lo_u32 v130, v1, s4
	v_add_u32_e32 v3, v1, v3
	v_lshlrev_b32_e32 v20, 5, v1
	v_and_b32_e32 v0, 28, v0
	v_mov_b32_e32 v1, v43
	v_lshl_add_u64 v[132:133], s[2:3], 0, v[0:1]
	v_lshrrev_b32_e32 v0, 2, v41
	v_lshl_add_u32 v0, v45, 3, v0
	v_and_b32_e32 v1, 63, v0
	s_add_i32 s9, s10, -1
	v_or_b32_e32 v22, s15, v1
	v_and_b32_e32 v0, 3, v41
	v_min_i32_e32 v22, s9, v22
	v_and_b32_e32 v2, 7, v41
	v_mad_u64_u32 v[134:135], s[18:19], v22, s8, v[0:1]
	v_lshlrev_b32_e32 v0, 2, v0
	v_cmp_lt_u32_e32 vcc, 3, v2
	v_and_b32_e32 v13, -4, v13
	v_lshlrev_b32_e32 v2, 2, v2
	s_movk_i32 s17, 0x6200
	v_and_b32_e32 v15, -4, v15
	v_and_b32_e32 v17, -4, v17
	;; [unrolled: 1-line block ×3, first 2 shown]
	v_add_u32_e32 v47, s15, v45
	v_lshl_or_b32 v0, v1, 4, v0
	v_add3_u32 v13, v13, v2, s17
	v_add3_u32 v15, v15, v2, s17
	;; [unrolled: 1-line block ×4, first 2 shown]
	v_cvt_f64_i32_e32 v[2:3], s9
	v_add_u32_e32 v53, 0x76a0, v0
	v_cvt_f64_u32_e32 v[0:1], v47
	v_and_b32_e32 v21, 31, v41
	v_min_f64 v[0:1], v[0:1], v[2:3]
	v_cvt_i32_f64_e32 v0, v[0:1]
	v_lshlrev_b32_e32 v21, 2, v21
	v_lshlrev_b32_e32 v57, 7, v45
	v_mul_lo_u32 v55, s8, v0
	v_or_b32_e32 v0, v57, v21
	v_add_u32_e32 v59, 0x4200, v0
	v_add_u32_e32 v0, 8, v47
	v_cvt_f64_u32_e32 v[0:1], v0
	v_min_f64 v[0:1], v[0:1], v[2:3]
	v_cvt_i32_f64_e32 v0, v[0:1]
	v_mul_lo_u32 v61, s8, v0
	v_lshl_or_b32 v0, v4, 7, v21
	v_add_u32_e32 v63, 0x4200, v0
	v_add_u32_e32 v0, 16, v47
	v_cvt_f64_u32_e32 v[0:1], v0
	v_min_f64 v[0:1], v[0:1], v[2:3]
	v_cvt_i32_f64_e32 v0, v[0:1]
	v_mul_lo_u32 v65, s8, v0
	v_lshl_or_b32 v0, v5, 7, v21
	;; [unrolled: 7-line block ×6, first 2 shown]
	v_add_u32_e32 v83, 0x4200, v0
	v_add_u32_e32 v0, 56, v47
	v_cvt_f64_u32_e32 v[0:1], v0
	v_min_f64 v[0:1], v[0:1], v[2:3]
	v_cvt_i32_f64_e32 v0, v[0:1]
	v_lshrrev_b32_e32 v40, 4, v41
	v_mul_lo_u32 v85, s8, v0
	v_lshl_or_b32 v0, v10, 7, v21
	v_add_u32_e32 v87, 0x4200, v0
	v_lshlrev_b32_e32 v0, 3, v41
	v_lshlrev_b32_e32 v7, 2, v40
	v_add_u32_e32 v1, 32, v41
	v_add3_u32 v91, v7, v0, s11
	v_mov_b32_e32 v0, 0x1080
	v_mad_u32_u24 v93, v41, s1, v0
	v_lshrrev_b32_e32 v0, 2, v1
	v_lshlrev_b32_e32 v2, 3, v1
	v_and_b32_e32 v0, 0x7c, v0
	v_add_u32_e32 v3, 64, v41
	v_add3_u32 v95, v2, v0, s11
	v_mov_b32_e32 v0, 0x2100
	v_mad_u32_u24 v97, v41, s1, v0
	v_lshrrev_b32_e32 v0, 2, v3
	v_lshlrev_b32_e32 v4, 3, v3
	v_and_b32_e32 v0, 0x7c, v0
	s_mov_b32 s0, 0
	v_add_u32_e32 v5, 0x60, v41
	v_add3_u32 v99, v4, v0, s11
	v_mov_b32_e32 v0, 0x3180
	v_mad_u32_u24 v101, v41, s1, v0
	v_lshrrev_b32_e32 v0, 2, v5
	s_mov_b32 s1, s0
	v_lshlrev_b32_e32 v6, 3, v5
	v_and_b32_e32 v0, 0x7c, v0
	v_and_b32_e32 v113, 0x1fc, v5
	v_lshlrev_b32_e32 v121, 5, v41
	v_and_b32_e32 v127, 0x1fc, v3
	v_and_b32_e32 v131, 0x1fc, v1
	;; [unrolled: 1-line block ×3, first 2 shown]
	v_mov_b64_e32 v[124:125], s[0:1]
	s_movk_i32 s5, 0x54
	v_cndmask_b32_e64 v116, 0, 1, vcc
	v_mov_b32_e32 v119, v43
	v_mul_u32_u24_e32 v89, 0x84, v41
	v_add3_u32 v103, v6, v0, s11
	v_lshrrev_b32_e32 v105, 3, v1
	v_lshrrev_b32_e32 v107, 3, v3
	;; [unrolled: 1-line block ×3, first 2 shown]
	v_or_b32_e32 v117, 0x4200, v113
	v_or_b32_e32 v129, 0x4200, v127
	;; [unrolled: 1-line block ×4, first 2 shown]
	v_add_u32_e32 v141, 0x6e08, v113
	v_add_u32_e32 v143, 0x6a08, v127
	;; [unrolled: 1-line block ×15, first 2 shown]
	s_mov_b32 s1, 0x1010101
	v_mov_b32_e32 v169, 4
	v_mov_b32_e32 v170, 15
	v_mov_b64_e32 v[38:39], v[124:125]
	v_mov_b64_e32 v[30:31], v[124:125]
	;; [unrolled: 1-line block ×15, first 2 shown]
	s_branch .LBB148_6
.LBB148_5:                              ;   in Loop: Header=BB148_6 Depth=1
	s_add_i32 s0, s0, 2
	s_cmp_ge_i32 s0, s4
	s_cbranch_scc1 .LBB148_16
.LBB148_6:                              ; =>This Loop Header: Depth=1
                                        ;     Child Loop BB148_7 Depth 2
                                        ;     Child Loop BB148_9 Depth 2
	;; [unrolled: 1-line block ×4, first 2 shown]
	s_mul_i32 s8, s0, 0x54
	s_mul_hi_u32 s9, s0, 0x54
	s_add_u32 s8, s6, s8
	s_addc_u32 s9, s7, s9
	v_mov_b64_e32 v[0:1], s[8:9]
	v_mad_u64_u32 v[2:3], s[8:9], v40, s5, v[0:1]
	v_lshl_add_u64 v[2:3], v[2:3], 0, v[42:43]
	v_lshl_add_u64 v[2:3], v[2:3], 0, 16
	v_mad_i64_i32 v[4:5], s[8:9], v44, s5, v[2:3]
	v_mad_i64_i32 v[6:7], s[8:9], v48, s5, v[2:3]
	;; [unrolled: 1-line block ×8, first 2 shown]
	global_load_dword v136, v[4:5], off
	global_load_dword v138, v[6:7], off
	;; [unrolled: 1-line block ×8, first 2 shown]
	v_mad_i64_i32 v[4:5], s[8:9], v76, s5, v[2:3]
	v_mad_i64_i32 v[6:7], s[8:9], v80, s5, v[2:3]
	;; [unrolled: 1-line block ×8, first 2 shown]
	global_load_dword v152, v[4:5], off
	global_load_dword v153, v[6:7], off
	;; [unrolled: 1-line block ×8, first 2 shown]
	v_mad_i64_i32 v[2:3], s[8:9], v112, s5, v[0:1]
	v_mad_u64_u32 v[0:1], s[8:9], v116, s5, v[0:1]
	v_lshl_add_u64 v[0:1], v[0:1], 0, v[118:119]
	v_mad_u64_u32 v[2:3], s[8:9], v108, s5, v[2:3]
	v_mad_i64_i32 v[4:5], s[8:9], v120, s5, v[0:1]
	v_mad_i64_i32 v[6:7], s[8:9], v126, s5, v[0:1]
	;; [unrolled: 1-line block ×4, first 2 shown]
	s_lshl_b32 s8, s0, 3
	s_nop 0
	v_add_u32_e32 v144, s8, v51
	global_load_dword v175, v[2:3], off offset:80
	global_load_dword v176, v[4:5], off
	global_load_dword v177, v[6:7], off
	s_nop 0
	global_load_dword v8, v[8:9], off
	s_nop 0
	global_load_dword v178, v[0:1], off
	v_add_u32_e32 v0, v144, v55
	v_add_u32_e32 v2, v144, v61
	;; [unrolled: 1-line block ×6, first 2 shown]
	v_mad_i64_i32 v[0:1], s[18:19], v0, 36, v[132:133]
	v_mad_i64_i32 v[2:3], s[18:19], v2, 36, v[132:133]
	;; [unrolled: 1-line block ×5, first 2 shown]
	v_add_u32_e32 v12, v144, v77
	v_add_u32_e32 v14, v144, v81
	;; [unrolled: 1-line block ×3, first 2 shown]
	v_mad_i64_i32 v[12:13], s[18:19], v12, 36, v[132:133]
	v_mad_i64_i32 v[14:15], s[18:19], v14, 36, v[132:133]
	;; [unrolled: 1-line block ×3, first 2 shown]
	v_mad_u64_u32 v[146:147], s[18:19], v9, 36, s[2:3]
	global_load_dword v0, v[0:1], off offset:4
	s_nop 0
	global_load_dword v1, v[2:3], off offset:4
	s_nop 0
	global_load_dword v2, v[4:5], off offset:4
	global_load_dword v3, v[6:7], off offset:4
	s_nop 0
	global_load_dword v4, v[10:11], off offset:4
	global_load_dword v5, v[146:147], off
	global_load_dword v6, v[12:13], off offset:4
	global_load_dword v7, v[14:15], off offset:4
	s_nop 0
	global_load_dword v10, v[144:145], off offset:4
	s_mov_b32 s17, -2
	v_mov_b32_e32 v11, v57
	v_mov_b32_e32 v13, v49
	s_waitcnt vmcnt(29)
	ds_write_b32 v46, v136
	s_waitcnt vmcnt(28)
	ds_write_b32 v50, v138
	;; [unrolled: 2-line block ×26, first 2 shown]
	s_waitcnt vmcnt(3)
	v_cvt_f32_f16_e32 v0, v5
	s_mov_b32 s9, 0
	s_waitcnt vmcnt(2)
	ds_write_b32 v79, v6
	s_waitcnt vmcnt(1)
	ds_write_b32 v83, v7
	;; [unrolled: 2-line block ×3, first 2 shown]
	ds_write_b32 v53, v0
	s_waitcnt lgkmcnt(0)
	s_barrier
.LBB148_7:                              ;   Parent Loop BB148_6 Depth=1
                                        ; =>  This Inner Loop Header: Depth=2
	s_and_b32 s11, s9, -16
	v_add_u32_e32 v136, s11, v121
	s_add_i32 s11, s17, 2
	s_and_b32 s18, s11, 0x3ffffff8
	s_lshl_b32 s18, s18, 2
	v_add_u32_e32 v0, 0x7400, v13
	v_add_u32_e32 v8, s18, v89
	ds_read2_b32 v[144:145], v0 offset0:168 offset1:200
	ds_read_b128 v[4:7], v11 offset:16896
	ds_read_b128 v[0:3], v11 offset:16912
	ds_read2_b32 v[14:15], v8 offset1:1
	ds_read2_b32 v[146:147], v8 offset0:4 offset1:5
	s_lshr_b32 s19, s11, 2
	s_and_b32 s19, s19, 0x3ffffffc
	v_mov_b32_e32 v148, 0
	s_waitcnt lgkmcnt(1)
	v_ashrrev_i32_e32 v10, s11, v14
	v_and_b32_e32 v175, 0x3030303, v10
	v_ashrrev_i32_e32 v10, s11, v15
	ds_read2_b32 v[14:15], v8 offset0:2 offset1:3
	v_and_b32_e32 v172, 0x3030303, v10
	v_mov_b32_e32 v218, 0
	v_mov_b32_e32 v219, 0
	;; [unrolled: 1-line block ×3, first 2 shown]
	s_waitcnt lgkmcnt(0)
	v_ashrrev_i32_e32 v10, s11, v14
	v_and_b32_e32 v173, 0x3030303, v10
	v_ashrrev_i32_e32 v10, s11, v15
	v_and_b32_e32 v174, 0x3030303, v10
	;; [unrolled: 2-line block ×3, first 2 shown]
	v_ashrrev_i32_e32 v10, s11, v147
	ds_read2_b32 v[146:147], v8 offset0:6 offset1:7
	v_and_b32_e32 v154, 0x3030303, v10
	v_add_u32_e32 v10, s19, v91
	v_mov_b32_e32 v220, 0
	v_mov_b32_e32 v221, 0
	s_waitcnt lgkmcnt(0)
	v_ashrrev_i32_e32 v8, s11, v146
	v_and_b32_e32 v155, 0x3030303, v8
	v_ashrrev_i32_e32 v8, s11, v147
	v_and_b32_e32 v171, 0x3030303, v8
	v_add3_u32 v8, v139, s17, v136
	ds_read_b32 v10, v10
	ds_read_u16 v12, v8 offset:8194
	s_add_i32 s9, s9, 2
	s_cmp_lt_u32 s11, 6
	s_waitcnt lgkmcnt(0)
	v_bfe_u32 v8, v12, 4, 4
	v_mul_lo_u32 v176, v8, s1
	v_mov_b32_e32 v8, 0
	v_and_b32_e32 v192, 15, v12
	v_lshrrev_b32_sdwa v14, v169, v12 dst_sel:DWORD dst_unused:UNUSED_PAD src0_sel:DWORD src1_sel:BYTE_1
	v_and_b32_sdwa v191, v12, v170 dst_sel:DWORD dst_unused:UNUSED_PAD src0_sel:BYTE_1 src1_sel:DWORD
	v_add_u32_e32 v12, s18, v93
	v_dot4c_i32_i8_e32 v8, v175, v4
	v_mul_lo_u32 v189, v14, s1
	v_mov_b32_e32 v14, 0
	ds_read2_b32 v[150:151], v12 offset1:1
	v_dot4c_i32_i8_e32 v8, v172, v5
	v_dot4c_i32_i8_e32 v14, v15, v0
	;; [unrolled: 1-line block ×8, first 2 shown]
	v_mul_lo_u32 v8, v192, v8
	v_dot4c_i32_i8_e32 v148, v176, v5
	v_mad_u64_u32 v[146:147], s[20:21], v191, v14, v[8:9]
	s_waitcnt lgkmcnt(0)
	v_ashrrev_i32_e32 v14, s11, v150
	v_and_b32_e32 v188, 0x3030303, v14
	v_ashrrev_i32_e32 v14, s11, v151
	ds_read2_b32 v[150:151], v12 offset0:2 offset1:3
	v_and_b32_e32 v185, 0x3030303, v14
	v_cvt_f32_i32_e32 v147, v146
	v_dot4c_i32_i8_e32 v148, v176, v6
	v_dot4c_i32_i8_e32 v148, v176, v7
	s_waitcnt lgkmcnt(0)
	v_ashrrev_i32_e32 v14, s11, v150
	v_and_b32_e32 v186, 0x3030303, v14
	v_ashrrev_i32_e32 v14, s11, v151
	ds_read2_b32 v[150:151], v12 offset0:4 offset1:5
	v_and_b32_e32 v187, 0x3030303, v14
	v_dot4c_i32_i8_e32 v148, v189, v0
	v_dot4c_i32_i8_e32 v148, v189, v1
	v_dot4c_i32_i8_e32 v148, v189, v2
	s_waitcnt lgkmcnt(0)
	v_ashrrev_i32_e32 v14, s11, v150
	v_and_b32_e32 v177, 0x3030303, v14
	v_ashrrev_i32_e32 v14, s11, v151
	ds_read2_b32 v[150:151], v12 offset0:6 offset1:7
	v_and_b32_e32 v178, 0x3030303, v14
	v_add_u32_e32 v14, s19, v95
	v_dot4c_i32_i8_e32 v148, v189, v3
	v_cvt_f32_f16_e32 v8, v10
	s_waitcnt lgkmcnt(0)
	v_ashrrev_i32_e32 v12, s11, v150
	v_and_b32_e32 v179, 0x3030303, v12
	v_ashrrev_i32_e32 v12, s11, v151
	v_and_b32_e32 v180, 0x3030303, v12
	v_add3_u32 v12, v135, s17, v136
	ds_read_b32 v14, v14
	ds_read_u16 v138, v12 offset:9218
	v_mov_b32_e32 v150, 0
	v_cvt_f32_f16_sdwa v10, v10 dst_sel:DWORD dst_unused:UNUSED_PAD src0_sel:WORD_1
	s_waitcnt lgkmcnt(0)
	v_bfe_u32 v12, v138, 4, 4
	v_mul_lo_u32 v190, v12, s1
	v_mov_b32_e32 v12, 0
	v_lshrrev_b32_sdwa v140, v169, v138 dst_sel:DWORD dst_unused:UNUSED_PAD src0_sel:DWORD src1_sel:BYTE_1
	v_dot4c_i32_i8_e32 v12, v188, v4
	v_mul_lo_u32 v201, v140, s1
	v_mov_b32_e32 v140, 0
	v_dot4c_i32_i8_e32 v12, v185, v5
	v_dot4c_i32_i8_e32 v140, v177, v0
	;; [unrolled: 1-line block ×5, first 2 shown]
	v_and_b32_e32 v206, 15, v138
	v_dot4c_i32_i8_e32 v140, v179, v2
	v_dot4c_i32_i8_e32 v140, v180, v3
	v_mul_lo_u32 v12, v206, v12
	v_and_b32_sdwa v204, v138, v170 dst_sel:DWORD dst_unused:UNUSED_PAD src0_sel:BYTE_1 src1_sel:DWORD
	v_add_u32_e32 v138, s18, v97
	v_mad_u64_u32 v[152:153], s[20:21], v204, v140, v[12:13]
	v_cvt_f32_i32_e32 v149, v152
	ds_read2_b32 v[152:153], v138 offset1:1
	v_dot4c_i32_i8_e32 v150, v190, v4
	v_dot4c_i32_i8_e32 v150, v190, v5
	;; [unrolled: 1-line block ×4, first 2 shown]
	s_waitcnt lgkmcnt(0)
	v_ashrrev_i32_e32 v140, s11, v152
	v_and_b32_e32 v200, 0x3030303, v140
	v_ashrrev_i32_e32 v140, s11, v153
	ds_read2_b32 v[152:153], v138 offset0:2 offset1:3
	v_and_b32_e32 v197, 0x3030303, v140
	v_dot4c_i32_i8_e32 v150, v201, v0
	v_dot4c_i32_i8_e32 v150, v201, v1
	;; [unrolled: 1-line block ×3, first 2 shown]
	s_waitcnt lgkmcnt(0)
	v_ashrrev_i32_e32 v140, s11, v152
	v_and_b32_e32 v198, 0x3030303, v140
	v_ashrrev_i32_e32 v140, s11, v153
	ds_read2_b32 v[152:153], v138 offset0:4 offset1:5
	v_and_b32_e32 v199, 0x3030303, v140
	v_dot4c_i32_i8_e32 v150, v201, v3
	v_cvt_f32_f16_e32 v12, v14
	v_cvt_f32_f16_sdwa v14, v14 dst_sel:DWORD dst_unused:UNUSED_PAD src0_sel:WORD_1
	s_waitcnt lgkmcnt(0)
	v_ashrrev_i32_e32 v140, s11, v152
	v_and_b32_e32 v193, 0x3030303, v140
	v_ashrrev_i32_e32 v140, s11, v153
	ds_read2_b32 v[152:153], v138 offset0:6 offset1:7
	v_and_b32_e32 v194, 0x3030303, v140
	v_add_u32_e32 v140, s19, v99
	s_waitcnt lgkmcnt(0)
	v_ashrrev_i32_e32 v138, s11, v152
	v_and_b32_e32 v195, 0x3030303, v138
	v_ashrrev_i32_e32 v138, s11, v153
	v_and_b32_e32 v196, 0x3030303, v138
	v_add3_u32 v138, v129, s17, v136
	ds_read_b32 v142, v140
	ds_read_u16 v140, v138 offset:10242
	v_add3_u32 v136, v117, s17, v136
	s_mov_b32 s17, s11
	s_waitcnt lgkmcnt(0)
	v_bfe_u32 v138, v140, 4, 4
	v_mul_lo_u32 v203, v138, s1
	v_mov_b32_e32 v138, 0
	v_lshrrev_b32_sdwa v146, v169, v140 dst_sel:DWORD dst_unused:UNUSED_PAD src0_sel:DWORD src1_sel:BYTE_1
	v_dot4c_i32_i8_e32 v138, v200, v4
	v_mul_lo_u32 v211, v146, s1
	v_mov_b32_e32 v146, 0
	v_dot4c_i32_i8_e32 v138, v197, v5
	v_dot4c_i32_i8_e32 v146, v193, v0
	;; [unrolled: 1-line block ×5, first 2 shown]
	v_and_b32_e32 v214, 15, v140
	v_dot4c_i32_i8_e32 v146, v195, v2
	v_dot4c_i32_i8_e32 v146, v196, v3
	v_mul_lo_u32 v138, v214, v138
	v_and_b32_sdwa v213, v140, v170 dst_sel:DWORD dst_unused:UNUSED_PAD src0_sel:BYTE_1 src1_sel:DWORD
	v_dot4c_i32_i8_e32 v218, v203, v4
	v_mad_u64_u32 v[152:153], s[20:21], v213, v146, v[138:139]
	v_add_u32_e32 v138, s18, v101
	v_cvt_f32_i32_e32 v151, v152
	ds_read2_b32 v[152:153], v138 offset1:1
	v_dot4c_i32_i8_e32 v218, v203, v5
	v_dot4c_i32_i8_e32 v218, v203, v6
	;; [unrolled: 1-line block ×4, first 2 shown]
	s_waitcnt lgkmcnt(0)
	v_ashrrev_i32_e32 v146, s11, v152
	v_and_b32_e32 v210, 0x3030303, v146
	v_ashrrev_i32_e32 v146, s11, v153
	ds_read2_b32 v[152:153], v138 offset0:2 offset1:3
	v_and_b32_e32 v207, 0x3030303, v146
	v_dot4c_i32_i8_e32 v218, v211, v1
	v_dot4c_i32_i8_e32 v218, v211, v2
	v_dot4c_i32_i8_e32 v218, v211, v3
	s_waitcnt lgkmcnt(0)
	v_ashrrev_i32_e32 v146, s11, v152
	v_and_b32_e32 v208, 0x3030303, v146
	v_ashrrev_i32_e32 v146, s11, v153
	ds_read2_b32 v[152:153], v138 offset0:4 offset1:5
	v_and_b32_e32 v209, 0x3030303, v146
	v_cvt_f32_f16_e32 v140, v142
	v_cvt_f32_f16_sdwa v142, v142 dst_sel:DWORD dst_unused:UNUSED_PAD src0_sel:WORD_1
	s_waitcnt lgkmcnt(0)
	v_ashrrev_i32_e32 v146, s11, v152
	v_and_b32_e32 v181, 0x3030303, v146
	v_ashrrev_i32_e32 v146, s11, v153
	ds_read2_b32 v[152:153], v138 offset0:6 offset1:7
	v_and_b32_e32 v182, 0x3030303, v146
	s_waitcnt lgkmcnt(0)
	v_ashrrev_i32_e32 v138, s11, v152
	v_and_b32_e32 v183, 0x3030303, v138
	v_ashrrev_i32_e32 v138, s11, v153
	v_and_b32_e32 v184, 0x3030303, v138
	v_add_u32_e32 v138, s19, v103
	ds_read_b32 v138, v138
	ds_read_u16 v136, v136 offset:11266
	v_mov_b32_e32 v152, 0
	s_waitcnt lgkmcnt(0)
	v_bfe_u32 v146, v136, 4, 4
	v_mul_lo_u32 v212, v146, s1
	v_mov_b32_e32 v146, 0
	v_dot4c_i32_i8_e32 v146, v210, v4
	v_dot4c_i32_i8_e32 v219, v212, v4
	;; [unrolled: 1-line block ×4, first 2 shown]
	v_lshrrev_b32_sdwa v5, v169, v136 dst_sel:DWORD dst_unused:UNUSED_PAD src0_sel:DWORD src1_sel:BYTE_1
	v_mul_lo_u32 v202, v5, s1
	v_mov_b32_e32 v5, 0
	v_dot4c_i32_i8_e32 v219, v212, v6
	v_dot4c_i32_i8_e32 v5, v181, v0
	;; [unrolled: 1-line block ×6, first 2 shown]
	v_and_b32_e32 v215, 15, v136
	v_dot4c_i32_i8_e32 v219, v202, v0
	v_dot4c_i32_i8_e32 v5, v183, v2
	v_mul_lo_u32 v4, v215, v146
	v_dot4c_i32_i8_e32 v219, v202, v1
	v_dot4c_i32_i8_e32 v5, v184, v3
	v_and_b32_sdwa v205, v136, v170 dst_sel:DWORD dst_unused:UNUSED_PAD src0_sel:BYTE_1 src1_sel:DWORD
	v_dot4c_i32_i8_e32 v219, v202, v2
	v_dot4c_i32_i8_e32 v219, v202, v3
	v_mad_u64_u32 v[0:1], s[18:19], v205, v5, v[4:5]
	v_cvt_f32_i32_e32 v153, v0
	ds_read_b128 v[4:7], v11 offset:17920
	ds_read_b128 v[0:3], v11 offset:17936
	v_mov_b32_e32 v146, 0
	v_cvt_f32_f16_e32 v136, v138
	v_cvt_f32_f16_sdwa v138, v138 dst_sel:DWORD dst_unused:UNUSED_PAD src0_sel:WORD_1
	s_waitcnt lgkmcnt(1)
	v_dot4c_i32_i8_e32 v152, v176, v4
	v_dot4c_i32_i8_e32 v152, v176, v5
	;; [unrolled: 1-line block ×6, first 2 shown]
	s_waitcnt lgkmcnt(0)
	v_dot4c_i32_i8_e32 v216, v15, v0
	v_dot4c_i32_i8_e32 v146, v173, v6
	;; [unrolled: 1-line block ×8, first 2 shown]
	v_mul_lo_u32 v146, v146, v192
	v_dot4c_i32_i8_e32 v216, v171, v3
	v_dot4c_i32_i8_e32 v152, v189, v3
	s_nop 1
	v_mad_u64_u32 v[216:217], s[18:19], v216, v191, v[146:147]
	v_cvt_f32_i32_e32 v146, v216
	v_cvt_f32_i32_e32 v217, v148
	;; [unrolled: 1-line block ×3, first 2 shown]
	v_mov_b32_e32 v152, 0
	v_dot4c_i32_i8_e32 v152, v190, v4
	v_dot4c_i32_i8_e32 v152, v190, v5
	v_pk_mul_f32 v[216:217], v[10:11], v[216:217] op_sel_hi:[0,1]
	v_pk_fma_f32 v[216:217], v[8:9], v[146:147], v[216:217] op_sel_hi:[0,1,1] neg_lo:[0,0,1] neg_hi:[0,0,1]
	v_mov_b32_e32 v147, v144
	v_mov_b32_e32 v144, 0
	;; [unrolled: 1-line block ×3, first 2 shown]
	v_dot4c_i32_i8_e32 v144, v188, v4
	v_dot4c_i32_i8_e32 v152, v190, v6
	v_mov_b32_e32 v145, 0
	v_dot4c_i32_i8_e32 v144, v185, v5
	v_dot4c_i32_i8_e32 v152, v190, v7
	;; [unrolled: 1-line block ×10, first 2 shown]
	v_mul_lo_u32 v144, v144, v206
	v_dot4c_i32_i8_e32 v145, v180, v3
	v_dot4c_i32_i8_e32 v152, v201, v3
	v_pk_fma_f32 v[124:125], v[146:147], v[216:217], v[124:125]
	s_nop 0
	v_mad_u64_u32 v[144:145], s[18:19], v145, v204, v[144:145]
	v_cvt_f32_i32_e32 v148, v144
	v_cvt_f32_i32_e32 v145, v150
	;; [unrolled: 1-line block ×3, first 2 shown]
	v_pk_mul_f32 v[144:145], v[14:15], v[144:145] op_sel_hi:[0,1]
	v_pk_fma_f32 v[144:145], v[12:13], v[148:149], v[144:145] op_sel_hi:[0,1,1] neg_lo:[0,0,1] neg_hi:[0,0,1]
	v_mov_b32_e32 v148, 0
	v_dot4c_i32_i8_e32 v148, v203, v4
	v_pk_fma_f32 v[122:123], v[146:147], v[144:145], v[122:123]
	v_mov_b32_e32 v144, 0
	v_dot4c_i32_i8_e32 v148, v203, v5
	v_dot4c_i32_i8_e32 v144, v200, v4
	;; [unrolled: 1-line block ×3, first 2 shown]
	v_mov_b32_e32 v145, 0
	v_dot4c_i32_i8_e32 v144, v197, v5
	v_dot4c_i32_i8_e32 v148, v203, v7
	;; [unrolled: 1-line block ×10, first 2 shown]
	v_mul_lo_u32 v144, v144, v214
	v_dot4c_i32_i8_e32 v145, v196, v3
	v_dot4c_i32_i8_e32 v148, v211, v3
	v_mov_b32_e32 v149, 0
	s_nop 0
	v_mad_u64_u32 v[144:145], s[18:19], v145, v213, v[144:145]
	v_cvt_f32_i32_e32 v150, v144
	v_cvt_f32_i32_e32 v145, v218
	;; [unrolled: 1-line block ×3, first 2 shown]
	v_mov_b32_e32 v218, 0
	v_pk_mul_f32 v[144:145], v[142:143], v[144:145] op_sel_hi:[0,1]
	v_pk_fma_f32 v[144:145], v[140:141], v[150:151], v[144:145] op_sel_hi:[0,1,1] neg_lo:[0,0,1] neg_hi:[0,0,1]
	v_pk_fma_f32 v[114:115], v[146:147], v[144:145], v[114:115]
	v_mov_b32_e32 v145, 0
	v_mov_b32_e32 v144, 0
	v_dot4c_i32_i8_e32 v145, v212, v4
	v_dot4c_i32_i8_e32 v144, v210, v4
	;; [unrolled: 1-line block ×5, first 2 shown]
	v_mov_b32_e32 v5, 0
	v_dot4c_i32_i8_e32 v145, v212, v7
	v_dot4c_i32_i8_e32 v5, v181, v0
	;; [unrolled: 1-line block ×9, first 2 shown]
	v_mul_lo_u32 v4, v144, v215
	v_dot4c_i32_i8_e32 v5, v184, v3
	v_dot4c_i32_i8_e32 v145, v202, v3
	v_mov_b32_e32 v151, 0
	s_nop 0
	v_mad_u64_u32 v[0:1], s[18:19], v5, v205, v[4:5]
	v_cvt_f32_i32_e32 v152, v0
	v_cvt_f32_i32_e32 v1, v219
	;; [unrolled: 1-line block ×3, first 2 shown]
	v_mov_b32_e32 v219, 0
	v_pk_mul_f32 v[0:1], v[138:139], v[0:1] op_sel_hi:[0,1]
	v_pk_fma_f32 v[0:1], v[136:137], v[152:153], v[0:1] op_sel_hi:[0,1,1] neg_lo:[0,0,1] neg_hi:[0,0,1]
	v_pk_fma_f32 v[110:111], v[146:147], v[0:1], v[110:111]
	v_add_u32_e32 v0, 0x7600, v13
	ds_read2_b32 v[144:145], v0 offset0:104 offset1:136
	ds_read_b128 v[4:7], v11 offset:18944
	ds_read_b128 v[0:3], v11 offset:18960
	v_mov_b32_e32 v146, 0
	v_mov_b32_e32 v147, 0
	s_waitcnt lgkmcnt(1)
	v_dot4c_i32_i8_e32 v146, v175, v4
	v_dot4c_i32_i8_e32 v146, v172, v5
	s_waitcnt lgkmcnt(0)
	v_dot4c_i32_i8_e32 v147, v15, v0
	v_dot4c_i32_i8_e32 v146, v173, v6
	v_dot4c_i32_i8_e32 v147, v154, v1
	v_dot4c_i32_i8_e32 v146, v174, v7
	v_dot4c_i32_i8_e32 v147, v155, v2
	v_dot4c_i32_i8_e32 v147, v171, v3
	v_dot4c_i32_i8_e32 v149, v176, v4
	v_mul_lo_u32 v146, v146, v192
	v_dot4c_i32_i8_e32 v218, v190, v4
	v_mad_u64_u32 v[146:147], s[18:19], v147, v191, v[146:147]
	v_cvt_f32_i32_e32 v152, v146
	v_mov_b32_e32 v146, 0
	v_dot4c_i32_i8_e32 v146, v188, v4
	v_mov_b32_e32 v147, 0
	v_dot4c_i32_i8_e32 v146, v185, v5
	v_dot4c_i32_i8_e32 v147, v177, v0
	;; [unrolled: 1-line block ×8, first 2 shown]
	v_mul_lo_u32 v146, v146, v206
	v_dot4c_i32_i8_e32 v220, v212, v4
	v_mad_u64_u32 v[146:147], s[18:19], v147, v204, v[146:147]
	v_cvt_f32_i32_e32 v150, v146
	v_mov_b32_e32 v146, 0
	v_dot4c_i32_i8_e32 v146, v200, v4
	v_mov_b32_e32 v147, 0
	v_dot4c_i32_i8_e32 v146, v197, v5
	v_dot4c_i32_i8_e32 v147, v193, v0
	;; [unrolled: 1-line block ×8, first 2 shown]
	v_mul_lo_u32 v146, v146, v214
	v_dot4c_i32_i8_e32 v218, v190, v5
	v_mad_u64_u32 v[146:147], s[18:19], v147, v213, v[146:147]
	v_cvt_f32_i32_e32 v148, v146
	v_mov_b32_e32 v146, 0
	v_dot4c_i32_i8_e32 v146, v210, v4
	v_dot4c_i32_i8_e32 v219, v203, v5
	;; [unrolled: 1-line block ×4, first 2 shown]
	v_mov_b32_e32 v5, 0
	v_dot4c_i32_i8_e32 v149, v176, v6
	v_dot4c_i32_i8_e32 v218, v190, v6
	;; [unrolled: 1-line block ×20, first 2 shown]
	v_mul_lo_u32 v4, v146, v215
	v_dot4c_i32_i8_e32 v220, v202, v1
	v_dot4c_i32_i8_e32 v5, v184, v3
	;; [unrolled: 1-line block ×6, first 2 shown]
	v_mad_u64_u32 v[0:1], s[18:19], v5, v205, v[4:5]
	v_dot4c_i32_i8_e32 v149, v189, v3
	v_dot4c_i32_i8_e32 v218, v201, v3
	;; [unrolled: 1-line block ×4, first 2 shown]
	v_cvt_f32_i32_e32 v146, v0
	ds_read_b128 v[4:7], v11 offset:19968
	ds_read_b128 v[0:3], v11 offset:19984
	v_mov_b32_e32 v147, 0
	s_waitcnt lgkmcnt(1)
	v_dot4c_i32_i8_e32 v147, v175, v4
	v_dot4c_i32_i8_e32 v147, v172, v5
	;; [unrolled: 1-line block ×8, first 2 shown]
	s_waitcnt lgkmcnt(0)
	v_dot4c_i32_i8_e32 v151, v189, v0
	v_mul_lo_u32 v216, v147, v192
	v_mov_b32_e32 v147, 0
	v_dot4c_i32_i8_e32 v147, v15, v0
	v_dot4c_i32_i8_e32 v147, v154, v1
	;; [unrolled: 1-line block ×7, first 2 shown]
	s_nop 1
	v_mad_u64_u32 v[216:217], s[18:19], v147, v191, v[216:217]
	v_cvt_f32_i32_e32 v153, v216
	v_cvt_f32_i32_e32 v217, v151
	;; [unrolled: 1-line block ×3, first 2 shown]
	v_mov_b32_e32 v147, 0
	v_dot4c_i32_i8_e32 v147, v188, v4
	v_mov_b32_e32 v149, 0
	v_dot4c_i32_i8_e32 v147, v185, v5
	v_pk_mul_f32 v[216:217], v[10:11], v[216:217] op_sel_hi:[0,1]
	v_dot4c_i32_i8_e32 v149, v190, v4
	v_dot4c_i32_i8_e32 v147, v186, v6
	v_pk_fma_f32 v[152:153], v[8:9], v[152:153], v[216:217] op_sel_hi:[0,1,1] neg_lo:[0,0,1] neg_hi:[0,0,1]
	v_dot4c_i32_i8_e32 v149, v190, v5
	v_dot4c_i32_i8_e32 v147, v187, v7
	v_pk_fma_f32 v[38:39], v[144:145], v[152:153], v[38:39]
	v_dot4c_i32_i8_e32 v149, v190, v6
	v_dot4c_i32_i8_e32 v149, v190, v7
	v_mul_lo_u32 v152, v147, v206
	v_mov_b32_e32 v147, 0
	v_dot4c_i32_i8_e32 v147, v177, v0
	v_dot4c_i32_i8_e32 v149, v201, v0
	;; [unrolled: 1-line block ×8, first 2 shown]
	v_add_u32_e32 v216, 0x7800, v13
	v_mov_b32_e32 v217, 0
	v_mad_u64_u32 v[152:153], s[18:19], v147, v204, v[152:153]
	v_cvt_f32_i32_e32 v151, v152
	v_cvt_f32_i32_e32 v153, v149
	v_cvt_f32_i32_e32 v152, v218
	v_mov_b32_e32 v147, 0
	v_dot4c_i32_i8_e32 v147, v200, v4
	v_dot4c_i32_i8_e32 v147, v197, v5
	v_pk_mul_f32 v[152:153], v[14:15], v[152:153] op_sel_hi:[0,1]
	v_pk_fma_f32 v[150:151], v[12:13], v[150:151], v[152:153] op_sel_hi:[0,1,1] neg_lo:[0,0,1] neg_hi:[0,0,1]
	v_mov_b32_e32 v152, 0
	v_dot4c_i32_i8_e32 v152, v203, v4
	v_dot4c_i32_i8_e32 v147, v198, v6
	;; [unrolled: 1-line block ×4, first 2 shown]
	v_pk_fma_f32 v[36:37], v[144:145], v[150:151], v[36:37]
	v_dot4c_i32_i8_e32 v152, v203, v6
	v_dot4c_i32_i8_e32 v152, v203, v7
	v_mul_lo_u32 v150, v147, v214
	v_mov_b32_e32 v147, 0
	v_dot4c_i32_i8_e32 v147, v193, v0
	v_dot4c_i32_i8_e32 v152, v211, v0
	;; [unrolled: 1-line block ×8, first 2 shown]
	s_nop 1
	v_mad_u64_u32 v[150:151], s[18:19], v147, v213, v[150:151]
	v_cvt_f32_i32_e32 v149, v150
	v_cvt_f32_i32_e32 v151, v152
	;; [unrolled: 1-line block ×3, first 2 shown]
	v_mov_b32_e32 v147, 0
	v_dot4c_i32_i8_e32 v147, v210, v4
	v_dot4c_i32_i8_e32 v147, v207, v5
	v_pk_mul_f32 v[150:151], v[142:143], v[150:151] op_sel_hi:[0,1]
	v_pk_fma_f32 v[148:149], v[140:141], v[148:149], v[150:151] op_sel_hi:[0,1,1] neg_lo:[0,0,1] neg_hi:[0,0,1]
	v_pk_fma_f32 v[34:35], v[144:145], v[148:149], v[34:35]
	v_mov_b32_e32 v148, 0
	v_dot4c_i32_i8_e32 v148, v212, v4
	v_dot4c_i32_i8_e32 v148, v212, v5
	;; [unrolled: 1-line block ×3, first 2 shown]
	v_mov_b32_e32 v5, 0
	v_dot4c_i32_i8_e32 v148, v212, v7
	v_dot4c_i32_i8_e32 v5, v181, v0
	;; [unrolled: 1-line block ×9, first 2 shown]
	v_mul_lo_u32 v4, v147, v215
	v_dot4c_i32_i8_e32 v5, v184, v3
	v_dot4c_i32_i8_e32 v148, v202, v3
	v_mov_b32_e32 v149, 0
	v_mov_b32_e32 v151, 0
	v_mad_u64_u32 v[0:1], s[18:19], v5, v205, v[4:5]
	v_cvt_f32_i32_e32 v147, v0
	v_cvt_f32_i32_e32 v1, v148
	;; [unrolled: 1-line block ×3, first 2 shown]
	v_mov_b32_e32 v220, 0
	v_pk_mul_f32 v[0:1], v[138:139], v[0:1] op_sel_hi:[0,1]
	v_pk_fma_f32 v[0:1], v[136:137], v[146:147], v[0:1] op_sel_hi:[0,1,1] neg_lo:[0,0,1] neg_hi:[0,0,1]
	v_pk_fma_f32 v[32:33], v[144:145], v[0:1], v[32:33]
	ds_read2_b32 v[144:145], v216 offset0:40 offset1:72
	ds_read_b128 v[4:7], v11 offset:20992
	ds_read_b128 v[0:3], v11 offset:21008
	v_mov_b32_e32 v146, 0
	v_mov_b32_e32 v147, 0
	s_waitcnt lgkmcnt(1)
	v_dot4c_i32_i8_e32 v146, v175, v4
	v_dot4c_i32_i8_e32 v146, v172, v5
	s_waitcnt lgkmcnt(0)
	v_dot4c_i32_i8_e32 v147, v15, v0
	v_dot4c_i32_i8_e32 v146, v173, v6
	;; [unrolled: 1-line block ×7, first 2 shown]
	v_mul_lo_u32 v146, v146, v192
	v_dot4c_i32_i8_e32 v217, v190, v4
	v_mad_u64_u32 v[146:147], s[18:19], v147, v191, v[146:147]
	v_cvt_f32_i32_e32 v152, v146
	v_mov_b32_e32 v146, 0
	v_dot4c_i32_i8_e32 v146, v188, v4
	v_mov_b32_e32 v147, 0
	v_dot4c_i32_i8_e32 v146, v185, v5
	v_dot4c_i32_i8_e32 v147, v177, v0
	;; [unrolled: 1-line block ×8, first 2 shown]
	v_mul_lo_u32 v146, v146, v206
	v_dot4c_i32_i8_e32 v221, v212, v4
	v_mad_u64_u32 v[146:147], s[18:19], v147, v204, v[146:147]
	v_cvt_f32_i32_e32 v150, v146
	v_mov_b32_e32 v146, 0
	v_dot4c_i32_i8_e32 v146, v200, v4
	v_mov_b32_e32 v147, 0
	v_dot4c_i32_i8_e32 v146, v197, v5
	v_dot4c_i32_i8_e32 v147, v193, v0
	;; [unrolled: 1-line block ×8, first 2 shown]
	v_mul_lo_u32 v146, v146, v214
	v_dot4c_i32_i8_e32 v217, v190, v5
	v_mad_u64_u32 v[146:147], s[18:19], v147, v213, v[146:147]
	v_cvt_f32_i32_e32 v148, v146
	v_mov_b32_e32 v146, 0
	v_dot4c_i32_i8_e32 v146, v210, v4
	v_dot4c_i32_i8_e32 v220, v203, v5
	;; [unrolled: 1-line block ×4, first 2 shown]
	v_mov_b32_e32 v5, 0
	v_dot4c_i32_i8_e32 v149, v176, v6
	v_dot4c_i32_i8_e32 v217, v190, v6
	;; [unrolled: 1-line block ×20, first 2 shown]
	v_mul_lo_u32 v4, v146, v215
	v_dot4c_i32_i8_e32 v221, v202, v1
	v_dot4c_i32_i8_e32 v5, v184, v3
	;; [unrolled: 1-line block ×6, first 2 shown]
	v_mad_u64_u32 v[0:1], s[18:19], v5, v205, v[4:5]
	v_dot4c_i32_i8_e32 v149, v189, v3
	v_dot4c_i32_i8_e32 v217, v201, v3
	v_dot4c_i32_i8_e32 v220, v211, v3
	v_dot4c_i32_i8_e32 v221, v202, v3
	v_cvt_f32_i32_e32 v146, v0
	ds_read_b128 v[4:7], v11 offset:22016
	ds_read_b128 v[0:3], v11 offset:22032
	v_mov_b32_e32 v147, 0
	s_waitcnt lgkmcnt(1)
	v_dot4c_i32_i8_e32 v147, v175, v4
	v_dot4c_i32_i8_e32 v147, v172, v5
	;; [unrolled: 1-line block ×8, first 2 shown]
	s_waitcnt lgkmcnt(0)
	v_dot4c_i32_i8_e32 v151, v189, v0
	v_mul_lo_u32 v218, v147, v192
	v_mov_b32_e32 v147, 0
	v_dot4c_i32_i8_e32 v147, v15, v0
	v_dot4c_i32_i8_e32 v147, v154, v1
	;; [unrolled: 1-line block ×7, first 2 shown]
	s_nop 1
	v_mad_u64_u32 v[218:219], s[18:19], v147, v191, v[218:219]
	v_cvt_f32_i32_e32 v153, v218
	v_cvt_f32_i32_e32 v219, v151
	;; [unrolled: 1-line block ×3, first 2 shown]
	v_mov_b32_e32 v147, 0
	v_dot4c_i32_i8_e32 v147, v188, v4
	v_mov_b32_e32 v149, 0
	v_dot4c_i32_i8_e32 v147, v185, v5
	v_pk_mul_f32 v[218:219], v[10:11], v[218:219] op_sel_hi:[0,1]
	v_dot4c_i32_i8_e32 v149, v190, v4
	v_dot4c_i32_i8_e32 v147, v186, v6
	v_pk_fma_f32 v[152:153], v[8:9], v[152:153], v[218:219] op_sel_hi:[0,1,1] neg_lo:[0,0,1] neg_hi:[0,0,1]
	v_dot4c_i32_i8_e32 v149, v190, v5
	v_dot4c_i32_i8_e32 v147, v187, v7
	v_pk_fma_f32 v[30:31], v[144:145], v[152:153], v[30:31]
	v_dot4c_i32_i8_e32 v149, v190, v6
	v_dot4c_i32_i8_e32 v149, v190, v7
	v_mul_lo_u32 v152, v147, v206
	v_mov_b32_e32 v147, 0
	v_dot4c_i32_i8_e32 v147, v177, v0
	v_dot4c_i32_i8_e32 v149, v201, v0
	;; [unrolled: 1-line block ×8, first 2 shown]
	v_mov_b32_e32 v218, 0
	s_nop 0
	v_mad_u64_u32 v[152:153], s[18:19], v147, v204, v[152:153]
	v_cvt_f32_i32_e32 v151, v152
	v_cvt_f32_i32_e32 v153, v149
	;; [unrolled: 1-line block ×3, first 2 shown]
	v_mov_b32_e32 v147, 0
	v_dot4c_i32_i8_e32 v147, v200, v4
	v_dot4c_i32_i8_e32 v147, v197, v5
	v_pk_mul_f32 v[152:153], v[14:15], v[152:153] op_sel_hi:[0,1]
	v_pk_fma_f32 v[150:151], v[12:13], v[150:151], v[152:153] op_sel_hi:[0,1,1] neg_lo:[0,0,1] neg_hi:[0,0,1]
	v_mov_b32_e32 v152, 0
	v_dot4c_i32_i8_e32 v152, v203, v4
	v_dot4c_i32_i8_e32 v147, v198, v6
	;; [unrolled: 1-line block ×4, first 2 shown]
	v_pk_fma_f32 v[28:29], v[144:145], v[150:151], v[28:29]
	v_dot4c_i32_i8_e32 v152, v203, v6
	v_dot4c_i32_i8_e32 v152, v203, v7
	v_mul_lo_u32 v150, v147, v214
	v_mov_b32_e32 v147, 0
	v_dot4c_i32_i8_e32 v147, v193, v0
	v_dot4c_i32_i8_e32 v152, v211, v0
	;; [unrolled: 1-line block ×8, first 2 shown]
	v_mov_b32_e32 v217, 0
	s_nop 0
	v_mad_u64_u32 v[150:151], s[18:19], v147, v213, v[150:151]
	v_cvt_f32_i32_e32 v149, v150
	v_cvt_f32_i32_e32 v151, v152
	;; [unrolled: 1-line block ×3, first 2 shown]
	v_mov_b32_e32 v147, 0
	v_dot4c_i32_i8_e32 v147, v210, v4
	v_dot4c_i32_i8_e32 v147, v207, v5
	v_pk_mul_f32 v[150:151], v[142:143], v[150:151] op_sel_hi:[0,1]
	v_pk_fma_f32 v[148:149], v[140:141], v[148:149], v[150:151] op_sel_hi:[0,1,1] neg_lo:[0,0,1] neg_hi:[0,0,1]
	v_pk_fma_f32 v[26:27], v[144:145], v[148:149], v[26:27]
	v_mov_b32_e32 v148, 0
	v_dot4c_i32_i8_e32 v148, v212, v4
	v_dot4c_i32_i8_e32 v148, v212, v5
	;; [unrolled: 1-line block ×3, first 2 shown]
	v_mov_b32_e32 v5, 0
	v_dot4c_i32_i8_e32 v148, v212, v7
	v_dot4c_i32_i8_e32 v5, v181, v0
	;; [unrolled: 1-line block ×9, first 2 shown]
	v_mul_lo_u32 v4, v147, v215
	v_dot4c_i32_i8_e32 v5, v184, v3
	v_dot4c_i32_i8_e32 v148, v202, v3
	v_mov_b32_e32 v149, 0
	v_mov_b32_e32 v151, 0
	v_mad_u64_u32 v[0:1], s[18:19], v5, v205, v[4:5]
	v_cvt_f32_i32_e32 v147, v0
	v_cvt_f32_i32_e32 v1, v148
	;; [unrolled: 1-line block ×3, first 2 shown]
	v_pk_mul_f32 v[0:1], v[138:139], v[0:1] op_sel_hi:[0,1]
	v_pk_fma_f32 v[0:1], v[136:137], v[146:147], v[0:1] op_sel_hi:[0,1,1] neg_lo:[0,0,1] neg_hi:[0,0,1]
	v_pk_fma_f32 v[24:25], v[144:145], v[0:1], v[24:25]
	ds_read2_b32 v[144:145], v216 offset0:104 offset1:136
	ds_read_b128 v[4:7], v11 offset:23040
	ds_read_b128 v[0:3], v11 offset:23056
	v_mov_b32_e32 v146, 0
	v_mov_b32_e32 v147, 0
	;; [unrolled: 1-line block ×3, first 2 shown]
	s_waitcnt lgkmcnt(1)
	v_dot4c_i32_i8_e32 v146, v175, v4
	v_dot4c_i32_i8_e32 v146, v172, v5
	s_waitcnt lgkmcnt(0)
	v_dot4c_i32_i8_e32 v147, v15, v0
	v_dot4c_i32_i8_e32 v146, v173, v6
	;; [unrolled: 1-line block ×7, first 2 shown]
	v_mul_lo_u32 v146, v146, v192
	v_dot4c_i32_i8_e32 v217, v190, v4
	v_mad_u64_u32 v[146:147], s[18:19], v147, v191, v[146:147]
	v_cvt_f32_i32_e32 v152, v146
	v_mov_b32_e32 v146, 0
	v_dot4c_i32_i8_e32 v146, v188, v4
	v_mov_b32_e32 v147, 0
	v_dot4c_i32_i8_e32 v146, v185, v5
	v_dot4c_i32_i8_e32 v147, v177, v0
	;; [unrolled: 1-line block ×8, first 2 shown]
	v_mul_lo_u32 v146, v146, v206
	v_dot4c_i32_i8_e32 v216, v212, v4
	v_mad_u64_u32 v[146:147], s[18:19], v147, v204, v[146:147]
	v_cvt_f32_i32_e32 v150, v146
	v_mov_b32_e32 v146, 0
	v_dot4c_i32_i8_e32 v146, v200, v4
	v_mov_b32_e32 v147, 0
	v_dot4c_i32_i8_e32 v146, v197, v5
	v_dot4c_i32_i8_e32 v147, v193, v0
	v_dot4c_i32_i8_e32 v146, v198, v6
	v_dot4c_i32_i8_e32 v147, v194, v1
	v_dot4c_i32_i8_e32 v146, v199, v7
	v_dot4c_i32_i8_e32 v147, v195, v2
	v_dot4c_i32_i8_e32 v147, v196, v3
	v_dot4c_i32_i8_e32 v149, v176, v5
	v_mul_lo_u32 v146, v146, v214
	v_dot4c_i32_i8_e32 v217, v190, v5
	v_mad_u64_u32 v[146:147], s[18:19], v147, v213, v[146:147]
	v_cvt_f32_i32_e32 v148, v146
	v_mov_b32_e32 v146, 0
	v_dot4c_i32_i8_e32 v146, v210, v4
	v_dot4c_i32_i8_e32 v218, v203, v5
	;; [unrolled: 1-line block ×4, first 2 shown]
	v_mov_b32_e32 v5, 0
	v_dot4c_i32_i8_e32 v149, v176, v6
	v_dot4c_i32_i8_e32 v217, v190, v6
	;; [unrolled: 1-line block ×20, first 2 shown]
	v_mul_lo_u32 v4, v146, v215
	v_dot4c_i32_i8_e32 v216, v202, v1
	v_dot4c_i32_i8_e32 v5, v184, v3
	v_dot4c_i32_i8_e32 v149, v189, v2
	v_dot4c_i32_i8_e32 v217, v201, v2
	v_dot4c_i32_i8_e32 v218, v211, v2
	v_dot4c_i32_i8_e32 v216, v202, v2
	v_mad_u64_u32 v[0:1], s[18:19], v5, v205, v[4:5]
	v_dot4c_i32_i8_e32 v149, v189, v3
	v_dot4c_i32_i8_e32 v217, v201, v3
	;; [unrolled: 1-line block ×4, first 2 shown]
	v_cvt_f32_i32_e32 v146, v0
	ds_read_b128 v[4:7], v11 offset:24064
	ds_read_b128 v[0:3], v11 offset:24080
	v_mov_b32_e32 v147, 0
	s_waitcnt lgkmcnt(1)
	v_dot4c_i32_i8_e32 v147, v175, v4
	v_dot4c_i32_i8_e32 v147, v172, v5
	;; [unrolled: 1-line block ×8, first 2 shown]
	s_waitcnt lgkmcnt(0)
	v_dot4c_i32_i8_e32 v151, v189, v0
	v_mul_lo_u32 v172, v147, v192
	v_mov_b32_e32 v147, 0
	v_dot4c_i32_i8_e32 v147, v15, v0
	v_dot4c_i32_i8_e32 v147, v154, v1
	;; [unrolled: 1-line block ×7, first 2 shown]
	v_mov_b32_e32 v15, 0
	v_dot4c_i32_i8_e32 v15, v177, v0
	v_mad_u64_u32 v[154:155], s[18:19], v147, v191, v[172:173]
	v_cvt_f32_i32_e32 v153, v154
	v_cvt_f32_i32_e32 v155, v151
	v_cvt_f32_i32_e32 v154, v149
	v_dot4c_i32_i8_e32 v15, v178, v1
	v_dot4c_i32_i8_e32 v15, v179, v2
	;; [unrolled: 1-line block ×3, first 2 shown]
	v_pk_mul_f32 v[154:155], v[10:11], v[154:155] op_sel_hi:[0,1]
	v_mov_b32_e32 v10, 0
	v_dot4c_i32_i8_e32 v10, v190, v4
	v_pk_fma_f32 v[152:153], v[8:9], v[152:153], v[154:155] op_sel_hi:[0,1,1] neg_lo:[0,0,1] neg_hi:[0,0,1]
	v_mov_b32_e32 v8, 0
	v_dot4c_i32_i8_e32 v10, v190, v5
	v_dot4c_i32_i8_e32 v8, v188, v4
	;; [unrolled: 1-line block ×10, first 2 shown]
	v_pk_fma_f32 v[22:23], v[144:145], v[152:153], v[22:23]
	v_mul_lo_u32 v8, v8, v206
	v_dot4c_i32_i8_e32 v10, v201, v3
	v_mad_u64_u32 v[152:153], s[18:19], v15, v204, v[8:9]
	v_cvt_f32_i32_e32 v151, v152
	s_nop 0
	v_cvt_f32_i32_e32 v153, v10
	v_cvt_f32_i32_e32 v152, v217
	v_mov_b32_e32 v10, 0
	v_dot4c_i32_i8_e32 v10, v203, v4
	v_mov_b32_e32 v8, 0
	v_pk_mul_f32 v[14:15], v[14:15], v[152:153] op_sel_hi:[0,1]
	v_dot4c_i32_i8_e32 v10, v203, v5
	v_pk_fma_f32 v[14:15], v[12:13], v[150:151], v[14:15] op_sel_hi:[0,1,1] neg_lo:[0,0,1] neg_hi:[0,0,1]
	v_dot4c_i32_i8_e32 v8, v200, v4
	v_dot4c_i32_i8_e32 v10, v203, v6
	v_mov_b32_e32 v12, 0
	v_dot4c_i32_i8_e32 v8, v197, v5
	v_dot4c_i32_i8_e32 v10, v203, v7
	;; [unrolled: 1-line block ×10, first 2 shown]
	v_mul_lo_u32 v8, v8, v214
	v_dot4c_i32_i8_e32 v12, v196, v3
	v_pk_fma_f32 v[20:21], v[144:145], v[14:15], v[20:21]
	v_dot4c_i32_i8_e32 v10, v211, v3
	v_add_u32_e32 v13, 4, v13
	v_mad_u64_u32 v[14:15], s[18:19], v12, v213, v[8:9]
	s_nop 0
	v_cvt_f32_i32_e32 v15, v10
	v_mov_b32_e32 v10, 0
	v_mov_b32_e32 v8, 0
	v_dot4c_i32_i8_e32 v10, v212, v4
	v_dot4c_i32_i8_e32 v8, v210, v4
	;; [unrolled: 1-line block ×5, first 2 shown]
	v_mov_b32_e32 v5, 0
	v_dot4c_i32_i8_e32 v10, v212, v7
	v_dot4c_i32_i8_e32 v5, v181, v0
	;; [unrolled: 1-line block ×9, first 2 shown]
	v_mul_lo_u32 v4, v8, v215
	v_dot4c_i32_i8_e32 v5, v184, v3
	v_dot4c_i32_i8_e32 v10, v202, v3
	v_cvt_f32_i32_e32 v149, v14
	v_cvt_f32_i32_e32 v14, v218
	v_mad_u64_u32 v[0:1], s[18:19], v5, v205, v[4:5]
	v_cvt_f32_i32_e32 v147, v0
	v_cvt_f32_i32_e32 v1, v10
	;; [unrolled: 1-line block ×3, first 2 shown]
	v_pk_mul_f32 v[14:15], v[142:143], v[14:15] op_sel_hi:[0,1]
	v_pk_fma_f32 v[14:15], v[140:141], v[148:149], v[14:15] op_sel_hi:[0,1,1] neg_lo:[0,0,1] neg_hi:[0,0,1]
	v_pk_fma_f32 v[18:19], v[144:145], v[14:15], v[18:19]
	v_pk_mul_f32 v[0:1], v[138:139], v[0:1] op_sel_hi:[0,1]
	v_pk_fma_f32 v[0:1], v[136:137], v[146:147], v[0:1] op_sel_hi:[0,1,1] neg_lo:[0,0,1] neg_hi:[0,0,1]
	v_pk_fma_f32 v[16:17], v[144:145], v[0:1], v[16:17]
	v_add_u32_e32 v11, 32, v11
	s_cbranch_scc1 .LBB148_7
; %bb.8:                                ;   in Loop: Header=BB148_6 Depth=1
	v_add_u32_e32 v8, s8, v105
	v_add_u32_e32 v0, v8, v55
	;; [unrolled: 1-line block ×9, first 2 shown]
	v_mad_i64_i32 v[144:145], s[18:19], v8, 36, v[132:133]
	v_add_u32_e32 v8, 4, v9
	v_mad_i64_i32 v[0:1], s[18:19], v0, 36, v[132:133]
	v_mad_i64_i32 v[2:3], s[18:19], v2, 36, v[132:133]
	v_mad_i64_i32 v[4:5], s[18:19], v4, 36, v[132:133]
	v_mad_i64_i32 v[6:7], s[18:19], v6, 36, v[132:133]
	v_mad_u64_u32 v[146:147], s[18:19], v8, 36, s[2:3]
	s_barrier
	v_mad_i64_i32 v[10:11], s[18:19], v10, 36, v[132:133]
	v_mad_i64_i32 v[12:13], s[18:19], v12, 36, v[132:133]
	;; [unrolled: 1-line block ×3, first 2 shown]
	global_load_dword v8, v[146:147], off
	s_nop 0
	global_load_dword v0, v[0:1], off offset:4
	s_nop 0
	global_load_dword v1, v[2:3], off offset:4
	;; [unrolled: 2-line block ×3, first 2 shown]
	global_load_dword v3, v[6:7], off offset:4
	s_nop 0
	global_load_dword v4, v[10:11], off offset:4
	global_load_dword v5, v[12:13], off offset:4
	;; [unrolled: 1-line block ×4, first 2 shown]
	s_mov_b32 s9, 8
	s_mov_b32 s11, 0
	v_mov_b32_e32 v11, v159
	v_mov_b32_e32 v13, v158
	s_waitcnt vmcnt(8)
	v_cvt_f32_f16_e32 v8, v8
	s_waitcnt vmcnt(7)
	ds_write_b32 v59, v0
	s_waitcnt vmcnt(6)
	ds_write_b32 v63, v1
	;; [unrolled: 2-line block ×8, first 2 shown]
	ds_write_b32 v53, v8
	s_waitcnt lgkmcnt(0)
	s_barrier
.LBB148_9:                              ;   Parent Loop BB148_6 Depth=1
                                        ; =>  This Inner Loop Header: Depth=2
	s_add_i32 s17, s11, 8
	s_and_b32 s19, s17, 0x3ffffff8
	s_lshl_b32 s19, s19, 2
	v_add_u32_e32 v8, s19, v89
	ds_read2_b32 v[144:145], v13 offset1:32
	ds_read_b128 v[4:7], v11
	ds_read_b128 v[0:3], v11 offset:16
	ds_read2_b32 v[14:15], v8 offset1:1
	s_lshr_b32 s20, s17, 2
	s_and_b32 s18, s9, -16
	v_add_u32_e32 v136, s11, v121
	s_and_b32 s20, s20, 0x3ffffffc
	s_waitcnt lgkmcnt(0)
	v_ashrrev_i32_e32 v10, s11, v14
	v_and_b32_e32 v187, 0x3030303, v10
	v_ashrrev_i32_e32 v10, s11, v15
	ds_read2_b32 v[14:15], v8 offset0:2 offset1:3
	v_and_b32_e32 v184, 0x3030303, v10
	v_mov_b32_e32 v213, 0
	v_mov_b32_e32 v215, 0
	;; [unrolled: 1-line block ×3, first 2 shown]
	s_waitcnt lgkmcnt(0)
	v_ashrrev_i32_e32 v10, s11, v14
	v_and_b32_e32 v185, 0x3030303, v10
	v_ashrrev_i32_e32 v10, s11, v15
	ds_read2_b32 v[14:15], v8 offset0:4 offset1:5
	v_and_b32_e32 v186, 0x3030303, v10
	v_mov_b32_e32 v221, 0
	v_mov_b32_e32 v147, 0
	;; [unrolled: 1-line block ×3, first 2 shown]
	s_waitcnt lgkmcnt(0)
	v_ashrrev_i32_e32 v10, s11, v14
	v_and_b32_e32 v177, 0x3030303, v10
	v_ashrrev_i32_e32 v10, s11, v15
	ds_read2_b32 v[14:15], v8 offset0:6 offset1:7
	v_and_b32_e32 v178, 0x3030303, v10
	v_add_u32_e32 v10, s20, v91
	v_mov_b32_e32 v216, 0
	v_mov_b32_e32 v220, 0
	s_waitcnt lgkmcnt(0)
	v_ashrrev_i32_e32 v8, s11, v14
	v_and_b32_e32 v179, 0x3030303, v8
	v_ashrrev_i32_e32 v8, s11, v15
	v_and_b32_e32 v180, 0x3030303, v8
	v_add3_u32 v8, v157, s18, v136
	ds_read_b32 v10, v10
	ds_read_u16 v8, v8
	v_dot4c_i32_i8_e32 v147, v187, v4
	v_dot4c_i32_i8_e32 v147, v184, v5
	;; [unrolled: 1-line block ×3, first 2 shown]
	s_waitcnt lgkmcnt(1)
	v_cvt_f32_f16_sdwa v14, v10 dst_sel:DWORD dst_unused:UNUSED_PAD src0_sel:WORD_1
	s_waitcnt lgkmcnt(0)
	v_bfe_u32 v12, v8, 4, 4
	v_mul_lo_u32 v205, v12, s1
	v_and_b32_e32 v196, 15, v8
	v_lshrrev_b32_sdwa v12, v169, v8 dst_sel:DWORD dst_unused:UNUSED_PAD src0_sel:DWORD src1_sel:BYTE_1
	v_and_b32_sdwa v206, v8, v170 dst_sel:DWORD dst_unused:UNUSED_PAD src0_sel:BYTE_1 src1_sel:DWORD
	v_add_u32_e32 v8, s19, v93
	v_mul_lo_u32 v204, v12, s1
	v_mov_b32_e32 v12, 0
	ds_read2_b32 v[148:149], v8 offset1:1
	v_dot4c_i32_i8_e32 v12, v177, v0
	v_dot4c_i32_i8_e32 v12, v178, v1
	;; [unrolled: 1-line block ×7, first 2 shown]
	v_mul_lo_u32 v146, v206, v12
	v_cvt_f32_f16_e32 v12, v10
	s_waitcnt lgkmcnt(0)
	v_ashrrev_i32_e32 v10, s11, v148
	v_and_b32_e32 v201, 0x3030303, v10
	v_ashrrev_i32_e32 v10, s11, v149
	ds_read2_b32 v[148:149], v8 offset0:2 offset1:3
	v_and_b32_e32 v198, 0x3030303, v10
	v_dot4c_i32_i8_e32 v214, v201, v4
	v_dot4c_i32_i8_e32 v213, v205, v7
	;; [unrolled: 1-line block ×3, first 2 shown]
	s_waitcnt lgkmcnt(0)
	v_ashrrev_i32_e32 v10, s11, v148
	v_and_b32_e32 v199, 0x3030303, v10
	v_ashrrev_i32_e32 v10, s11, v149
	ds_read2_b32 v[148:149], v8 offset0:4 offset1:5
	v_and_b32_e32 v200, 0x3030303, v10
	v_dot4c_i32_i8_e32 v213, v204, v1
	v_dot4c_i32_i8_e32 v214, v198, v5
	;; [unrolled: 1-line block ×3, first 2 shown]
	s_waitcnt lgkmcnt(0)
	v_ashrrev_i32_e32 v10, s11, v148
	v_and_b32_e32 v191, 0x3030303, v10
	v_ashrrev_i32_e32 v10, s11, v149
	ds_read2_b32 v[148:149], v8 offset0:6 offset1:7
	v_and_b32_e32 v192, 0x3030303, v10
	v_add_u32_e32 v10, s20, v95
	v_dot4c_i32_i8_e32 v214, v199, v6
	v_dot4c_i32_i8_e32 v147, v186, v7
	s_waitcnt lgkmcnt(0)
	v_ashrrev_i32_e32 v8, s11, v148
	v_and_b32_e32 v193, 0x3030303, v8
	v_ashrrev_i32_e32 v8, s11, v149
	v_and_b32_e32 v194, 0x3030303, v8
	v_add3_u32 v8, v156, s18, v136
	ds_read_b32 v10, v10
	ds_read_u16 v8, v8
	v_dot4c_i32_i8_e32 v213, v204, v3
	v_dot4c_i32_i8_e32 v214, v200, v7
	v_mov_b32_e32 v222, 0
	s_waitcnt lgkmcnt(1)
	v_cvt_f32_f16_e32 v140, v10
	s_waitcnt lgkmcnt(0)
	v_bfe_u32 v15, v8, 4, 4
	v_mul_lo_u32 v203, v15, s1
	v_and_b32_e32 v209, 15, v8
	v_lshrrev_b32_sdwa v15, v169, v8 dst_sel:DWORD dst_unused:UNUSED_PAD src0_sel:DWORD src1_sel:BYTE_1
	v_and_b32_sdwa v212, v8, v170 dst_sel:DWORD dst_unused:UNUSED_PAD src0_sel:BYTE_1 src1_sel:DWORD
	v_add_u32_e32 v8, s19, v97
	ds_read2_b32 v[150:151], v8 offset1:1
	ds_read2_b32 v[152:153], v8 offset0:6 offset1:7
	v_cvt_f32_f16_sdwa v142, v10 dst_sel:DWORD dst_unused:UNUSED_PAD src0_sel:WORD_1
	v_mul_lo_u32 v211, v15, s1
	v_mov_b32_e32 v15, 0
	s_waitcnt lgkmcnt(1)
	v_ashrrev_i32_e32 v10, s11, v150
	v_and_b32_e32 v210, 0x3030303, v10
	v_ashrrev_i32_e32 v10, s11, v151
	ds_read2_b32 v[150:151], v8 offset0:2 offset1:3
	v_and_b32_e32 v154, 0x3030303, v10
	v_dot4c_i32_i8_e32 v15, v191, v0
	v_dot4c_i32_i8_e32 v15, v192, v1
	;; [unrolled: 1-line block ×3, first 2 shown]
	s_waitcnt lgkmcnt(0)
	v_ashrrev_i32_e32 v10, s11, v150
	v_and_b32_e32 v155, 0x3030303, v10
	v_ashrrev_i32_e32 v10, s11, v151
	ds_read2_b32 v[150:151], v8 offset0:4 offset1:5
	v_dot4c_i32_i8_e32 v15, v194, v3
	v_and_b32_e32 v171, 0x3030303, v10
	v_ashrrev_i32_e32 v8, s11, v152
	v_dot4c_i32_i8_e32 v215, v203, v4
	s_waitcnt lgkmcnt(0)
	v_ashrrev_i32_e32 v10, s11, v150
	v_mul_lo_u32 v148, v212, v15
	v_and_b32_e32 v15, 0x3030303, v10
	v_ashrrev_i32_e32 v10, s11, v151
	v_and_b32_e32 v151, 0x3030303, v8
	v_ashrrev_i32_e32 v8, s11, v153
	v_and_b32_e32 v149, 0x3030303, v10
	v_and_b32_e32 v153, 0x3030303, v8
	v_add3_u32 v8, v143, s18, v136
	v_add_u32_e32 v10, s20, v99
	ds_read_b32 v10, v10
	ds_read_u16 v8, v8
	v_add3_u32 v136, v141, s18, v136
	v_dot4c_i32_i8_e32 v215, v203, v5
	v_dot4c_i32_i8_e32 v216, v210, v4
	;; [unrolled: 1-line block ×3, first 2 shown]
	s_waitcnt lgkmcnt(0)
	v_bfe_u32 v138, v8, 4, 4
	v_mul_lo_u32 v176, v138, s1
	v_lshrrev_b32_sdwa v138, v169, v8 dst_sel:DWORD dst_unused:UNUSED_PAD src0_sel:DWORD src1_sel:BYTE_1
	v_mul_lo_u32 v195, v138, s1
	v_mov_b32_e32 v138, 0
	v_dot4c_i32_i8_e32 v138, v15, v0
	v_dot4c_i32_i8_e32 v138, v149, v1
	v_dot4c_i32_i8_e32 v138, v151, v2
	v_dot4c_i32_i8_e32 v138, v153, v3
	v_and_b32_sdwa v197, v8, v170 dst_sel:DWORD dst_unused:UNUSED_PAD src0_sel:BYTE_1 src1_sel:DWORD
	v_dot4c_i32_i8_e32 v217, v176, v4
	v_dot4c_i32_i8_e32 v217, v176, v5
	v_mul_lo_u32 v150, v197, v138
	v_add_u32_e32 v138, s19, v101
	ds_read2_b32 v[172:173], v138 offset1:1
	ds_read2_b32 v[174:175], v138 offset0:6 offset1:7
	v_dot4c_i32_i8_e32 v217, v176, v6
	v_dot4c_i32_i8_e32 v215, v203, v7
	;; [unrolled: 1-line block ×3, first 2 shown]
	s_waitcnt lgkmcnt(1)
	v_ashrrev_i32_e32 v152, s11, v172
	v_and_b32_e32 v189, 0x3030303, v152
	v_ashrrev_i32_e32 v152, s11, v173
	ds_read2_b32 v[172:173], v138 offset0:2 offset1:3
	v_and_b32_e32 v181, 0x3030303, v152
	v_dot4c_i32_i8_e32 v220, v189, v4
	v_dot4c_i32_i8_e32 v215, v211, v0
	;; [unrolled: 1-line block ×3, first 2 shown]
	s_waitcnt lgkmcnt(0)
	v_ashrrev_i32_e32 v152, s11, v172
	v_and_b32_e32 v182, 0x3030303, v152
	v_ashrrev_i32_e32 v152, s11, v173
	ds_read2_b32 v[172:173], v138 offset0:4 offset1:5
	v_ashrrev_i32_e32 v138, s11, v174
	v_and_b32_e32 v174, 0x3030303, v138
	v_ashrrev_i32_e32 v138, s11, v175
	v_and_b32_e32 v175, 0x3030303, v138
	v_add_u32_e32 v138, s20, v103
	ds_read_b32 v138, v138
	ds_read_u16 v136, v136
	v_and_b32_e32 v183, 0x3030303, v152
	s_waitcnt lgkmcnt(2)
	v_ashrrev_i32_e32 v152, s11, v172
	v_and_b32_e32 v172, 0x3030303, v152
	v_ashrrev_i32_e32 v152, s11, v173
	v_and_b32_e32 v173, 0x3030303, v152
	s_waitcnt lgkmcnt(0)
	v_bfe_u32 v152, v136, 4, 4
	v_mul_lo_u32 v190, v152, s1
	v_dot4c_i32_i8_e32 v221, v190, v4
	v_dot4c_i32_i8_e32 v221, v190, v5
	v_lshrrev_b32_sdwa v4, v169, v136 dst_sel:DWORD dst_unused:UNUSED_PAD src0_sel:DWORD src1_sel:BYTE_1
	v_dot4c_i32_i8_e32 v221, v190, v6
	v_mul_lo_u32 v207, v4, s1
	v_mov_b32_e32 v4, 0
	v_dot4c_i32_i8_e32 v221, v190, v7
	v_dot4c_i32_i8_e32 v4, v172, v0
	;; [unrolled: 1-line block ×16, first 2 shown]
	v_and_b32_sdwa v208, v136, v170 dst_sel:DWORD dst_unused:UNUSED_PAD src0_sel:BYTE_1 src1_sel:DWORD
	v_dot4c_i32_i8_e32 v215, v211, v3
	v_dot4c_i32_i8_e32 v216, v171, v7
	;; [unrolled: 1-line block ×5, first 2 shown]
	v_mul_lo_u32 v152, v208, v4
	ds_read_b128 v[4:7], v11 offset:1024
	ds_read_b128 v[0:3], v11 offset:1040
	v_mov_b32_e32 v218, 0
	v_mov_b32_e32 v219, 0
	v_mad_u64_u32 v[146:147], s[18:19], v196, v147, v[146:147]
	s_waitcnt lgkmcnt(1)
	v_dot4c_i32_i8_e32 v222, v205, v4
	v_dot4c_i32_i8_e32 v222, v205, v5
	;; [unrolled: 1-line block ×6, first 2 shown]
	s_waitcnt lgkmcnt(0)
	v_dot4c_i32_i8_e32 v219, v177, v0
	v_dot4c_i32_i8_e32 v218, v185, v6
	;; [unrolled: 1-line block ×8, first 2 shown]
	v_mul_lo_u32 v218, v218, v196
	v_dot4c_i32_i8_e32 v219, v180, v3
	v_dot4c_i32_i8_e32 v222, v204, v3
	v_cvt_f32_i32_e32 v147, v146
	v_cvt_f32_i32_e32 v215, v215
	v_mad_u64_u32 v[218:219], s[18:19], v219, v206, v[218:219]
	v_cvt_f32_i32_e32 v146, v218
	v_cvt_f32_i32_e32 v219, v213
	;; [unrolled: 1-line block ×3, first 2 shown]
	v_mov_b32_e32 v213, 0
	v_dot4c_i32_i8_e32 v213, v203, v4
	v_dot4c_i32_i8_e32 v213, v203, v5
	v_pk_mul_f32 v[218:219], v[14:15], v[218:219] op_sel_hi:[0,1]
	v_pk_fma_f32 v[218:219], v[12:13], v[146:147], v[218:219] op_sel_hi:[0,1,1] neg_lo:[0,0,1] neg_hi:[0,0,1]
	v_mov_b32_e32 v147, v144
	v_mov_b32_e32 v144, 0
	v_dot4c_i32_i8_e32 v213, v203, v6
	v_mov_b32_e32 v146, v145
	v_dot4c_i32_i8_e32 v144, v201, v4
	v_dot4c_i32_i8_e32 v213, v203, v7
	v_mov_b32_e32 v145, 0
	v_dot4c_i32_i8_e32 v144, v198, v5
	v_dot4c_i32_i8_e32 v145, v191, v0
	;; [unrolled: 1-line block ×10, first 2 shown]
	v_mul_lo_u32 v144, v144, v209
	v_dot4c_i32_i8_e32 v213, v211, v3
	v_pk_fma_f32 v[124:125], v[146:147], v[218:219], v[124:125]
	v_mad_u64_u32 v[144:145], s[18:19], v145, v212, v[144:145]
	v_mad_u64_u32 v[218:219], s[18:19], v209, v214, v[148:149]
	v_cvt_f32_i32_e32 v214, v213
	v_cvt_f32_i32_e32 v145, v218
	;; [unrolled: 1-line block ×3, first 2 shown]
	v_mov_b32_e32 v148, 0
	v_pk_mul_f32 v[214:215], v[142:143], v[214:215] op_sel_hi:[0,1]
	v_dot4c_i32_i8_e32 v148, v176, v4
	v_pk_fma_f32 v[144:145], v[140:141], v[144:145], v[214:215] op_sel_hi:[0,1,1] neg_lo:[0,0,1] neg_hi:[0,0,1]
	v_pk_fma_f32 v[122:123], v[146:147], v[144:145], v[122:123]
	v_mov_b32_e32 v144, 0
	v_dot4c_i32_i8_e32 v148, v176, v5
	v_dot4c_i32_i8_e32 v144, v210, v4
	;; [unrolled: 1-line block ×3, first 2 shown]
	v_mov_b32_e32 v145, 0
	v_dot4c_i32_i8_e32 v144, v154, v5
	v_dot4c_i32_i8_e32 v148, v176, v7
	;; [unrolled: 1-line block ×6, first 2 shown]
	v_and_b32_e32 v188, 15, v8
	v_dot4c_i32_i8_e32 v144, v171, v7
	v_dot4c_i32_i8_e32 v148, v195, v1
	;; [unrolled: 1-line block ×4, first 2 shown]
	v_mul_lo_u32 v144, v144, v188
	v_dot4c_i32_i8_e32 v145, v153, v3
	v_dot4c_i32_i8_e32 v148, v195, v3
	v_mad_u64_u32 v[214:215], s[18:19], v188, v216, v[150:151]
	s_nop 0
	v_mad_u64_u32 v[144:145], s[18:19], v145, v197, v[144:145]
	v_cvt_f32_f16_e32 v8, v10
	v_cvt_f32_f16_sdwa v10, v10 dst_sel:DWORD dst_unused:UNUSED_PAD src0_sel:WORD_1
	v_cvt_f32_i32_e32 v145, v214
	v_cvt_f32_i32_e32 v215, v217
	;; [unrolled: 1-line block ×4, first 2 shown]
	v_and_b32_e32 v202, 15, v136
	v_cvt_f32_f16_e32 v136, v138
	v_pk_mul_f32 v[214:215], v[10:11], v[214:215] op_sel_hi:[0,1]
	v_pk_fma_f32 v[144:145], v[8:9], v[144:145], v[214:215] op_sel_hi:[0,1,1] neg_lo:[0,0,1] neg_hi:[0,0,1]
	v_pk_fma_f32 v[114:115], v[146:147], v[144:145], v[114:115]
	v_mov_b32_e32 v145, 0
	v_mov_b32_e32 v144, 0
	v_dot4c_i32_i8_e32 v145, v190, v4
	v_dot4c_i32_i8_e32 v144, v189, v4
	;; [unrolled: 1-line block ×5, first 2 shown]
	v_mov_b32_e32 v5, 0
	v_dot4c_i32_i8_e32 v145, v190, v7
	v_dot4c_i32_i8_e32 v5, v172, v0
	;; [unrolled: 1-line block ×9, first 2 shown]
	v_mul_lo_u32 v4, v144, v202
	v_dot4c_i32_i8_e32 v5, v175, v3
	v_dot4c_i32_i8_e32 v145, v207, v3
	v_mad_u64_u32 v[2:3], s[18:19], v202, v220, v[152:153]
	s_nop 0
	v_mad_u64_u32 v[0:1], s[18:19], v5, v208, v[4:5]
	v_cvt_f32_f16_sdwa v138, v138 dst_sel:DWORD dst_unused:UNUSED_PAD src0_sel:WORD_1
	v_cvt_f32_i32_e32 v1, v2
	v_cvt_f32_i32_e32 v3, v221
	;; [unrolled: 1-line block ×4, first 2 shown]
	v_mov_b32_e32 v213, 0
	v_mov_b32_e32 v219, 0
	v_pk_mul_f32 v[2:3], v[138:139], v[2:3] op_sel_hi:[0,1]
	v_pk_fma_f32 v[0:1], v[136:137], v[0:1], v[2:3] op_sel_hi:[0,1,1] neg_lo:[0,0,1] neg_hi:[0,0,1]
	v_pk_fma_f32 v[110:111], v[146:147], v[0:1], v[110:111]
	ds_read2_b32 v[144:145], v13 offset0:64 offset1:96
	ds_read_b128 v[0:3], v11 offset:2048
	ds_read_b128 v[4:7], v11 offset:2064
	v_mov_b32_e32 v146, 0
	v_mov_b32_e32 v221, 0
	;; [unrolled: 1-line block ×3, first 2 shown]
	s_waitcnt lgkmcnt(1)
	v_dot4c_i32_i8_e32 v213, v205, v0
	s_waitcnt lgkmcnt(0)
	v_dot4c_i32_i8_e32 v146, v177, v4
	v_dot4c_i32_i8_e32 v146, v178, v5
	;; [unrolled: 1-line block ×7, first 2 shown]
	v_mul_lo_u32 v152, v146, v206
	v_mov_b32_e32 v146, 0
	v_dot4c_i32_i8_e32 v146, v191, v4
	v_dot4c_i32_i8_e32 v146, v192, v5
	;; [unrolled: 1-line block ×3, first 2 shown]
	v_mov_b32_e32 v147, 0
	v_dot4c_i32_i8_e32 v213, v205, v1
	v_mov_b32_e32 v218, 0
	v_dot4c_i32_i8_e32 v219, v203, v1
	v_dot4c_i32_i8_e32 v146, v194, v7
	v_mov_b32_e32 v220, 0
	v_dot4c_i32_i8_e32 v221, v176, v1
	v_mov_b32_e32 v222, 0
	v_dot4c_i32_i8_e32 v223, v190, v1
	v_dot4c_i32_i8_e32 v147, v187, v0
	v_dot4c_i32_i8_e32 v213, v205, v2
	v_dot4c_i32_i8_e32 v218, v201, v0
	v_dot4c_i32_i8_e32 v219, v203, v2
	v_mul_lo_u32 v150, v146, v212
	v_dot4c_i32_i8_e32 v220, v210, v0
	v_dot4c_i32_i8_e32 v221, v176, v2
	v_mov_b32_e32 v146, 0
	v_dot4c_i32_i8_e32 v222, v189, v0
	v_dot4c_i32_i8_e32 v223, v190, v2
	v_mov_b32_e32 v0, 0
	v_dot4c_i32_i8_e32 v213, v205, v3
	v_dot4c_i32_i8_e32 v219, v203, v3
	;; [unrolled: 1-line block ×38, first 2 shown]
	v_mul_lo_u32 v148, v146, v197
	v_dot4c_i32_i8_e32 v222, v183, v3
	v_dot4c_i32_i8_e32 v223, v207, v7
	v_mul_lo_u32 v146, v0, v208
	ds_read_b128 v[4:7], v11 offset:3072
	ds_read_b128 v[0:3], v11 offset:3088
	v_mov_b32_e32 v224, 0
	v_mov_b32_e32 v214, 0
	;; [unrolled: 1-line block ×3, first 2 shown]
	s_waitcnt lgkmcnt(1)
	v_dot4c_i32_i8_e32 v224, v205, v4
	v_dot4c_i32_i8_e32 v214, v187, v4
	;; [unrolled: 1-line block ×5, first 2 shown]
	s_waitcnt lgkmcnt(0)
	v_dot4c_i32_i8_e32 v215, v177, v0
	v_dot4c_i32_i8_e32 v214, v185, v6
	;; [unrolled: 1-line block ×4, first 2 shown]
	v_mad_u64_u32 v[216:217], s[18:19], v147, v196, v[152:153]
	v_mov_b32_e32 v147, 0
	v_dot4c_i32_i8_e32 v214, v186, v7
	v_dot4c_i32_i8_e32 v224, v204, v0
	;; [unrolled: 1-line block ×4, first 2 shown]
	v_mul_lo_u32 v214, v214, v196
	v_dot4c_i32_i8_e32 v224, v204, v1
	v_dot4c_i32_i8_e32 v215, v180, v3
	;; [unrolled: 1-line block ×5, first 2 shown]
	v_mad_u64_u32 v[214:215], s[18:19], v215, v206, v[214:215]
	v_dot4c_i32_i8_e32 v224, v204, v3
	v_cvt_f32_i32_e32 v215, v214
	v_cvt_f32_i32_e32 v214, v216
	;; [unrolled: 1-line block ×3, first 2 shown]
	v_mov_b32_e32 v213, 0
	v_dot4c_i32_i8_e32 v147, v200, v7
	v_cvt_f32_i32_e32 v217, v224
	v_dot4c_i32_i8_e32 v213, v203, v4
	v_dot4c_i32_i8_e32 v213, v203, v5
	v_mul_lo_u32 v152, v147, v209
	v_mov_b32_e32 v147, 0
	v_dot4c_i32_i8_e32 v147, v191, v0
	v_dot4c_i32_i8_e32 v213, v203, v6
	;; [unrolled: 1-line block ×5, first 2 shown]
	v_pk_mul_f32 v[216:217], v[14:15], v[216:217] op_sel_hi:[0,1]
	v_dot4c_i32_i8_e32 v213, v211, v0
	v_dot4c_i32_i8_e32 v147, v194, v3
	v_pk_fma_f32 v[214:215], v[12:13], v[214:215], v[216:217] op_sel_hi:[0,1,1] neg_lo:[0,0,1] neg_hi:[0,0,1]
	v_dot4c_i32_i8_e32 v213, v211, v1
	v_dot4c_i32_i8_e32 v213, v211, v2
	v_mad_u64_u32 v[216:217], s[18:19], v147, v212, v[152:153]
	v_mov_b32_e32 v147, 0
	v_dot4c_i32_i8_e32 v147, v210, v4
	v_pk_fma_f32 v[38:39], v[144:145], v[214:215], v[38:39]
	v_dot4c_i32_i8_e32 v213, v211, v3
	v_mad_u64_u32 v[214:215], s[18:19], v218, v209, v[150:151]
	v_dot4c_i32_i8_e32 v147, v154, v5
	v_cvt_f32_i32_e32 v215, v216
	v_cvt_f32_i32_e32 v217, v213
	;; [unrolled: 1-line block ×3, first 2 shown]
	v_dot4c_i32_i8_e32 v147, v155, v6
	v_cvt_f32_i32_e32 v214, v214
	v_dot4c_i32_i8_e32 v147, v171, v7
	v_pk_mul_f32 v[216:217], v[142:143], v[216:217] op_sel_hi:[0,1]
	v_mov_b32_e32 v152, 0
	v_pk_fma_f32 v[214:215], v[140:141], v[214:215], v[216:217] op_sel_hi:[0,1,1] neg_lo:[0,0,1] neg_hi:[0,0,1]
	v_mul_lo_u32 v150, v147, v188
	v_mov_b32_e32 v147, 0
	v_dot4c_i32_i8_e32 v147, v15, v0
	v_dot4c_i32_i8_e32 v147, v149, v1
	;; [unrolled: 1-line block ×3, first 2 shown]
	v_pk_fma_f32 v[36:37], v[144:145], v[214:215], v[36:37]
	v_dot4c_i32_i8_e32 v147, v153, v3
	v_mad_u64_u32 v[214:215], s[18:19], v220, v188, v[148:149]
	v_mov_b32_e32 v148, 0
	v_dot4c_i32_i8_e32 v152, v176, v4
	v_mad_u64_u32 v[216:217], s[18:19], v147, v197, v[150:151]
	v_mov_b32_e32 v147, 0
	v_dot4c_i32_i8_e32 v148, v190, v4
	v_dot4c_i32_i8_e32 v152, v176, v5
	;; [unrolled: 1-line block ×7, first 2 shown]
	v_mov_b32_e32 v5, 0
	v_dot4c_i32_i8_e32 v152, v176, v7
	v_dot4c_i32_i8_e32 v148, v190, v7
	;; [unrolled: 1-line block ×12, first 2 shown]
	v_mul_lo_u32 v4, v147, v202
	v_dot4c_i32_i8_e32 v148, v207, v2
	v_dot4c_i32_i8_e32 v5, v175, v3
	;; [unrolled: 1-line block ×4, first 2 shown]
	v_mad_u64_u32 v[0:1], s[18:19], v222, v202, v[146:147]
	v_mad_u64_u32 v[2:3], s[18:19], v5, v208, v[4:5]
	v_cvt_f32_i32_e32 v215, v216
	v_cvt_f32_i32_e32 v217, v152
	;; [unrolled: 1-line block ×8, first 2 shown]
	v_pk_mul_f32 v[216:217], v[10:11], v[216:217] op_sel_hi:[0,1]
	v_pk_mul_f32 v[2:3], v[138:139], v[2:3] op_sel_hi:[0,1]
	v_pk_fma_f32 v[214:215], v[8:9], v[214:215], v[216:217] op_sel_hi:[0,1,1] neg_lo:[0,0,1] neg_hi:[0,0,1]
	v_pk_fma_f32 v[0:1], v[136:137], v[0:1], v[2:3] op_sel_hi:[0,1,1] neg_lo:[0,0,1] neg_hi:[0,0,1]
	v_pk_fma_f32 v[34:35], v[144:145], v[214:215], v[34:35]
	v_pk_fma_f32 v[32:33], v[144:145], v[0:1], v[32:33]
	ds_read2_b32 v[144:145], v13 offset0:128 offset1:160
	ds_read_b128 v[0:3], v11 offset:4096
	ds_read_b128 v[4:7], v11 offset:4112
	v_mov_b32_e32 v146, 0
	v_mov_b32_e32 v213, 0
	;; [unrolled: 1-line block ×4, first 2 shown]
	s_waitcnt lgkmcnt(0)
	v_dot4c_i32_i8_e32 v146, v177, v4
	v_dot4c_i32_i8_e32 v146, v178, v5
	v_dot4c_i32_i8_e32 v146, v179, v6
	v_dot4c_i32_i8_e32 v146, v180, v7
	v_mov_b32_e32 v223, 0
	v_dot4c_i32_i8_e32 v213, v205, v0
	v_dot4c_i32_i8_e32 v219, v203, v0
	v_mul_lo_u32 v152, v146, v206
	v_mov_b32_e32 v146, 0
	v_dot4c_i32_i8_e32 v146, v191, v4
	v_dot4c_i32_i8_e32 v146, v192, v5
	;; [unrolled: 1-line block ×5, first 2 shown]
	v_mov_b32_e32 v147, 0
	v_dot4c_i32_i8_e32 v213, v205, v1
	v_mov_b32_e32 v218, 0
	v_dot4c_i32_i8_e32 v219, v203, v1
	v_dot4c_i32_i8_e32 v146, v194, v7
	v_mov_b32_e32 v220, 0
	v_dot4c_i32_i8_e32 v221, v176, v1
	v_mov_b32_e32 v222, 0
	v_dot4c_i32_i8_e32 v223, v190, v1
	v_dot4c_i32_i8_e32 v147, v187, v0
	;; [unrolled: 1-line block ×5, first 2 shown]
	v_mul_lo_u32 v150, v146, v212
	v_dot4c_i32_i8_e32 v220, v210, v0
	v_dot4c_i32_i8_e32 v221, v176, v2
	v_mov_b32_e32 v146, 0
	v_dot4c_i32_i8_e32 v222, v189, v0
	v_dot4c_i32_i8_e32 v223, v190, v2
	v_mov_b32_e32 v0, 0
	v_dot4c_i32_i8_e32 v213, v205, v3
	v_dot4c_i32_i8_e32 v219, v203, v3
	;; [unrolled: 1-line block ×38, first 2 shown]
	v_mul_lo_u32 v148, v146, v197
	v_dot4c_i32_i8_e32 v222, v183, v3
	v_dot4c_i32_i8_e32 v223, v207, v7
	v_mul_lo_u32 v146, v0, v208
	ds_read_b128 v[4:7], v11 offset:5120
	ds_read_b128 v[0:3], v11 offset:5136
	v_mov_b32_e32 v224, 0
	v_mov_b32_e32 v214, 0
	;; [unrolled: 1-line block ×3, first 2 shown]
	s_waitcnt lgkmcnt(1)
	v_dot4c_i32_i8_e32 v224, v205, v4
	v_dot4c_i32_i8_e32 v214, v187, v4
	;; [unrolled: 1-line block ×5, first 2 shown]
	s_waitcnt lgkmcnt(0)
	v_dot4c_i32_i8_e32 v215, v177, v0
	v_dot4c_i32_i8_e32 v214, v185, v6
	;; [unrolled: 1-line block ×4, first 2 shown]
	v_mad_u64_u32 v[216:217], s[18:19], v147, v196, v[152:153]
	v_mov_b32_e32 v147, 0
	v_dot4c_i32_i8_e32 v214, v186, v7
	v_dot4c_i32_i8_e32 v224, v204, v0
	;; [unrolled: 1-line block ×4, first 2 shown]
	v_mul_lo_u32 v214, v214, v196
	v_dot4c_i32_i8_e32 v224, v204, v1
	v_dot4c_i32_i8_e32 v215, v180, v3
	;; [unrolled: 1-line block ×5, first 2 shown]
	v_mad_u64_u32 v[214:215], s[18:19], v215, v206, v[214:215]
	v_dot4c_i32_i8_e32 v224, v204, v3
	v_cvt_f32_i32_e32 v215, v214
	v_cvt_f32_i32_e32 v214, v216
	;; [unrolled: 1-line block ×3, first 2 shown]
	v_mov_b32_e32 v213, 0
	v_dot4c_i32_i8_e32 v147, v200, v7
	v_cvt_f32_i32_e32 v217, v224
	v_dot4c_i32_i8_e32 v213, v203, v4
	v_dot4c_i32_i8_e32 v213, v203, v5
	v_mul_lo_u32 v152, v147, v209
	v_mov_b32_e32 v147, 0
	v_dot4c_i32_i8_e32 v147, v191, v0
	v_dot4c_i32_i8_e32 v213, v203, v6
	;; [unrolled: 1-line block ×5, first 2 shown]
	v_pk_mul_f32 v[216:217], v[14:15], v[216:217] op_sel_hi:[0,1]
	v_dot4c_i32_i8_e32 v213, v211, v0
	v_dot4c_i32_i8_e32 v147, v194, v3
	v_pk_fma_f32 v[214:215], v[12:13], v[214:215], v[216:217] op_sel_hi:[0,1,1] neg_lo:[0,0,1] neg_hi:[0,0,1]
	v_dot4c_i32_i8_e32 v213, v211, v1
	v_dot4c_i32_i8_e32 v213, v211, v2
	v_mad_u64_u32 v[216:217], s[18:19], v147, v212, v[152:153]
	v_mov_b32_e32 v147, 0
	v_dot4c_i32_i8_e32 v147, v210, v4
	v_pk_fma_f32 v[30:31], v[144:145], v[214:215], v[30:31]
	v_dot4c_i32_i8_e32 v213, v211, v3
	v_mad_u64_u32 v[214:215], s[18:19], v218, v209, v[150:151]
	v_dot4c_i32_i8_e32 v147, v154, v5
	v_cvt_f32_i32_e32 v215, v216
	v_cvt_f32_i32_e32 v217, v213
	;; [unrolled: 1-line block ×3, first 2 shown]
	v_dot4c_i32_i8_e32 v147, v155, v6
	v_cvt_f32_i32_e32 v214, v214
	v_dot4c_i32_i8_e32 v147, v171, v7
	v_pk_mul_f32 v[216:217], v[142:143], v[216:217] op_sel_hi:[0,1]
	v_mov_b32_e32 v152, 0
	v_pk_fma_f32 v[214:215], v[140:141], v[214:215], v[216:217] op_sel_hi:[0,1,1] neg_lo:[0,0,1] neg_hi:[0,0,1]
	v_mul_lo_u32 v150, v147, v188
	v_mov_b32_e32 v147, 0
	v_dot4c_i32_i8_e32 v147, v15, v0
	v_dot4c_i32_i8_e32 v147, v149, v1
	;; [unrolled: 1-line block ×3, first 2 shown]
	v_pk_fma_f32 v[28:29], v[144:145], v[214:215], v[28:29]
	v_dot4c_i32_i8_e32 v147, v153, v3
	v_mad_u64_u32 v[214:215], s[18:19], v220, v188, v[148:149]
	v_mov_b32_e32 v148, 0
	v_dot4c_i32_i8_e32 v152, v176, v4
	v_mad_u64_u32 v[216:217], s[18:19], v147, v197, v[150:151]
	v_mov_b32_e32 v147, 0
	v_dot4c_i32_i8_e32 v148, v190, v4
	v_dot4c_i32_i8_e32 v152, v176, v5
	;; [unrolled: 1-line block ×7, first 2 shown]
	v_mov_b32_e32 v5, 0
	v_dot4c_i32_i8_e32 v152, v176, v7
	v_dot4c_i32_i8_e32 v148, v190, v7
	v_dot4c_i32_i8_e32 v5, v172, v0
	v_dot4c_i32_i8_e32 v152, v195, v0
	v_dot4c_i32_i8_e32 v147, v182, v6
	v_dot4c_i32_i8_e32 v148, v207, v0
	v_dot4c_i32_i8_e32 v5, v173, v1
	v_dot4c_i32_i8_e32 v152, v195, v1
	v_dot4c_i32_i8_e32 v147, v183, v7
	v_dot4c_i32_i8_e32 v148, v207, v1
	v_dot4c_i32_i8_e32 v5, v174, v2
	v_dot4c_i32_i8_e32 v152, v195, v2
	v_mul_lo_u32 v4, v147, v202
	v_dot4c_i32_i8_e32 v148, v207, v2
	v_dot4c_i32_i8_e32 v5, v175, v3
	;; [unrolled: 1-line block ×4, first 2 shown]
	v_mad_u64_u32 v[0:1], s[18:19], v222, v202, v[146:147]
	v_mad_u64_u32 v[2:3], s[18:19], v5, v208, v[4:5]
	v_cvt_f32_i32_e32 v215, v216
	v_cvt_f32_i32_e32 v217, v152
	v_cvt_f32_i32_e32 v216, v221
	v_cvt_f32_i32_e32 v1, v2
	v_cvt_f32_i32_e32 v3, v148
	v_cvt_f32_i32_e32 v2, v223
	v_cvt_f32_i32_e32 v214, v214
	v_cvt_f32_i32_e32 v0, v0
	v_pk_mul_f32 v[216:217], v[10:11], v[216:217] op_sel_hi:[0,1]
	v_pk_mul_f32 v[2:3], v[138:139], v[2:3] op_sel_hi:[0,1]
	v_pk_fma_f32 v[214:215], v[8:9], v[214:215], v[216:217] op_sel_hi:[0,1,1] neg_lo:[0,0,1] neg_hi:[0,0,1]
	v_pk_fma_f32 v[0:1], v[136:137], v[0:1], v[2:3] op_sel_hi:[0,1,1] neg_lo:[0,0,1] neg_hi:[0,0,1]
	v_pk_fma_f32 v[26:27], v[144:145], v[214:215], v[26:27]
	v_pk_fma_f32 v[24:25], v[144:145], v[0:1], v[24:25]
	ds_read2_b32 v[144:145], v13 offset0:192 offset1:224
	ds_read_b128 v[0:3], v11 offset:6144
	ds_read_b128 v[4:7], v11 offset:6160
	v_mov_b32_e32 v146, 0
	v_mov_b32_e32 v217, 0
	v_mov_b32_e32 v219, 0
	v_mov_b32_e32 v214, 0
	s_waitcnt lgkmcnt(0)
	v_dot4c_i32_i8_e32 v146, v177, v4
	v_dot4c_i32_i8_e32 v146, v178, v5
	;; [unrolled: 1-line block ×4, first 2 shown]
	v_mov_b32_e32 v147, 0
	v_dot4c_i32_i8_e32 v217, v205, v0
	v_dot4c_i32_i8_e32 v219, v203, v0
	v_mul_lo_u32 v152, v146, v206
	v_mov_b32_e32 v146, 0
	v_dot4c_i32_i8_e32 v146, v191, v4
	v_dot4c_i32_i8_e32 v146, v192, v5
	;; [unrolled: 1-line block ×5, first 2 shown]
	v_mov_b32_e32 v216, 0
	v_dot4c_i32_i8_e32 v217, v205, v1
	v_mov_b32_e32 v218, 0
	v_dot4c_i32_i8_e32 v219, v203, v1
	v_dot4c_i32_i8_e32 v146, v194, v7
	v_mov_b32_e32 v215, 0
	v_dot4c_i32_i8_e32 v214, v176, v1
	v_mov_b32_e32 v213, 0
	v_dot4c_i32_i8_e32 v147, v190, v1
	v_dot4c_i32_i8_e32 v216, v187, v0
	;; [unrolled: 1-line block ×5, first 2 shown]
	v_mul_lo_u32 v150, v146, v212
	v_dot4c_i32_i8_e32 v215, v210, v0
	v_dot4c_i32_i8_e32 v214, v176, v2
	v_mov_b32_e32 v146, 0
	v_dot4c_i32_i8_e32 v213, v189, v0
	v_dot4c_i32_i8_e32 v147, v190, v2
	v_mov_b32_e32 v0, 0
	v_dot4c_i32_i8_e32 v217, v205, v3
	v_dot4c_i32_i8_e32 v219, v203, v3
	;; [unrolled: 1-line block ×38, first 2 shown]
	v_mul_lo_u32 v148, v146, v197
	v_dot4c_i32_i8_e32 v213, v183, v3
	v_dot4c_i32_i8_e32 v147, v207, v7
	v_mul_lo_u32 v146, v0, v208
	ds_read_b128 v[4:7], v11 offset:7168
	ds_read_b128 v[0:3], v11 offset:7184
	v_mov_b32_e32 v220, 0
	s_add_i32 s9, s9, 2
	s_add_i32 s11, s11, 2
	s_waitcnt lgkmcnt(1)
	v_dot4c_i32_i8_e32 v220, v187, v4
	v_mov_b32_e32 v187, 0
	v_dot4c_i32_i8_e32 v187, v205, v4
	v_dot4c_i32_i8_e32 v220, v184, v5
	;; [unrolled: 1-line block ×5, first 2 shown]
	v_mov_b32_e32 v185, 0
	v_dot4c_i32_i8_e32 v187, v205, v7
	s_waitcnt lgkmcnt(0)
	v_dot4c_i32_i8_e32 v185, v177, v0
	v_dot4c_i32_i8_e32 v187, v204, v0
	;; [unrolled: 1-line block ×7, first 2 shown]
	v_mul_lo_u32 v184, v220, v196
	v_dot4c_i32_i8_e32 v185, v180, v3
	v_dot4c_i32_i8_e32 v187, v204, v3
	v_mad_u64_u32 v[178:179], s[18:19], v216, v196, v[152:153]
	s_nop 0
	v_mad_u64_u32 v[184:185], s[18:19], v185, v206, v[184:185]
	v_cvt_f32_i32_e32 v179, v184
	v_cvt_f32_i32_e32 v185, v187
	;; [unrolled: 1-line block ×4, first 2 shown]
	v_mov_b32_e32 v152, 0
	v_dot4c_i32_i8_e32 v152, v191, v0
	v_pk_mul_f32 v[184:185], v[14:15], v[184:185] op_sel_hi:[0,1]
	v_mov_b32_e32 v14, 0
	v_dot4c_i32_i8_e32 v14, v203, v4
	v_pk_fma_f32 v[178:179], v[12:13], v[178:179], v[184:185] op_sel_hi:[0,1,1] neg_lo:[0,0,1] neg_hi:[0,0,1]
	v_mov_b32_e32 v12, 0
	v_dot4c_i32_i8_e32 v14, v203, v5
	v_dot4c_i32_i8_e32 v12, v201, v4
	;; [unrolled: 1-line block ×12, first 2 shown]
	v_mul_lo_u32 v12, v12, v209
	v_dot4c_i32_i8_e32 v152, v194, v3
	v_pk_fma_f32 v[22:23], v[144:145], v[178:179], v[22:23]
	v_dot4c_i32_i8_e32 v14, v211, v3
	v_mad_u64_u32 v[178:179], s[18:19], v218, v209, v[150:151]
	v_mad_u64_u32 v[184:185], s[18:19], v152, v212, v[12:13]
	v_cvt_f32_i32_e32 v179, v184
	v_cvt_f32_i32_e32 v185, v14
	;; [unrolled: 1-line block ×4, first 2 shown]
	v_mov_b32_e32 v12, 0
	v_dot4c_i32_i8_e32 v12, v210, v4
	v_pk_mul_f32 v[184:185], v[142:143], v[184:185] op_sel_hi:[0,1]
	v_pk_fma_f32 v[178:179], v[140:141], v[178:179], v[184:185] op_sel_hi:[0,1,1] neg_lo:[0,0,1] neg_hi:[0,0,1]
	v_mov_b32_e32 v140, 0
	v_dot4c_i32_i8_e32 v140, v176, v4
	v_dot4c_i32_i8_e32 v140, v176, v5
	v_dot4c_i32_i8_e32 v140, v176, v6
	v_mov_b32_e32 v142, 0
	v_dot4c_i32_i8_e32 v12, v154, v5
	v_dot4c_i32_i8_e32 v140, v176, v7
	;; [unrolled: 1-line block ×10, first 2 shown]
	v_mul_lo_u32 v12, v12, v188
	v_dot4c_i32_i8_e32 v142, v153, v3
	v_dot4c_i32_i8_e32 v140, v195, v3
	v_mad_u64_u32 v[14:15], s[18:19], v215, v188, v[148:149]
	s_nop 0
	v_mad_u64_u32 v[148:149], s[18:19], v142, v197, v[12:13]
	v_cvt_f32_i32_e32 v15, v148
	v_cvt_f32_i32_e32 v149, v140
	;; [unrolled: 1-line block ×4, first 2 shown]
	v_pk_fma_f32 v[20:21], v[144:145], v[178:179], v[20:21]
	v_add_u32_e32 v13, 4, v13
	v_pk_mul_f32 v[148:149], v[10:11], v[148:149] op_sel_hi:[0,1]
	v_mov_b32_e32 v10, 0
	v_pk_fma_f32 v[14:15], v[8:9], v[14:15], v[148:149] op_sel_hi:[0,1,1] neg_lo:[0,0,1] neg_hi:[0,0,1]
	v_mov_b32_e32 v8, 0
	v_dot4c_i32_i8_e32 v10, v190, v4
	v_dot4c_i32_i8_e32 v8, v189, v4
	;; [unrolled: 1-line block ×5, first 2 shown]
	v_mov_b32_e32 v5, 0
	v_dot4c_i32_i8_e32 v10, v190, v7
	v_dot4c_i32_i8_e32 v5, v172, v0
	;; [unrolled: 1-line block ×9, first 2 shown]
	v_mul_lo_u32 v4, v8, v202
	v_dot4c_i32_i8_e32 v5, v175, v3
	v_dot4c_i32_i8_e32 v10, v207, v3
	v_mad_u64_u32 v[0:1], s[18:19], v213, v202, v[146:147]
	s_nop 0
	v_mad_u64_u32 v[2:3], s[18:19], v5, v208, v[4:5]
	v_cvt_f32_i32_e32 v1, v2
	v_cvt_f32_i32_e32 v3, v10
	v_cvt_f32_i32_e32 v2, v147
	v_cvt_f32_i32_e32 v0, v0
	v_pk_fma_f32 v[18:19], v[144:145], v[14:15], v[18:19]
	v_add_u32_e32 v11, 32, v11
	v_pk_mul_f32 v[2:3], v[138:139], v[2:3] op_sel_hi:[0,1]
	v_pk_fma_f32 v[0:1], v[136:137], v[0:1], v[2:3] op_sel_hi:[0,1,1] neg_lo:[0,0,1] neg_hi:[0,0,1]
	v_pk_fma_f32 v[16:17], v[144:145], v[0:1], v[16:17]
	s_cmp_lt_u32 s17, 14
	s_cbranch_scc1 .LBB148_9
; %bb.10:                               ;   in Loop: Header=BB148_6 Depth=1
	s_or_b32 s9, s0, 1
	s_cmp_ge_i32 s9, s4
	s_barrier
	s_cbranch_scc1 .LBB148_5
; %bb.11:                               ;   in Loop: Header=BB148_6 Depth=1
	v_add_u32_e32 v8, s8, v107
	v_add_u32_e32 v0, v8, v55
	v_add_u32_e32 v2, v8, v61
	v_add_u32_e32 v4, v8, v65
	v_add_u32_e32 v6, v8, v69
	v_add_u32_e32 v10, v8, v73
	v_add_u32_e32 v12, v8, v77
	v_add_u32_e32 v14, v8, v81
	v_add_u32_e32 v8, v8, v85
	v_mad_i64_i32 v[144:145], s[18:19], v8, 36, v[132:133]
	v_add_u32_e32 v8, 8, v9
	v_mad_i64_i32 v[0:1], s[18:19], v0, 36, v[132:133]
	v_mad_i64_i32 v[2:3], s[18:19], v2, 36, v[132:133]
	;; [unrolled: 1-line block ×4, first 2 shown]
	v_mad_u64_u32 v[146:147], s[18:19], v8, 36, s[2:3]
	v_mad_i64_i32 v[10:11], s[18:19], v10, 36, v[132:133]
	v_mad_i64_i32 v[12:13], s[18:19], v12, 36, v[132:133]
	;; [unrolled: 1-line block ×3, first 2 shown]
	global_load_dword v8, v[146:147], off
	s_nop 0
	global_load_dword v0, v[0:1], off offset:4
	s_nop 0
	global_load_dword v1, v[2:3], off offset:4
	;; [unrolled: 2-line block ×3, first 2 shown]
	global_load_dword v3, v[6:7], off offset:4
	s_nop 0
	global_load_dword v4, v[10:11], off offset:4
	global_load_dword v5, v[12:13], off offset:4
	;; [unrolled: 1-line block ×4, first 2 shown]
	s_mov_b32 s9, 16
	s_mov_b32 s17, 14
	v_mov_b32_e32 v11, v159
	v_mov_b32_e32 v13, v158
	s_waitcnt vmcnt(8)
	v_cvt_f32_f16_e32 v8, v8
	s_waitcnt vmcnt(7)
	ds_write_b32 v59, v0
	s_waitcnt vmcnt(6)
	ds_write_b32 v63, v1
	;; [unrolled: 2-line block ×8, first 2 shown]
	ds_write_b32 v53, v8
	s_waitcnt lgkmcnt(0)
	s_barrier
.LBB148_12:                             ;   Parent Loop BB148_6 Depth=1
                                        ; =>  This Inner Loop Header: Depth=2
	s_add_i32 s11, s17, 2
	s_and_b32 s19, s11, 0x3ffffff8
	s_lshl_b32 s19, s19, 2
	v_add_u32_e32 v8, s19, v89
	ds_read2_b32 v[144:145], v13 offset1:32
	ds_read_b128 v[4:7], v11
	ds_read_b128 v[0:3], v11 offset:16
	ds_read2_b32 v[14:15], v8 offset1:1
	s_and_b32 s18, s9, -16
	v_add_u32_e32 v12, s18, v121
	s_add_i32 s18, s17, -14
	s_lshr_b32 s20, s11, 2
	s_waitcnt lgkmcnt(0)
	v_ashrrev_i32_e32 v10, s18, v14
	v_and_b32_e32 v186, 0x3030303, v10
	v_ashrrev_i32_e32 v10, s18, v15
	ds_read2_b32 v[14:15], v8 offset0:2 offset1:3
	v_and_b32_e32 v183, 0x3030303, v10
	s_and_b32 s20, s20, 0x3ffffffc
	v_mov_b32_e32 v203, 0
	v_mov_b32_e32 v205, 0
	s_waitcnt lgkmcnt(0)
	v_ashrrev_i32_e32 v10, s18, v14
	v_and_b32_e32 v184, 0x3030303, v10
	v_ashrrev_i32_e32 v10, s18, v15
	ds_read2_b32 v[14:15], v8 offset0:4 offset1:5
	v_and_b32_e32 v185, 0x3030303, v10
	v_mov_b32_e32 v213, 0
	v_mov_b32_e32 v217, 0
	;; [unrolled: 1-line block ×3, first 2 shown]
	s_waitcnt lgkmcnt(0)
	v_ashrrev_i32_e32 v10, s18, v14
	v_and_b32_e32 v179, 0x3030303, v10
	v_ashrrev_i32_e32 v10, s18, v15
	ds_read2_b32 v[14:15], v8 offset0:6 offset1:7
	v_and_b32_e32 v180, 0x3030303, v10
	v_add_u32_e32 v10, s20, v91
	v_mov_b32_e32 v204, 0
	v_mov_b32_e32 v211, 0
	s_waitcnt lgkmcnt(0)
	v_ashrrev_i32_e32 v8, s18, v14
	v_and_b32_e32 v181, 0x3030303, v8
	v_ashrrev_i32_e32 v8, s18, v15
	v_and_b32_e32 v182, 0x3030303, v8
	v_add3_u32 v8, v137, s17, v12
	ds_read_b32 v10, v10
	ds_read_u16 v146, v8 offset:25074
	v_mov_b32_e32 v216, 0
	v_dot4c_i32_i8_e32 v147, v186, v4
	v_mov_b32_e32 v208, 0
	s_waitcnt lgkmcnt(1)
	v_cvt_f32_f16_e32 v136, v10
	s_waitcnt lgkmcnt(0)
	v_bfe_u32 v8, v146, 4, 4
	v_mul_lo_u32 v192, v8, s1
	v_lshrrev_b32_sdwa v8, v169, v146 dst_sel:DWORD dst_unused:UNUSED_PAD src0_sel:DWORD src1_sel:BYTE_1
	v_mul_lo_u32 v199, v8, s1
	v_add_u32_e32 v8, s19, v93
	ds_read2_b32 v[14:15], v8 offset1:1
	v_cvt_f32_f16_sdwa v138, v10 dst_sel:DWORD dst_unused:UNUSED_PAD src0_sel:WORD_1
	v_dot4c_i32_i8_e32 v203, v192, v4
	v_dot4c_i32_i8_e32 v203, v192, v5
	;; [unrolled: 1-line block ×3, first 2 shown]
	s_waitcnt lgkmcnt(0)
	v_ashrrev_i32_e32 v10, s18, v14
	v_and_b32_e32 v196, 0x3030303, v10
	v_ashrrev_i32_e32 v10, s18, v15
	ds_read2_b32 v[14:15], v8 offset0:2 offset1:3
	v_and_b32_e32 v193, 0x3030303, v10
	v_dot4c_i32_i8_e32 v204, v196, v4
	v_dot4c_i32_i8_e32 v203, v192, v7
	v_mov_b32_e32 v214, 0
	s_waitcnt lgkmcnt(0)
	v_ashrrev_i32_e32 v10, s18, v14
	v_and_b32_e32 v194, 0x3030303, v10
	v_ashrrev_i32_e32 v10, s18, v15
	ds_read2_b32 v[14:15], v8 offset0:4 offset1:5
	v_and_b32_e32 v195, 0x3030303, v10
	v_mov_b32_e32 v215, 0
	v_mov_b32_e32 v218, 0
	v_dot4c_i32_i8_e32 v208, v179, v0
	s_waitcnt lgkmcnt(0)
	v_ashrrev_i32_e32 v10, s18, v14
	v_and_b32_e32 v188, 0x3030303, v10
	v_ashrrev_i32_e32 v10, s18, v15
	ds_read2_b32 v[14:15], v8 offset0:6 offset1:7
	v_and_b32_e32 v189, 0x3030303, v10
	v_add_u32_e32 v10, s20, v95
	v_dot4c_i32_i8_e32 v203, v199, v0
	v_dot4c_i32_i8_e32 v214, v188, v0
	s_waitcnt lgkmcnt(0)
	v_ashrrev_i32_e32 v8, s18, v14
	v_and_b32_e32 v190, 0x3030303, v8
	v_ashrrev_i32_e32 v8, s18, v15
	v_and_b32_e32 v191, 0x3030303, v8
	v_add3_u32 v8, v131, s17, v12
	ds_read_b32 v10, v10
	ds_read_u16 v202, v8 offset:26098
	v_dot4c_i32_i8_e32 v147, v183, v5
	v_dot4c_i32_i8_e32 v208, v180, v1
	;; [unrolled: 1-line block ×3, first 2 shown]
	s_waitcnt lgkmcnt(1)
	v_cvt_f32_f16_e32 v140, v10
	s_waitcnt lgkmcnt(0)
	v_bfe_u32 v8, v202, 4, 4
	v_mul_lo_u32 v198, v8, s1
	v_lshrrev_b32_sdwa v8, v169, v202 dst_sel:DWORD dst_unused:UNUSED_PAD src0_sel:DWORD src1_sel:BYTE_1
	v_mul_lo_u32 v201, v8, s1
	v_add_u32_e32 v8, s19, v97
	ds_read2_b32 v[14:15], v8 offset1:1
	ds_read2_b32 v[148:149], v8 offset0:4 offset1:5
	v_cvt_f32_f16_sdwa v142, v10 dst_sel:DWORD dst_unused:UNUSED_PAD src0_sel:WORD_1
	ds_read2_b32 v[154:155], v8 offset0:6 offset1:7
	v_dot4c_i32_i8_e32 v205, v198, v4
	s_waitcnt lgkmcnt(2)
	v_ashrrev_i32_e32 v10, s18, v14
	v_and_b32_e32 v200, 0x3030303, v10
	v_ashrrev_i32_e32 v10, s18, v15
	ds_read2_b32 v[14:15], v8 offset0:2 offset1:3
	v_and_b32_e32 v151, 0x3030303, v10
	s_waitcnt lgkmcnt(1)
	v_ashrrev_i32_e32 v8, s18, v154
	v_dot4c_i32_i8_e32 v205, v198, v5
	v_dot4c_i32_i8_e32 v205, v198, v6
	s_waitcnt lgkmcnt(0)
	v_ashrrev_i32_e32 v10, s18, v14
	v_and_b32_e32 v152, 0x3030303, v10
	v_ashrrev_i32_e32 v10, s18, v15
	v_and_b32_e32 v153, 0x3030303, v10
	;; [unrolled: 2-line block ×4, first 2 shown]
	v_and_b32_e32 v149, 0x3030303, v8
	v_ashrrev_i32_e32 v8, s18, v155
	v_add_u32_e32 v10, s20, v99
	v_add_u32_e32 v14, s19, v101
	v_and_b32_e32 v150, 0x3030303, v8
	v_add3_u32 v8, v127, s17, v12
	ds_read_b32 v10, v10
	ds_read_u16 v210, v8 offset:27122
	ds_read2_b32 v[154:155], v14 offset1:1
	ds_read2_b32 v[206:207], v14 offset0:6 offset1:7
	v_add3_u32 v12, v113, s17, v12
	v_dot4c_i32_i8_e32 v211, v200, v4
	s_waitcnt lgkmcnt(2)
	v_bfe_u32 v8, v210, 4, 4
	s_waitcnt lgkmcnt(1)
	v_ashrrev_i32_e32 v154, s18, v154
	v_and_b32_e32 v177, 0x3030303, v154
	v_ashrrev_i32_e32 v154, s18, v155
	v_and_b32_e32 v174, 0x3030303, v154
	ds_read2_b32 v[154:155], v14 offset0:2 offset1:3
	v_mul_lo_u32 v173, v8, s1
	v_dot4c_i32_i8_e32 v213, v173, v4
	v_dot4c_i32_i8_e32 v213, v173, v5
	;; [unrolled: 1-line block ×3, first 2 shown]
	s_waitcnt lgkmcnt(0)
	v_ashrrev_i32_e32 v154, s18, v154
	v_and_b32_e32 v175, 0x3030303, v154
	v_ashrrev_i32_e32 v154, s18, v155
	v_and_b32_e32 v176, 0x3030303, v154
	ds_read2_b32 v[154:155], v14 offset0:4 offset1:5
	v_ashrrev_i32_e32 v14, s18, v206
	v_and_b32_e32 v171, 0x3030303, v14
	v_ashrrev_i32_e32 v14, s18, v207
	v_and_b32_e32 v172, 0x3030303, v14
	v_add_u32_e32 v14, s20, v103
	ds_read_b32 v14, v14
	ds_read_u16 v212, v12 offset:28146
	v_lshrrev_b32_sdwa v8, v169, v210 dst_sel:DWORD dst_unused:UNUSED_PAD src0_sel:DWORD src1_sel:BYTE_1
	s_waitcnt lgkmcnt(2)
	v_ashrrev_i32_e32 v154, s18, v154
	v_dot4c_i32_i8_e32 v216, v177, v4
	v_dot4c_i32_i8_e32 v205, v198, v7
	s_waitcnt lgkmcnt(0)
	v_bfe_u32 v12, v212, 4, 4
	v_mul_lo_u32 v178, v12, s1
	v_dot4c_i32_i8_e32 v217, v178, v4
	v_dot4c_i32_i8_e32 v217, v178, v5
	;; [unrolled: 1-line block ×3, first 2 shown]
	v_lshrrev_b32_sdwa v4, v169, v212 dst_sel:DWORD dst_unused:UNUSED_PAD src0_sel:DWORD src1_sel:BYTE_1
	v_dot4c_i32_i8_e32 v213, v173, v7
	v_mul_lo_u32 v187, v8, s1
	v_and_b32_e32 v154, 0x3030303, v154
	v_ashrrev_i32_e32 v155, s18, v155
	v_dot4c_i32_i8_e32 v217, v178, v7
	v_mul_lo_u32 v197, v4, s1
	v_dot4c_i32_i8_e32 v205, v201, v0
	v_dot4c_i32_i8_e32 v215, v15, v0
	;; [unrolled: 1-line block ×3, first 2 shown]
	v_and_b32_e32 v155, 0x3030303, v155
	v_dot4c_i32_i8_e32 v218, v154, v0
	v_dot4c_i32_i8_e32 v217, v197, v0
	;; [unrolled: 1-line block ×35, first 2 shown]
	ds_read_b128 v[4:7], v11 offset:1024
	ds_read_b128 v[0:3], v11 offset:1040
	v_mov_b32_e32 v219, 0
	v_mov_b32_e32 v209, 0
	;; [unrolled: 1-line block ×3, first 2 shown]
	s_waitcnt lgkmcnt(1)
	v_dot4c_i32_i8_e32 v219, v192, v4
	v_dot4c_i32_i8_e32 v219, v192, v5
	;; [unrolled: 1-line block ×6, first 2 shown]
	s_waitcnt lgkmcnt(0)
	v_dot4c_i32_i8_e32 v220, v179, v0
	v_dot4c_i32_i8_e32 v209, v184, v6
	v_dot4c_i32_i8_e32 v219, v199, v0
	v_dot4c_i32_i8_e32 v220, v180, v1
	v_dot4c_i32_i8_e32 v209, v185, v7
	v_dot4c_i32_i8_e32 v219, v199, v1
	v_dot4c_i32_i8_e32 v220, v181, v2
	v_and_b32_e32 v207, 15, v146
	v_and_b32_sdwa v206, v146, v170 dst_sel:DWORD dst_unused:UNUSED_PAD src0_sel:BYTE_1 src1_sel:DWORD
	v_dot4c_i32_i8_e32 v219, v199, v2
	v_dot4c_i32_i8_e32 v220, v182, v3
	v_mul_lo_u32 v146, v206, v208
	v_mul_lo_u32 v208, v207, v209
                                        ; kill: def $vgpr209 killed $sgpr0 killed $exec
	v_dot4c_i32_i8_e32 v219, v199, v3
	v_mad_u64_u32 v[208:209], s[18:19], v206, v220, v[208:209]
	v_mad_u64_u32 v[146:147], s[18:19], v207, v147, v[146:147]
	v_cvt_f32_i32_e32 v147, v146
	v_cvt_f32_i32_e32 v146, v208
	;; [unrolled: 1-line block ×4, first 2 shown]
	v_mov_b32_e32 v219, 0
	v_dot4c_i32_i8_e32 v219, v198, v4
	v_dot4c_i32_i8_e32 v219, v198, v5
	v_pk_mul_f32 v[208:209], v[138:139], v[208:209] op_sel_hi:[0,1]
	v_pk_fma_f32 v[208:209], v[136:137], v[146:147], v[208:209] op_sel_hi:[0,1,1] neg_lo:[0,0,1] neg_hi:[0,0,1]
	v_mov_b32_e32 v146, v145
	v_mov_b32_e32 v145, 0
	v_dot4c_i32_i8_e32 v145, v196, v4
	v_dot4c_i32_i8_e32 v219, v198, v6
	v_mov_b32_e32 v203, 0
	v_dot4c_i32_i8_e32 v145, v193, v5
	v_dot4c_i32_i8_e32 v219, v198, v7
	;; [unrolled: 1-line block ×3, first 2 shown]
	v_mov_b32_e32 v147, v144
	v_dot4c_i32_i8_e32 v145, v194, v6
	v_dot4c_i32_i8_e32 v219, v201, v0
	;; [unrolled: 1-line block ×3, first 2 shown]
	v_pk_fma_f32 v[124:125], v[146:147], v[208:209], v[124:125]
	v_dot4c_i32_i8_e32 v145, v195, v7
	v_dot4c_i32_i8_e32 v219, v201, v1
	;; [unrolled: 1-line block ×3, first 2 shown]
	v_and_b32_e32 v209, 15, v202
	v_and_b32_sdwa v208, v202, v170 dst_sel:DWORD dst_unused:UNUSED_PAD src0_sel:BYTE_1 src1_sel:DWORD
	v_dot4c_i32_i8_e32 v219, v201, v2
	v_dot4c_i32_i8_e32 v203, v191, v3
	v_mul_lo_u32 v144, v208, v214
	v_mul_lo_u32 v202, v209, v145
                                        ; kill: def $vgpr145 killed $sgpr0 killed $exec
	v_dot4c_i32_i8_e32 v219, v201, v3
	v_mad_u64_u32 v[202:203], s[18:19], v208, v203, v[202:203]
	v_mad_u64_u32 v[144:145], s[18:19], v209, v204, v[144:145]
	v_cvt_f32_i32_e32 v145, v144
	v_cvt_f32_i32_e32 v144, v202
	;; [unrolled: 1-line block ×4, first 2 shown]
	v_mov_b32_e32 v214, 0
	v_dot4c_i32_i8_e32 v214, v173, v4
	v_dot4c_i32_i8_e32 v214, v173, v5
	v_pk_mul_f32 v[202:203], v[142:143], v[202:203] op_sel_hi:[0,1]
	v_pk_fma_f32 v[144:145], v[140:141], v[144:145], v[202:203] op_sel_hi:[0,1,1] neg_lo:[0,0,1] neg_hi:[0,0,1]
	v_pk_fma_f32 v[122:123], v[146:147], v[144:145], v[122:123]
	v_mov_b32_e32 v145, 0
	v_dot4c_i32_i8_e32 v145, v200, v4
	v_dot4c_i32_i8_e32 v214, v173, v6
	v_mov_b32_e32 v203, 0
	v_dot4c_i32_i8_e32 v145, v151, v5
	v_dot4c_i32_i8_e32 v214, v173, v7
	;; [unrolled: 1-line block ×9, first 2 shown]
	v_and_b32_e32 v205, 15, v210
	v_and_b32_sdwa v204, v210, v170 dst_sel:DWORD dst_unused:UNUSED_PAD src0_sel:BYTE_1 src1_sel:DWORD
	v_dot4c_i32_i8_e32 v214, v187, v2
	v_dot4c_i32_i8_e32 v203, v150, v3
	v_mul_lo_u32 v144, v204, v215
	v_mul_lo_u32 v202, v205, v145
                                        ; kill: def $vgpr145 killed $sgpr0 killed $exec
	v_dot4c_i32_i8_e32 v214, v187, v3
	v_mad_u64_u32 v[202:203], s[18:19], v204, v203, v[202:203]
	v_mad_u64_u32 v[144:145], s[18:19], v205, v211, v[144:145]
	v_cvt_f32_f16_e32 v8, v10
	v_cvt_f32_f16_sdwa v10, v10 dst_sel:DWORD dst_unused:UNUSED_PAD src0_sel:WORD_1
	v_cvt_f32_i32_e32 v145, v144
	v_cvt_f32_i32_e32 v144, v202
	;; [unrolled: 1-line block ×4, first 2 shown]
	v_cvt_f32_f16_e32 v12, v14
	v_cvt_f32_f16_sdwa v14, v14 dst_sel:DWORD dst_unused:UNUSED_PAD src0_sel:WORD_1
	v_mov_b32_e32 v214, 0
	v_pk_mul_f32 v[202:203], v[10:11], v[202:203] op_sel_hi:[0,1]
	v_pk_fma_f32 v[144:145], v[8:9], v[144:145], v[202:203] op_sel_hi:[0,1,1] neg_lo:[0,0,1] neg_hi:[0,0,1]
	v_pk_fma_f32 v[114:115], v[146:147], v[144:145], v[114:115]
	v_mov_b32_e32 v145, 0
	v_dot4c_i32_i8_e32 v145, v178, v4
	v_mov_b32_e32 v144, 0
	v_dot4c_i32_i8_e32 v145, v178, v5
	v_dot4c_i32_i8_e32 v144, v177, v4
	;; [unrolled: 1-line block ×3, first 2 shown]
	v_mov_b32_e32 v4, 0
	v_dot4c_i32_i8_e32 v144, v174, v5
	v_dot4c_i32_i8_e32 v145, v178, v7
	;; [unrolled: 1-line block ×9, first 2 shown]
	v_and_b32_e32 v203, 15, v212
	v_and_b32_sdwa v202, v212, v170 dst_sel:DWORD dst_unused:UNUSED_PAD src0_sel:BYTE_1 src1_sel:DWORD
	v_dot4c_i32_i8_e32 v145, v197, v2
	v_dot4c_i32_i8_e32 v4, v172, v3
	v_mul_lo_u32 v0, v202, v218
	v_mul_lo_u32 v2, v203, v144
                                        ; kill: def $vgpr1 killed $sgpr0 killed $exec
	v_dot4c_i32_i8_e32 v145, v197, v3
	v_mad_u64_u32 v[2:3], s[18:19], v202, v4, v[2:3]
	v_mad_u64_u32 v[0:1], s[18:19], v203, v216, v[0:1]
	v_cvt_f32_i32_e32 v1, v0
	v_cvt_f32_i32_e32 v0, v2
	;; [unrolled: 1-line block ×4, first 2 shown]
	v_mov_b32_e32 v212, 0
	v_mov_b32_e32 v217, 0
	;; [unrolled: 1-line block ×3, first 2 shown]
	v_pk_mul_f32 v[2:3], v[14:15], v[2:3] op_sel_hi:[0,1]
	v_pk_fma_f32 v[0:1], v[12:13], v[0:1], v[2:3] op_sel_hi:[0,1,1] neg_lo:[0,0,1] neg_hi:[0,0,1]
	v_pk_fma_f32 v[110:111], v[146:147], v[0:1], v[110:111]
	ds_read2_b32 v[144:145], v13 offset0:64 offset1:96
	ds_read_b128 v[0:3], v11 offset:2048
	ds_read_b128 v[4:7], v11 offset:2064
	v_mov_b32_e32 v147, 0
	v_mov_b32_e32 v210, 0
	v_mov_b32_e32 v213, 0
	s_waitcnt lgkmcnt(1)
	v_dot4c_i32_i8_e32 v212, v192, v0
	v_dot4c_i32_i8_e32 v214, v198, v0
	;; [unrolled: 1-line block ×14, first 2 shown]
	v_mov_b32_e32 v215, 0
	v_mov_b32_e32 v216, 0
	v_dot4c_i32_i8_e32 v217, v173, v3
	v_mov_b32_e32 v218, 0
	v_mov_b32_e32 v219, 0
	v_dot4c_i32_i8_e32 v220, v178, v3
	v_mov_b32_e32 v221, 0
	v_dot4c_i32_i8_e32 v147, v186, v0
	s_waitcnt lgkmcnt(0)
	v_dot4c_i32_i8_e32 v210, v179, v4
	v_dot4c_i32_i8_e32 v212, v199, v4
	;; [unrolled: 1-line block ×47, first 2 shown]
	ds_read_b128 v[4:7], v11 offset:3072
	ds_read_b128 v[0:3], v11 offset:3088
	v_mov_b32_e32 v222, 0
	v_mov_b32_e32 v146, 0
	;; [unrolled: 1-line block ×3, first 2 shown]
	s_waitcnt lgkmcnt(1)
	v_dot4c_i32_i8_e32 v222, v192, v4
	v_dot4c_i32_i8_e32 v222, v192, v5
	;; [unrolled: 1-line block ×6, first 2 shown]
	s_waitcnt lgkmcnt(0)
	v_dot4c_i32_i8_e32 v223, v179, v0
	v_dot4c_i32_i8_e32 v146, v184, v6
	;; [unrolled: 1-line block ×7, first 2 shown]
	v_mul_lo_u32 v210, v210, v206
                                        ; kill: def $vgpr211 killed $sgpr0 killed $exec
	v_dot4c_i32_i8_e32 v222, v199, v2
	v_dot4c_i32_i8_e32 v223, v182, v3
	v_mul_lo_u32 v146, v146, v207
	v_mad_u64_u32 v[210:211], s[18:19], v147, v207, v[210:211]
                                        ; kill: def $vgpr147 killed $sgpr0 killed $exec
	v_dot4c_i32_i8_e32 v222, v199, v3
	v_mad_u64_u32 v[146:147], s[18:19], v223, v206, v[146:147]
	v_cvt_f32_i32_e32 v147, v146
	v_cvt_f32_i32_e32 v146, v210
	;; [unrolled: 1-line block ×4, first 2 shown]
	v_mov_b32_e32 v212, 0
	v_dot4c_i32_i8_e32 v212, v198, v4
	v_dot4c_i32_i8_e32 v212, v198, v5
	v_pk_mul_f32 v[210:211], v[138:139], v[210:211] op_sel_hi:[0,1]
	v_pk_fma_f32 v[146:147], v[136:137], v[146:147], v[210:211] op_sel_hi:[0,1,1] neg_lo:[0,0,1] neg_hi:[0,0,1]
	v_pk_fma_f32 v[38:39], v[144:145], v[146:147], v[38:39]
	v_mov_b32_e32 v146, 0
	v_dot4c_i32_i8_e32 v146, v196, v4
	v_dot4c_i32_i8_e32 v212, v198, v6
	v_mov_b32_e32 v147, 0
	v_dot4c_i32_i8_e32 v146, v193, v5
	v_dot4c_i32_i8_e32 v212, v198, v7
	;; [unrolled: 1-line block ×11, first 2 shown]
	v_mul_lo_u32 v146, v146, v209
	v_mul_lo_u32 v210, v215, v208
                                        ; kill: def $vgpr211 killed $sgpr0 killed $exec
	v_dot4c_i32_i8_e32 v212, v201, v3
	v_mad_u64_u32 v[210:211], s[18:19], v213, v209, v[210:211]
	v_mad_u64_u32 v[146:147], s[18:19], v147, v208, v[146:147]
	v_cvt_f32_i32_e32 v147, v146
	v_cvt_f32_i32_e32 v146, v210
	;; [unrolled: 1-line block ×4, first 2 shown]
	v_mov_b32_e32 v212, 0
	v_dot4c_i32_i8_e32 v212, v173, v4
	v_dot4c_i32_i8_e32 v212, v173, v5
	v_pk_mul_f32 v[210:211], v[142:143], v[210:211] op_sel_hi:[0,1]
	v_pk_fma_f32 v[146:147], v[140:141], v[146:147], v[210:211] op_sel_hi:[0,1,1] neg_lo:[0,0,1] neg_hi:[0,0,1]
	v_pk_fma_f32 v[36:37], v[144:145], v[146:147], v[36:37]
	v_mov_b32_e32 v146, 0
	v_dot4c_i32_i8_e32 v146, v200, v4
	v_dot4c_i32_i8_e32 v212, v173, v6
	v_mov_b32_e32 v147, 0
	v_dot4c_i32_i8_e32 v146, v151, v5
	v_dot4c_i32_i8_e32 v212, v173, v7
	;; [unrolled: 1-line block ×11, first 2 shown]
	v_mul_lo_u32 v146, v146, v205
	v_mul_lo_u32 v210, v218, v204
                                        ; kill: def $vgpr211 killed $sgpr0 killed $exec
	v_dot4c_i32_i8_e32 v212, v187, v3
	v_mad_u64_u32 v[210:211], s[18:19], v216, v205, v[210:211]
	v_mad_u64_u32 v[146:147], s[18:19], v147, v204, v[146:147]
	v_cvt_f32_i32_e32 v147, v146
	v_cvt_f32_i32_e32 v146, v210
	;; [unrolled: 1-line block ×4, first 2 shown]
	v_mov_b32_e32 v212, 0
	v_mov_b32_e32 v214, 0
	;; [unrolled: 1-line block ×3, first 2 shown]
	v_pk_mul_f32 v[210:211], v[10:11], v[210:211] op_sel_hi:[0,1]
	v_pk_fma_f32 v[146:147], v[8:9], v[146:147], v[210:211] op_sel_hi:[0,1,1] neg_lo:[0,0,1] neg_hi:[0,0,1]
	v_pk_fma_f32 v[34:35], v[144:145], v[146:147], v[34:35]
	v_mov_b32_e32 v147, 0
	v_dot4c_i32_i8_e32 v147, v178, v4
	v_mov_b32_e32 v146, 0
	v_dot4c_i32_i8_e32 v147, v178, v5
	v_dot4c_i32_i8_e32 v146, v177, v4
	;; [unrolled: 1-line block ×3, first 2 shown]
	v_mov_b32_e32 v4, 0
	v_dot4c_i32_i8_e32 v146, v174, v5
	v_dot4c_i32_i8_e32 v147, v178, v7
	;; [unrolled: 1-line block ×11, first 2 shown]
	v_mul_lo_u32 v0, v146, v203
	v_mul_lo_u32 v2, v221, v202
                                        ; kill: def $vgpr1 killed $sgpr0 killed $exec
	v_dot4c_i32_i8_e32 v147, v197, v3
	v_mad_u64_u32 v[2:3], s[18:19], v219, v203, v[2:3]
	v_mad_u64_u32 v[0:1], s[18:19], v4, v202, v[0:1]
	v_cvt_f32_i32_e32 v1, v0
	v_cvt_f32_i32_e32 v0, v2
	;; [unrolled: 1-line block ×4, first 2 shown]
	v_mov_b32_e32 v220, 0
	v_mov_b32_e32 v147, 0
	;; [unrolled: 1-line block ×3, first 2 shown]
	v_pk_mul_f32 v[2:3], v[14:15], v[2:3] op_sel_hi:[0,1]
	v_pk_fma_f32 v[0:1], v[12:13], v[0:1], v[2:3] op_sel_hi:[0,1,1] neg_lo:[0,0,1] neg_hi:[0,0,1]
	v_pk_fma_f32 v[32:33], v[144:145], v[0:1], v[32:33]
	ds_read2_b32 v[144:145], v13 offset0:128 offset1:160
	ds_read_b128 v[0:3], v11 offset:4096
	ds_read_b128 v[4:7], v11 offset:4112
	v_mov_b32_e32 v213, 0
	v_mov_b32_e32 v215, 0
	;; [unrolled: 1-line block ×3, first 2 shown]
	s_waitcnt lgkmcnt(1)
	v_dot4c_i32_i8_e32 v212, v192, v0
	v_dot4c_i32_i8_e32 v214, v198, v0
	;; [unrolled: 1-line block ×15, first 2 shown]
	v_mov_b32_e32 v218, 0
	v_mov_b32_e32 v219, 0
	v_dot4c_i32_i8_e32 v220, v178, v3
	v_mov_b32_e32 v221, 0
	v_dot4c_i32_i8_e32 v147, v186, v0
	s_waitcnt lgkmcnt(0)
	v_dot4c_i32_i8_e32 v210, v179, v4
	v_dot4c_i32_i8_e32 v212, v199, v4
	;; [unrolled: 1-line block ×47, first 2 shown]
	ds_read_b128 v[4:7], v11 offset:5120
	ds_read_b128 v[0:3], v11 offset:5136
	v_mov_b32_e32 v222, 0
	v_mov_b32_e32 v146, 0
	;; [unrolled: 1-line block ×3, first 2 shown]
	s_waitcnt lgkmcnt(1)
	v_dot4c_i32_i8_e32 v222, v192, v4
	v_dot4c_i32_i8_e32 v222, v192, v5
	;; [unrolled: 1-line block ×6, first 2 shown]
	s_waitcnt lgkmcnt(0)
	v_dot4c_i32_i8_e32 v223, v179, v0
	v_dot4c_i32_i8_e32 v146, v184, v6
	;; [unrolled: 1-line block ×7, first 2 shown]
	v_mul_lo_u32 v210, v210, v206
                                        ; kill: def $vgpr211 killed $sgpr0 killed $exec
	v_dot4c_i32_i8_e32 v222, v199, v2
	v_dot4c_i32_i8_e32 v223, v182, v3
	v_mul_lo_u32 v146, v146, v207
	v_mad_u64_u32 v[210:211], s[18:19], v147, v207, v[210:211]
                                        ; kill: def $vgpr147 killed $sgpr0 killed $exec
	v_dot4c_i32_i8_e32 v222, v199, v3
	v_mad_u64_u32 v[146:147], s[18:19], v223, v206, v[146:147]
	v_cvt_f32_i32_e32 v147, v146
	v_cvt_f32_i32_e32 v146, v210
	;; [unrolled: 1-line block ×4, first 2 shown]
	v_mov_b32_e32 v212, 0
	v_dot4c_i32_i8_e32 v212, v198, v4
	v_dot4c_i32_i8_e32 v212, v198, v5
	v_pk_mul_f32 v[210:211], v[138:139], v[210:211] op_sel_hi:[0,1]
	v_pk_fma_f32 v[146:147], v[136:137], v[146:147], v[210:211] op_sel_hi:[0,1,1] neg_lo:[0,0,1] neg_hi:[0,0,1]
	v_pk_fma_f32 v[30:31], v[144:145], v[146:147], v[30:31]
	v_mov_b32_e32 v146, 0
	v_dot4c_i32_i8_e32 v146, v196, v4
	v_dot4c_i32_i8_e32 v212, v198, v6
	v_mov_b32_e32 v147, 0
	v_dot4c_i32_i8_e32 v146, v193, v5
	v_dot4c_i32_i8_e32 v212, v198, v7
	;; [unrolled: 1-line block ×11, first 2 shown]
	v_mul_lo_u32 v146, v146, v209
	v_mul_lo_u32 v210, v215, v208
                                        ; kill: def $vgpr211 killed $sgpr0 killed $exec
	v_dot4c_i32_i8_e32 v212, v201, v3
	v_mad_u64_u32 v[210:211], s[18:19], v213, v209, v[210:211]
	v_mad_u64_u32 v[146:147], s[18:19], v147, v208, v[146:147]
	v_cvt_f32_i32_e32 v147, v146
	v_cvt_f32_i32_e32 v146, v210
	;; [unrolled: 1-line block ×4, first 2 shown]
	v_mov_b32_e32 v212, 0
	v_dot4c_i32_i8_e32 v212, v173, v4
	v_dot4c_i32_i8_e32 v212, v173, v5
	v_pk_mul_f32 v[210:211], v[142:143], v[210:211] op_sel_hi:[0,1]
	v_pk_fma_f32 v[146:147], v[140:141], v[146:147], v[210:211] op_sel_hi:[0,1,1] neg_lo:[0,0,1] neg_hi:[0,0,1]
	v_pk_fma_f32 v[28:29], v[144:145], v[146:147], v[28:29]
	v_mov_b32_e32 v146, 0
	v_dot4c_i32_i8_e32 v146, v200, v4
	v_dot4c_i32_i8_e32 v212, v173, v6
	v_mov_b32_e32 v147, 0
	v_dot4c_i32_i8_e32 v146, v151, v5
	v_dot4c_i32_i8_e32 v212, v173, v7
	;; [unrolled: 1-line block ×11, first 2 shown]
	v_mul_lo_u32 v146, v146, v205
	v_mul_lo_u32 v210, v218, v204
                                        ; kill: def $vgpr211 killed $sgpr0 killed $exec
	v_dot4c_i32_i8_e32 v212, v187, v3
	v_mad_u64_u32 v[210:211], s[18:19], v216, v205, v[210:211]
	v_mad_u64_u32 v[146:147], s[18:19], v147, v204, v[146:147]
	v_cvt_f32_i32_e32 v147, v146
	v_cvt_f32_i32_e32 v146, v210
	;; [unrolled: 1-line block ×4, first 2 shown]
	v_mov_b32_e32 v214, 0
	v_mov_b32_e32 v217, 0
	;; [unrolled: 1-line block ×3, first 2 shown]
	v_pk_mul_f32 v[210:211], v[10:11], v[210:211] op_sel_hi:[0,1]
	v_pk_fma_f32 v[146:147], v[8:9], v[146:147], v[210:211] op_sel_hi:[0,1,1] neg_lo:[0,0,1] neg_hi:[0,0,1]
	v_pk_fma_f32 v[26:27], v[144:145], v[146:147], v[26:27]
	v_mov_b32_e32 v147, 0
	v_dot4c_i32_i8_e32 v147, v178, v4
	v_mov_b32_e32 v146, 0
	v_dot4c_i32_i8_e32 v147, v178, v5
	v_dot4c_i32_i8_e32 v146, v177, v4
	;; [unrolled: 1-line block ×3, first 2 shown]
	v_mov_b32_e32 v4, 0
	v_dot4c_i32_i8_e32 v146, v174, v5
	v_dot4c_i32_i8_e32 v147, v178, v7
	;; [unrolled: 1-line block ×11, first 2 shown]
	v_mul_lo_u32 v0, v146, v203
	v_mul_lo_u32 v2, v221, v202
                                        ; kill: def $vgpr1 killed $sgpr0 killed $exec
	v_dot4c_i32_i8_e32 v147, v197, v3
	v_mad_u64_u32 v[2:3], s[18:19], v219, v203, v[2:3]
	v_mad_u64_u32 v[0:1], s[18:19], v4, v202, v[0:1]
	v_cvt_f32_i32_e32 v1, v0
	v_cvt_f32_i32_e32 v0, v2
	;; [unrolled: 1-line block ×4, first 2 shown]
	v_mov_b32_e32 v210, 0
	v_mov_b32_e32 v146, 0
	;; [unrolled: 1-line block ×3, first 2 shown]
	v_pk_mul_f32 v[2:3], v[14:15], v[2:3] op_sel_hi:[0,1]
	v_pk_fma_f32 v[0:1], v[12:13], v[0:1], v[2:3] op_sel_hi:[0,1,1] neg_lo:[0,0,1] neg_hi:[0,0,1]
	v_pk_fma_f32 v[24:25], v[144:145], v[0:1], v[24:25]
	ds_read2_b32 v[144:145], v13 offset0:192 offset1:224
	ds_read_b128 v[0:3], v11 offset:6144
	ds_read_b128 v[4:7], v11 offset:6160
	v_mov_b32_e32 v216, 0
	v_mov_b32_e32 v218, 0
	;; [unrolled: 1-line block ×3, first 2 shown]
	s_waitcnt lgkmcnt(1)
	v_dot4c_i32_i8_e32 v214, v192, v0
	v_dot4c_i32_i8_e32 v217, v198, v0
	v_dot4c_i32_i8_e32 v210, v173, v0
	v_dot4c_i32_i8_e32 v146, v178, v0
	v_dot4c_i32_i8_e32 v214, v192, v1
	v_dot4c_i32_i8_e32 v217, v198, v1
	v_dot4c_i32_i8_e32 v210, v173, v1
	v_dot4c_i32_i8_e32 v146, v178, v1
	v_dot4c_i32_i8_e32 v214, v192, v2
	v_dot4c_i32_i8_e32 v217, v198, v2
	v_dot4c_i32_i8_e32 v210, v173, v2
	v_dot4c_i32_i8_e32 v146, v178, v2
	v_dot4c_i32_i8_e32 v214, v192, v3
	v_dot4c_i32_i8_e32 v217, v198, v3
	v_dot4c_i32_i8_e32 v210, v173, v3
	v_mov_b32_e32 v219, 0
	v_mov_b32_e32 v147, 0
	v_dot4c_i32_i8_e32 v146, v178, v3
	v_mov_b32_e32 v211, 0
	v_dot4c_i32_i8_e32 v213, v186, v0
	s_waitcnt lgkmcnt(0)
	v_dot4c_i32_i8_e32 v215, v179, v4
	v_dot4c_i32_i8_e32 v214, v199, v4
	;; [unrolled: 1-line block ×47, first 2 shown]
	ds_read_b128 v[4:7], v11 offset:7168
	ds_read_b128 v[0:3], v11 offset:7184
	v_mov_b32_e32 v220, 0
	s_add_i32 s9, s9, 2
	s_cmp_lt_u32 s11, 22
	s_waitcnt lgkmcnt(1)
	v_dot4c_i32_i8_e32 v220, v186, v4
	v_mov_b32_e32 v186, 0
	v_dot4c_i32_i8_e32 v186, v192, v4
	v_dot4c_i32_i8_e32 v220, v183, v5
	;; [unrolled: 1-line block ×5, first 2 shown]
	v_mov_b32_e32 v184, 0
	v_dot4c_i32_i8_e32 v186, v192, v7
	s_waitcnt lgkmcnt(0)
	v_dot4c_i32_i8_e32 v184, v179, v0
	v_dot4c_i32_i8_e32 v186, v199, v0
	v_dot4c_i32_i8_e32 v184, v180, v1
	v_dot4c_i32_i8_e32 v220, v185, v7
	v_dot4c_i32_i8_e32 v186, v199, v1
	v_dot4c_i32_i8_e32 v184, v181, v2
	v_dot4c_i32_i8_e32 v186, v199, v2
	v_dot4c_i32_i8_e32 v184, v182, v3
	v_mul_lo_u32 v180, v220, v207
	v_mul_lo_u32 v182, v215, v206
	v_dot4c_i32_i8_e32 v186, v199, v3
	v_mad_u64_u32 v[182:183], s[18:19], v213, v207, v[182:183]
	v_mad_u64_u32 v[180:181], s[18:19], v184, v206, v[180:181]
	v_cvt_f32_i32_e32 v181, v180
	v_cvt_f32_i32_e32 v180, v182
	;; [unrolled: 1-line block ×4, first 2 shown]
	v_mov_b32_e32 v179, 0
	v_dot4c_i32_i8_e32 v179, v198, v4
	v_dot4c_i32_i8_e32 v179, v198, v5
	v_pk_mul_f32 v[182:183], v[138:139], v[182:183] op_sel_hi:[0,1]
	v_pk_fma_f32 v[180:181], v[136:137], v[180:181], v[182:183] op_sel_hi:[0,1,1] neg_lo:[0,0,1] neg_hi:[0,0,1]
	v_mov_b32_e32 v136, 0
	v_dot4c_i32_i8_e32 v136, v196, v4
	v_dot4c_i32_i8_e32 v179, v198, v6
	v_mov_b32_e32 v182, 0
	v_dot4c_i32_i8_e32 v136, v193, v5
	v_dot4c_i32_i8_e32 v179, v198, v7
	;; [unrolled: 1-line block ×11, first 2 shown]
	v_mul_lo_u32 v136, v136, v209
	v_mul_lo_u32 v138, v218, v208
	v_pk_fma_f32 v[22:23], v[144:145], v[180:181], v[22:23]
	v_dot4c_i32_i8_e32 v179, v201, v3
	v_mad_u64_u32 v[180:181], s[18:19], v216, v209, v[138:139]
	v_mad_u64_u32 v[182:183], s[18:19], v182, v208, v[136:137]
	v_cvt_f32_i32_e32 v181, v182
	v_cvt_f32_i32_e32 v183, v179
	;; [unrolled: 1-line block ×4, first 2 shown]
	v_mov_b32_e32 v136, 0
	v_dot4c_i32_i8_e32 v136, v200, v4
	v_pk_mul_f32 v[182:183], v[142:143], v[182:183] op_sel_hi:[0,1]
	v_pk_fma_f32 v[180:181], v[140:141], v[180:181], v[182:183] op_sel_hi:[0,1,1] neg_lo:[0,0,1] neg_hi:[0,0,1]
	v_mov_b32_e32 v140, 0
	v_dot4c_i32_i8_e32 v140, v173, v4
	v_dot4c_i32_i8_e32 v140, v173, v5
	;; [unrolled: 1-line block ×3, first 2 shown]
	v_mov_b32_e32 v142, 0
	v_dot4c_i32_i8_e32 v136, v151, v5
	v_dot4c_i32_i8_e32 v140, v173, v7
	;; [unrolled: 1-line block ×11, first 2 shown]
	v_mul_lo_u32 v136, v136, v205
	v_mul_lo_u32 v138, v219, v204
	v_dot4c_i32_i8_e32 v140, v187, v3
	v_mad_u64_u32 v[148:149], s[18:19], v212, v205, v[138:139]
	v_mad_u64_u32 v[150:151], s[18:19], v142, v204, v[136:137]
	v_cvt_f32_i32_e32 v149, v150
	v_cvt_f32_i32_e32 v151, v140
	;; [unrolled: 1-line block ×4, first 2 shown]
                                        ; kill: def $vgpr15 killed $sgpr0 killed $exec
	v_pk_fma_f32 v[20:21], v[144:145], v[180:181], v[20:21]
	s_mov_b32 s17, s11
	v_pk_mul_f32 v[150:151], v[10:11], v[150:151] op_sel_hi:[0,1]
	v_mov_b32_e32 v10, 0
	v_dot4c_i32_i8_e32 v10, v178, v4
	v_pk_fma_f32 v[148:149], v[8:9], v[148:149], v[150:151] op_sel_hi:[0,1,1] neg_lo:[0,0,1] neg_hi:[0,0,1]
	v_mov_b32_e32 v8, 0
	v_dot4c_i32_i8_e32 v10, v178, v5
	v_dot4c_i32_i8_e32 v8, v177, v4
	;; [unrolled: 1-line block ×3, first 2 shown]
	v_mov_b32_e32 v4, 0
	v_dot4c_i32_i8_e32 v8, v174, v5
	v_dot4c_i32_i8_e32 v10, v178, v7
	v_dot4c_i32_i8_e32 v4, v154, v0
	v_dot4c_i32_i8_e32 v8, v175, v6
	v_dot4c_i32_i8_e32 v10, v197, v0
	v_dot4c_i32_i8_e32 v4, v155, v1
	v_dot4c_i32_i8_e32 v8, v176, v7
	v_dot4c_i32_i8_e32 v10, v197, v1
	v_dot4c_i32_i8_e32 v4, v171, v2
	v_dot4c_i32_i8_e32 v10, v197, v2
	v_dot4c_i32_i8_e32 v4, v172, v3
	v_mul_lo_u32 v0, v8, v203
	v_mul_lo_u32 v2, v211, v202
                                        ; kill: def $vgpr1 killed $sgpr0 killed $exec
	v_dot4c_i32_i8_e32 v10, v197, v3
	v_mad_u64_u32 v[2:3], s[18:19], v147, v203, v[2:3]
	v_mad_u64_u32 v[0:1], s[18:19], v4, v202, v[0:1]
	v_cvt_f32_i32_e32 v1, v0
	v_cvt_f32_i32_e32 v0, v2
	;; [unrolled: 1-line block ×4, first 2 shown]
	v_pk_fma_f32 v[18:19], v[144:145], v[148:149], v[18:19]
	v_add_u32_e32 v11, 32, v11
	v_pk_mul_f32 v[2:3], v[14:15], v[2:3] op_sel_hi:[0,1]
	v_pk_fma_f32 v[0:1], v[12:13], v[0:1], v[2:3] op_sel_hi:[0,1,1] neg_lo:[0,0,1] neg_hi:[0,0,1]
	v_pk_fma_f32 v[16:17], v[144:145], v[0:1], v[16:17]
	v_add_u32_e32 v13, 4, v13
	s_cbranch_scc1 .LBB148_12
; %bb.13:                               ;   in Loop: Header=BB148_6 Depth=1
	v_add_u32_e32 v8, s8, v109
	v_add_u32_e32 v0, v8, v55
	;; [unrolled: 1-line block ×9, first 2 shown]
	v_mad_i64_i32 v[144:145], s[8:9], v8, 36, v[132:133]
	v_add_u32_e32 v8, 12, v9
	v_mad_i64_i32 v[0:1], s[8:9], v0, 36, v[132:133]
	v_mad_i64_i32 v[2:3], s[8:9], v2, 36, v[132:133]
	;; [unrolled: 1-line block ×4, first 2 shown]
	v_mad_u64_u32 v[8:9], s[8:9], v8, 36, s[2:3]
	s_barrier
	v_mad_i64_i32 v[10:11], s[8:9], v10, 36, v[132:133]
	v_mad_i64_i32 v[12:13], s[8:9], v12, 36, v[132:133]
	;; [unrolled: 1-line block ×3, first 2 shown]
	global_load_dword v8, v[8:9], off
	s_nop 0
	global_load_dword v0, v[0:1], off offset:4
	s_nop 0
	global_load_dword v1, v[2:3], off offset:4
	s_nop 0
	global_load_dword v2, v[4:5], off offset:4
	global_load_dword v3, v[6:7], off offset:4
	s_nop 0
	global_load_dword v4, v[10:11], off offset:4
	global_load_dword v5, v[12:13], off offset:4
	global_load_dword v6, v[14:15], off offset:4
	global_load_dword v7, v[144:145], off offset:4
	s_mov_b32 s8, 24
	s_mov_b32 s11, 22
	v_mov_b32_e32 v145, v159
	v_mov_b32_e32 v147, v158
	s_waitcnt vmcnt(8)
	v_cvt_f32_f16_e32 v8, v8
	s_waitcnt vmcnt(7)
	ds_write_b32 v59, v0
	s_waitcnt vmcnt(6)
	ds_write_b32 v63, v1
	;; [unrolled: 2-line block ×8, first 2 shown]
	ds_write_b32 v53, v8
	s_waitcnt lgkmcnt(0)
	s_barrier
.LBB148_14:                             ;   Parent Loop BB148_6 Depth=1
                                        ; =>  This Inner Loop Header: Depth=2
	s_add_i32 s9, s11, 2
	s_and_b32 s18, s9, 0x3ffffff8
	s_lshl_b32 s18, s18, 2
	v_add_u32_e32 v10, s18, v89
	ds_read2_b32 v[152:153], v147 offset1:32
	ds_read_b128 v[4:7], v145
	ds_read_b128 v[0:3], v145 offset:16
	ds_read2_b32 v[8:9], v10 offset1:1
	s_sub_i32 s17, s11, 22
	s_and_b32 s19, s8, -16
	s_add_i32 s11, s11, s19
	s_lshr_b32 s19, s9, 2
	s_waitcnt lgkmcnt(0)
	v_ashrrev_i32_e32 v8, s17, v8
	v_and_b32_e32 v196, 0x3030303, v8
	v_ashrrev_i32_e32 v8, s17, v9
	v_and_b32_e32 v190, 0x3030303, v8
	ds_read2_b32 v[8:9], v10 offset0:2 offset1:3
	s_and_b32 s19, s19, 0x3ffffffc
	v_add_u32_e32 v154, s11, v163
	v_add_u32_e32 v204, s11, v162
	v_mov_b32_e32 v210, 0
	s_waitcnt lgkmcnt(0)
	v_ashrrev_i32_e32 v8, s17, v8
	v_and_b32_e32 v193, 0x3030303, v8
	v_ashrrev_i32_e32 v8, s17, v9
	v_and_b32_e32 v194, 0x3030303, v8
	ds_read2_b32 v[8:9], v10 offset0:4 offset1:5
	v_mov_b32_e32 v211, 0
	v_mov_b32_e32 v213, 0
	v_mov_b32_e32 v218, 0
	v_mov_b32_e32 v155, 0
	s_waitcnt lgkmcnt(0)
	v_ashrrev_i32_e32 v8, s17, v8
	v_and_b32_e32 v183, 0x3030303, v8
	v_ashrrev_i32_e32 v8, s17, v9
	v_and_b32_e32 v184, 0x3030303, v8
	ds_read2_b32 v[8:9], v10 offset0:6 offset1:7
	v_add_u32_e32 v10, s18, v93
	v_dot4c_i32_i8_e32 v210, v183, v0
	v_dot4c_i32_i8_e32 v155, v196, v4
	v_dot4c_i32_i8_e32 v210, v184, v1
	s_waitcnt lgkmcnt(0)
	v_ashrrev_i32_e32 v8, s17, v8
	v_and_b32_e32 v187, 0x3030303, v8
	v_ashrrev_i32_e32 v8, s17, v9
	v_and_b32_e32 v188, 0x3030303, v8
	v_add_u32_e32 v8, s19, v91
	ds_read_b32 v8, v8
	v_mov_b32_e32 v212, 0
	v_dot4c_i32_i8_e32 v155, v190, v5
	v_dot4c_i32_i8_e32 v210, v187, v2
	;; [unrolled: 1-line block ×3, first 2 shown]
	s_waitcnt lgkmcnt(0)
	v_cvt_f32_f16_e32 v144, v8
	v_cvt_f32_f16_sdwa v146, v8 dst_sel:DWORD dst_unused:UNUSED_PAD src0_sel:WORD_1
	ds_read2_b32 v[8:9], v10 offset1:1
	v_dot4c_i32_i8_e32 v210, v188, v3
	v_dot4c_i32_i8_e32 v155, v194, v7
	v_mov_b32_e32 v220, 0
	v_mov_b32_e32 v221, 0
	s_waitcnt lgkmcnt(0)
	v_ashrrev_i32_e32 v8, s17, v8
	v_and_b32_e32 v195, 0x3030303, v8
	v_ashrrev_i32_e32 v8, s17, v9
	v_and_b32_e32 v189, 0x3030303, v8
	ds_read2_b32 v[8:9], v10 offset0:2 offset1:3
	v_mov_b32_e32 v214, 0
	v_mov_b32_e32 v203, 0
	v_dot4c_i32_i8_e32 v203, v195, v4
	v_dot4c_i32_i8_e32 v203, v189, v5
	s_waitcnt lgkmcnt(0)
	v_ashrrev_i32_e32 v8, s17, v8
	v_and_b32_e32 v191, 0x3030303, v8
	v_ashrrev_i32_e32 v8, s17, v9
	v_and_b32_e32 v192, 0x3030303, v8
	ds_read2_b32 v[8:9], v10 offset0:4 offset1:5
	v_dot4c_i32_i8_e32 v203, v191, v6
	v_dot4c_i32_i8_e32 v203, v192, v7
	v_add_u32_e32 v202, s11, v161
	v_mov_b32_e32 v217, 0
	s_waitcnt lgkmcnt(0)
	v_ashrrev_i32_e32 v8, s17, v8
	v_and_b32_e32 v181, 0x3030303, v8
	v_ashrrev_i32_e32 v8, s17, v9
	v_and_b32_e32 v182, 0x3030303, v8
	ds_read2_b32 v[8:9], v10 offset0:6 offset1:7
	v_add_u32_e32 v10, s18, v97
	v_dot4c_i32_i8_e32 v214, v181, v0
	v_dot4c_i32_i8_e32 v214, v182, v1
	v_mov_b32_e32 v209, 0
	s_waitcnt lgkmcnt(0)
	v_ashrrev_i32_e32 v8, s17, v8
	v_and_b32_e32 v185, 0x3030303, v8
	v_ashrrev_i32_e32 v8, s17, v9
	v_and_b32_e32 v186, 0x3030303, v8
	v_add_u32_e32 v8, s19, v95
	ds_read_b32 v8, v8
	v_dot4c_i32_i8_e32 v214, v185, v2
	v_dot4c_i32_i8_e32 v214, v186, v3
	v_add_u32_e32 v201, s11, v160
	v_mov_b32_e32 v215, 0
	s_waitcnt lgkmcnt(0)
	v_cvt_f32_f16_e32 v148, v8
	v_cvt_f32_f16_sdwa v150, v8 dst_sel:DWORD dst_unused:UNUSED_PAD src0_sel:WORD_1
	ds_read2_b32 v[8:9], v10 offset1:1
	v_mov_b32_e32 v216, 0
	v_mov_b32_e32 v222, 0
	s_add_i32 s8, s8, 2
	s_cmp_lt_u32 s9, 30
	s_waitcnt lgkmcnt(0)
	v_ashrrev_i32_e32 v8, s17, v8
	v_and_b32_e32 v200, 0x3030303, v8
	v_ashrrev_i32_e32 v8, s17, v9
	v_and_b32_e32 v197, 0x3030303, v8
	ds_read2_b32 v[8:9], v10 offset0:2 offset1:3
	v_dot4c_i32_i8_e32 v209, v200, v4
	v_dot4c_i32_i8_e32 v209, v197, v5
	s_mov_b32 s11, s9
	s_waitcnt lgkmcnt(0)
	v_ashrrev_i32_e32 v8, s17, v8
	v_and_b32_e32 v198, 0x3030303, v8
	v_ashrrev_i32_e32 v8, s17, v9
	v_and_b32_e32 v199, 0x3030303, v8
	ds_read2_b32 v[8:9], v10 offset0:4 offset1:5
	v_dot4c_i32_i8_e32 v209, v198, v6
	v_dot4c_i32_i8_e32 v209, v199, v7
	s_waitcnt lgkmcnt(0)
	v_ashrrev_i32_e32 v8, s17, v8
	v_and_b32_e32 v173, 0x3030303, v8
	v_ashrrev_i32_e32 v8, s17, v9
	v_and_b32_e32 v174, 0x3030303, v8
	ds_read2_b32 v[8:9], v10 offset0:6 offset1:7
	v_add_u32_e32 v10, s18, v101
	v_dot4c_i32_i8_e32 v217, v173, v0
	v_dot4c_i32_i8_e32 v217, v174, v1
	s_waitcnt lgkmcnt(0)
	v_ashrrev_i32_e32 v8, s17, v8
	v_and_b32_e32 v175, 0x3030303, v8
	v_ashrrev_i32_e32 v8, s17, v9
	v_and_b32_e32 v176, 0x3030303, v8
	v_add_u32_e32 v8, s19, v99
	ds_read_b32 v8, v8
	v_dot4c_i32_i8_e32 v217, v175, v2
	v_dot4c_i32_i8_e32 v217, v176, v3
	s_waitcnt lgkmcnt(0)
	v_cvt_f32_f16_e32 v140, v8
	v_cvt_f32_f16_sdwa v142, v8 dst_sel:DWORD dst_unused:UNUSED_PAD src0_sel:WORD_1
	ds_read2_b32 v[8:9], v10 offset1:1
	s_waitcnt lgkmcnt(0)
	v_ashrrev_i32_e32 v8, s17, v8
	v_and_b32_e32 v180, 0x3030303, v8
	v_ashrrev_i32_e32 v8, s17, v9
	v_and_b32_e32 v177, 0x3030303, v8
	ds_read2_b32 v[8:9], v10 offset0:2 offset1:3
	v_dot4c_i32_i8_e32 v215, v180, v4
	v_dot4c_i32_i8_e32 v215, v177, v5
	s_waitcnt lgkmcnt(0)
	v_ashrrev_i32_e32 v8, s17, v8
	v_and_b32_e32 v178, 0x3030303, v8
	v_ashrrev_i32_e32 v8, s17, v9
	v_and_b32_e32 v179, 0x3030303, v8
	ds_read2_b32 v[8:9], v10 offset0:4 offset1:5
	v_dot4c_i32_i8_e32 v215, v178, v6
	v_dot4c_i32_i8_e32 v215, v179, v7
	s_waitcnt lgkmcnt(0)
	v_ashrrev_i32_e32 v8, s17, v8
	v_and_b32_e32 v149, 0x3030303, v8
	v_ashrrev_i32_e32 v8, s17, v9
	v_and_b32_e32 v151, 0x3030303, v8
	ds_read2_b32 v[8:9], v10 offset0:6 offset1:7
	v_dot4c_i32_i8_e32 v216, v149, v0
	v_dot4c_i32_i8_e32 v216, v151, v1
	s_waitcnt lgkmcnt(0)
	v_ashrrev_i32_e32 v8, s17, v8
	v_and_b32_e32 v171, 0x3030303, v8
	v_ashrrev_i32_e32 v8, s17, v9
	v_and_b32_e32 v172, 0x3030303, v8
	v_add_u32_e32 v8, s19, v103
	ds_read_b32 v8, v8
	v_dot4c_i32_i8_e32 v216, v171, v2
	v_dot4c_i32_i8_e32 v216, v172, v3
	s_waitcnt lgkmcnt(0)
	v_cvt_f32_f16_e32 v136, v8
	v_cvt_f32_f16_sdwa v138, v8 dst_sel:DWORD dst_unused:UNUSED_PAD src0_sel:WORD_1
	ds_read_b128 v[12:15], v145 offset:1024
	ds_read_b128 v[8:11], v145 offset:1040
	ds_read_u16 v154, v154 offset:25074
	ds_read_u16 v204, v204 offset:26098
	s_waitcnt lgkmcnt(3)
	v_dot4c_i32_i8_e32 v211, v196, v12
	v_dot4c_i32_i8_e32 v211, v190, v13
	s_waitcnt lgkmcnt(1)
	v_bfe_u32 v205, v154, 4, 4
	v_mul_lo_u32 v208, v205, s1
	v_dot4c_i32_i8_e32 v213, v208, v4
	v_dot4c_i32_i8_e32 v218, v208, v12
	;; [unrolled: 1-line block ×7, first 2 shown]
	v_lshrrev_b32_sdwa v205, v169, v154 dst_sel:DWORD dst_unused:UNUSED_PAD src0_sel:DWORD src1_sel:BYTE_1
	v_dot4c_i32_i8_e32 v218, v208, v14
	v_dot4c_i32_i8_e32 v211, v194, v15
	;; [unrolled: 1-line block ×4, first 2 shown]
	v_mul_lo_u32 v207, v205, s1
	v_and_b32_sdwa v205, v154, v170 dst_sel:DWORD dst_unused:UNUSED_PAD src0_sel:BYTE_1 src1_sel:DWORD
	v_and_b32_e32 v206, 15, v154
	v_dot4c_i32_i8_e32 v218, v208, v15
	v_dot4c_i32_i8_e32 v212, v187, v10
	;; [unrolled: 1-line block ×3, first 2 shown]
	v_mul_lo_u32 v154, v206, v211
	v_mul_lo_u32 v210, v205, v210
	v_dot4c_i32_i8_e32 v218, v207, v8
                                        ; kill: def $vgpr211 killed $sgpr0 killed $exec
	v_dot4c_i32_i8_e32 v212, v188, v11
	v_dot4c_i32_i8_e32 v213, v207, v1
	;; [unrolled: 1-line block ×3, first 2 shown]
	v_mad_u64_u32 v[210:211], s[18:19], v206, v155, v[210:211]
                                        ; kill: def $vgpr155 killed $sgpr0 killed $exec
	v_dot4c_i32_i8_e32 v213, v207, v2
	v_dot4c_i32_i8_e32 v218, v207, v10
	v_mad_u64_u32 v[154:155], s[18:19], v205, v212, v[154:155]
	v_dot4c_i32_i8_e32 v213, v207, v3
	v_dot4c_i32_i8_e32 v218, v207, v11
	v_cvt_f32_i32_e32 v155, v154
	v_cvt_f32_i32_e32 v154, v210
	;; [unrolled: 1-line block ×4, first 2 shown]
	v_pk_mul_f32 v[154:155], v[144:145], v[154:155] op_sel_hi:[0,1]
	v_pk_fma_f32 v[210:211], v[146:147], v[210:211], v[154:155] op_sel:[0,0,1] op_sel_hi:[0,1,0] neg_lo:[1,0,0] neg_hi:[1,0,0]
	v_mov_b32_e32 v154, v153
	v_mov_b32_e32 v155, v152
	v_pk_fma_f32 v[124:125], v[154:155], v[210:211], v[124:125]
	s_waitcnt lgkmcnt(0)
	v_bfe_u32 v210, v204, 4, 4
	v_mul_lo_u32 v213, v210, s1
	v_mov_b32_e32 v152, 0
	v_dot4c_i32_i8_e32 v220, v213, v4
	v_dot4c_i32_i8_e32 v221, v213, v12
	;; [unrolled: 1-line block ×3, first 2 shown]
	v_mov_b32_e32 v153, 0
	v_dot4c_i32_i8_e32 v220, v213, v5
	v_dot4c_i32_i8_e32 v221, v213, v13
	;; [unrolled: 1-line block ×5, first 2 shown]
	v_lshrrev_b32_sdwa v210, v169, v204 dst_sel:DWORD dst_unused:UNUSED_PAD src0_sel:DWORD src1_sel:BYTE_1
	v_dot4c_i32_i8_e32 v221, v213, v14
	v_dot4c_i32_i8_e32 v152, v191, v14
	;; [unrolled: 1-line block ×4, first 2 shown]
	v_mul_lo_u32 v212, v210, s1
	v_dot4c_i32_i8_e32 v221, v213, v15
	v_dot4c_i32_i8_e32 v152, v192, v15
	;; [unrolled: 1-line block ×4, first 2 shown]
	v_and_b32_sdwa v210, v204, v170 dst_sel:DWORD dst_unused:UNUSED_PAD src0_sel:BYTE_1 src1_sel:DWORD
	v_and_b32_e32 v211, 15, v204
	v_dot4c_i32_i8_e32 v221, v212, v8
	v_dot4c_i32_i8_e32 v153, v186, v11
	;; [unrolled: 1-line block ×3, first 2 shown]
	v_mul_lo_u32 v152, v211, v152
	v_mul_lo_u32 v204, v210, v214
	v_dot4c_i32_i8_e32 v221, v212, v9
	v_dot4c_i32_i8_e32 v220, v212, v2
	;; [unrolled: 1-line block ×3, first 2 shown]
	v_mad_u64_u32 v[218:219], s[18:19], v211, v203, v[204:205]
	v_mad_u64_u32 v[152:153], s[18:19], v210, v153, v[152:153]
	ds_read_u16 v203, v202 offset:27122
	v_dot4c_i32_i8_e32 v220, v212, v3
	v_dot4c_i32_i8_e32 v221, v212, v11
	v_cvt_f32_i32_e32 v153, v152
	v_cvt_f32_i32_e32 v152, v218
	;; [unrolled: 1-line block ×4, first 2 shown]
	s_waitcnt lgkmcnt(0)
	v_bfe_u32 v202, v203, 4, 4
	v_pk_mul_f32 v[152:153], v[148:149], v[152:153] op_sel_hi:[0,1]
	v_mul_lo_u32 v214, v202, s1
	v_pk_fma_f32 v[152:153], v[150:151], v[218:219], v[152:153] op_sel:[0,0,1] op_sel_hi:[0,1,0] neg_lo:[1,0,0] neg_hi:[1,0,0]
	v_mov_b32_e32 v220, 0
	v_mov_b32_e32 v221, 0
	v_pk_fma_f32 v[122:123], v[154:155], v[152:153], v[122:123]
	v_mov_b32_e32 v152, 0
	v_dot4c_i32_i8_e32 v220, v214, v4
	v_dot4c_i32_i8_e32 v221, v214, v12
	;; [unrolled: 1-line block ×3, first 2 shown]
	v_mov_b32_e32 v153, 0
	v_dot4c_i32_i8_e32 v220, v214, v5
	v_dot4c_i32_i8_e32 v221, v214, v13
	;; [unrolled: 1-line block ×5, first 2 shown]
	v_lshrrev_b32_sdwa v202, v169, v203 dst_sel:DWORD dst_unused:UNUSED_PAD src0_sel:DWORD src1_sel:BYTE_1
	v_dot4c_i32_i8_e32 v221, v214, v14
	v_dot4c_i32_i8_e32 v152, v198, v14
	;; [unrolled: 1-line block ×4, first 2 shown]
	v_mul_lo_u32 v204, v202, s1
	v_dot4c_i32_i8_e32 v221, v214, v15
	v_dot4c_i32_i8_e32 v152, v199, v15
	v_dot4c_i32_i8_e32 v153, v175, v10
	v_dot4c_i32_i8_e32 v220, v204, v0
	v_and_b32_sdwa v202, v203, v170 dst_sel:DWORD dst_unused:UNUSED_PAD src0_sel:BYTE_1 src1_sel:DWORD
	v_and_b32_e32 v203, 15, v203
	v_dot4c_i32_i8_e32 v221, v204, v8
	v_dot4c_i32_i8_e32 v153, v176, v11
	;; [unrolled: 1-line block ×3, first 2 shown]
	v_mul_lo_u32 v152, v203, v152
	v_mul_lo_u32 v218, v202, v217
	v_dot4c_i32_i8_e32 v221, v204, v9
	v_dot4c_i32_i8_e32 v220, v204, v2
	;; [unrolled: 1-line block ×3, first 2 shown]
	v_mad_u64_u32 v[218:219], s[18:19], v203, v209, v[218:219]
	v_mad_u64_u32 v[152:153], s[18:19], v202, v153, v[152:153]
	v_dot4c_i32_i8_e32 v220, v204, v3
	v_dot4c_i32_i8_e32 v221, v204, v11
	v_cvt_f32_i32_e32 v153, v152
	v_cvt_f32_i32_e32 v152, v218
	;; [unrolled: 1-line block ×4, first 2 shown]
	v_mov_b32_e32 v217, 0
	v_pk_mul_f32 v[152:153], v[140:141], v[152:153] op_sel_hi:[0,1]
	v_dot4c_i32_i8_e32 v217, v180, v12
	v_pk_fma_f32 v[152:153], v[142:143], v[218:219], v[152:153] op_sel:[0,0,1] op_sel_hi:[0,1,0] neg_lo:[1,0,0] neg_hi:[1,0,0]
	v_pk_fma_f32 v[114:115], v[154:155], v[152:153], v[114:115]
	ds_read_u16 v153, v201 offset:28146
	v_mov_b32_e32 v219, 0
	v_mov_b32_e32 v218, 0
	v_dot4c_i32_i8_e32 v217, v177, v13
	v_dot4c_i32_i8_e32 v218, v149, v8
	s_waitcnt lgkmcnt(0)
	v_bfe_u32 v152, v153, 4, 4
	v_mul_lo_u32 v209, v152, s1
	v_dot4c_i32_i8_e32 v219, v209, v4
	v_lshrrev_b32_sdwa v4, v169, v153 dst_sel:DWORD dst_unused:UNUSED_PAD src0_sel:DWORD src1_sel:BYTE_1
	v_mul_lo_u32 v201, v4, s1
	v_mov_b32_e32 v4, 0
	v_dot4c_i32_i8_e32 v219, v209, v5
	v_dot4c_i32_i8_e32 v4, v209, v12
	;; [unrolled: 1-line block ×13, first 2 shown]
	v_and_b32_sdwa v152, v153, v170 dst_sel:DWORD dst_unused:UNUSED_PAD src0_sel:BYTE_1 src1_sel:DWORD
	v_and_b32_e32 v153, 15, v153
	v_dot4c_i32_i8_e32 v4, v201, v8
	v_dot4c_i32_i8_e32 v218, v172, v11
	;; [unrolled: 1-line block ×3, first 2 shown]
	v_mul_lo_u32 v0, v153, v217
	v_mul_lo_u32 v2, v152, v216
	v_dot4c_i32_i8_e32 v4, v201, v9
                                        ; kill: def $vgpr1 killed $sgpr0 killed $exec
	v_dot4c_i32_i8_e32 v219, v201, v3
	v_dot4c_i32_i8_e32 v4, v201, v10
	v_mad_u64_u32 v[2:3], s[18:19], v153, v215, v[2:3]
	v_mad_u64_u32 v[0:1], s[18:19], v152, v218, v[0:1]
	v_dot4c_i32_i8_e32 v4, v201, v11
	v_cvt_f32_i32_e32 v1, v0
	v_cvt_f32_i32_e32 v0, v2
	;; [unrolled: 1-line block ×4, first 2 shown]
	v_mov_b32_e32 v14, 0
	v_pk_mul_f32 v[0:1], v[136:137], v[0:1] op_sel_hi:[0,1]
	v_mov_b32_e32 v216, 0
	v_pk_fma_f32 v[0:1], v[138:139], v[2:3], v[0:1] op_sel:[0,0,1] op_sel_hi:[0,1,0] neg_lo:[1,0,0] neg_hi:[1,0,0]
	v_pk_fma_f32 v[110:111], v[154:155], v[0:1], v[110:111]
	ds_read2_b32 v[8:9], v147 offset0:64 offset1:96
	ds_read_b128 v[0:3], v145 offset:2048
	ds_read_b128 v[4:7], v145 offset:2064
	v_mov_b32_e32 v154, 0
	v_mov_b32_e32 v219, 0
	;; [unrolled: 1-line block ×3, first 2 shown]
	s_waitcnt lgkmcnt(1)
	v_dot4c_i32_i8_e32 v14, v208, v0
	v_dot4c_i32_i8_e32 v154, v213, v0
	;; [unrolled: 1-line block ×13, first 2 shown]
	v_mov_b32_e32 v12, 0
	v_mov_b32_e32 v15, 0
	v_dot4c_i32_i8_e32 v154, v213, v3
	v_mov_b32_e32 v155, 0
	v_mov_b32_e32 v215, 0
	v_dot4c_i32_i8_e32 v216, v214, v3
	;; [unrolled: 3-line block ×3, first 2 shown]
	v_mov_b32_e32 v220, 0
	v_dot4c_i32_i8_e32 v11, v196, v0
	s_waitcnt lgkmcnt(0)
	v_dot4c_i32_i8_e32 v12, v183, v4
	v_dot4c_i32_i8_e32 v14, v207, v4
	;; [unrolled: 1-line block ×47, first 2 shown]
	ds_read_b128 v[4:7], v145 offset:3072
	ds_read_b128 v[0:3], v145 offset:3088
	v_mov_b32_e32 v221, 0
	v_mov_b32_e32 v10, 0
	v_mul_lo_u32 v12, v12, v205
	s_waitcnt lgkmcnt(1)
	v_dot4c_i32_i8_e32 v221, v208, v4
	v_dot4c_i32_i8_e32 v221, v208, v5
	;; [unrolled: 1-line block ×6, first 2 shown]
	s_waitcnt lgkmcnt(0)
	v_dot4c_i32_i8_e32 v222, v183, v0
	v_dot4c_i32_i8_e32 v10, v193, v6
	;; [unrolled: 1-line block ×7, first 2 shown]
                                        ; kill: def $vgpr13 killed $sgpr0 killed $exec
	v_dot4c_i32_i8_e32 v221, v207, v2
	v_dot4c_i32_i8_e32 v222, v188, v3
	v_mul_lo_u32 v10, v10, v206
	v_mad_u64_u32 v[12:13], s[18:19], v11, v206, v[12:13]
                                        ; kill: def $vgpr11 killed $sgpr0 killed $exec
	v_dot4c_i32_i8_e32 v221, v207, v3
	v_mad_u64_u32 v[10:11], s[18:19], v222, v205, v[10:11]
	v_cvt_f32_i32_e32 v11, v10
	v_cvt_f32_i32_e32 v10, v12
	;; [unrolled: 1-line block ×4, first 2 shown]
	v_mov_b32_e32 v14, 0
	v_dot4c_i32_i8_e32 v14, v213, v4
	v_dot4c_i32_i8_e32 v14, v213, v5
	v_pk_mul_f32 v[12:13], v[146:147], v[12:13] op_sel_hi:[0,1]
	v_pk_fma_f32 v[10:11], v[144:145], v[10:11], v[12:13] op_sel_hi:[0,1,1] neg_lo:[0,0,1] neg_hi:[0,0,1]
	v_pk_fma_f32 v[38:39], v[8:9], v[10:11], v[38:39]
	v_mov_b32_e32 v10, 0
	v_dot4c_i32_i8_e32 v10, v195, v4
	v_dot4c_i32_i8_e32 v14, v213, v6
	v_mov_b32_e32 v11, 0
	v_dot4c_i32_i8_e32 v10, v189, v5
	v_dot4c_i32_i8_e32 v14, v213, v7
	;; [unrolled: 1-line block ×11, first 2 shown]
	v_mul_lo_u32 v10, v10, v211
	v_mul_lo_u32 v12, v155, v210
                                        ; kill: def $vgpr13 killed $sgpr0 killed $exec
	v_dot4c_i32_i8_e32 v14, v212, v3
	v_mad_u64_u32 v[12:13], s[18:19], v15, v211, v[12:13]
	v_mad_u64_u32 v[10:11], s[18:19], v11, v210, v[10:11]
	v_cvt_f32_i32_e32 v11, v10
	v_cvt_f32_i32_e32 v10, v12
	;; [unrolled: 1-line block ×4, first 2 shown]
	v_mov_b32_e32 v14, 0
	v_dot4c_i32_i8_e32 v14, v214, v4
	v_dot4c_i32_i8_e32 v14, v214, v5
	v_pk_mul_f32 v[12:13], v[150:151], v[12:13] op_sel_hi:[0,1]
	v_pk_fma_f32 v[10:11], v[148:149], v[10:11], v[12:13] op_sel_hi:[0,1,1] neg_lo:[0,0,1] neg_hi:[0,0,1]
	v_pk_fma_f32 v[36:37], v[8:9], v[10:11], v[36:37]
	v_mov_b32_e32 v10, 0
	v_dot4c_i32_i8_e32 v10, v200, v4
	v_dot4c_i32_i8_e32 v14, v214, v6
	v_mov_b32_e32 v11, 0
	v_dot4c_i32_i8_e32 v10, v197, v5
	v_dot4c_i32_i8_e32 v14, v214, v7
	;; [unrolled: 1-line block ×11, first 2 shown]
	v_mul_lo_u32 v10, v10, v203
	v_mul_lo_u32 v12, v217, v202
                                        ; kill: def $vgpr13 killed $sgpr0 killed $exec
	v_dot4c_i32_i8_e32 v14, v204, v3
	v_mad_u64_u32 v[12:13], s[18:19], v215, v203, v[12:13]
	v_mad_u64_u32 v[10:11], s[18:19], v11, v202, v[10:11]
	v_cvt_f32_i32_e32 v11, v10
	v_cvt_f32_i32_e32 v10, v12
	;; [unrolled: 1-line block ×4, first 2 shown]
	v_mov_b32_e32 v14, 0
	v_mov_b32_e32 v154, 0
	;; [unrolled: 1-line block ×3, first 2 shown]
	v_pk_mul_f32 v[12:13], v[142:143], v[12:13] op_sel_hi:[0,1]
	v_pk_fma_f32 v[10:11], v[140:141], v[10:11], v[12:13] op_sel_hi:[0,1,1] neg_lo:[0,0,1] neg_hi:[0,0,1]
	v_pk_fma_f32 v[34:35], v[8:9], v[10:11], v[34:35]
	v_mov_b32_e32 v11, 0
	v_dot4c_i32_i8_e32 v11, v209, v4
	v_mov_b32_e32 v10, 0
	v_dot4c_i32_i8_e32 v11, v209, v5
	v_dot4c_i32_i8_e32 v10, v180, v4
	;; [unrolled: 1-line block ×3, first 2 shown]
	v_mov_b32_e32 v4, 0
	v_dot4c_i32_i8_e32 v10, v177, v5
	v_dot4c_i32_i8_e32 v11, v209, v7
	;; [unrolled: 1-line block ×11, first 2 shown]
	v_mul_lo_u32 v0, v10, v153
	v_mul_lo_u32 v2, v220, v152
                                        ; kill: def $vgpr1 killed $sgpr0 killed $exec
	v_dot4c_i32_i8_e32 v11, v201, v3
	v_mad_u64_u32 v[2:3], s[18:19], v218, v153, v[2:3]
	v_mad_u64_u32 v[0:1], s[18:19], v4, v152, v[0:1]
	v_cvt_f32_i32_e32 v1, v0
	v_cvt_f32_i32_e32 v0, v2
	;; [unrolled: 1-line block ×4, first 2 shown]
	v_mov_b32_e32 v219, 0
	v_mov_b32_e32 v11, 0
	;; [unrolled: 1-line block ×3, first 2 shown]
	v_pk_mul_f32 v[2:3], v[138:139], v[2:3] op_sel_hi:[0,1]
	v_pk_fma_f32 v[0:1], v[136:137], v[0:1], v[2:3] op_sel_hi:[0,1,1] neg_lo:[0,0,1] neg_hi:[0,0,1]
	v_pk_fma_f32 v[32:33], v[8:9], v[0:1], v[32:33]
	ds_read2_b32 v[8:9], v147 offset0:128 offset1:160
	ds_read_b128 v[0:3], v145 offset:4096
	ds_read_b128 v[4:7], v145 offset:4112
	v_mov_b32_e32 v15, 0
	v_mov_b32_e32 v155, 0
	;; [unrolled: 1-line block ×3, first 2 shown]
	s_waitcnt lgkmcnt(1)
	v_dot4c_i32_i8_e32 v14, v208, v0
	v_dot4c_i32_i8_e32 v154, v213, v0
	;; [unrolled: 1-line block ×15, first 2 shown]
	v_mov_b32_e32 v217, 0
	v_mov_b32_e32 v218, 0
	v_dot4c_i32_i8_e32 v219, v209, v3
	v_mov_b32_e32 v220, 0
	v_dot4c_i32_i8_e32 v11, v196, v0
	s_waitcnt lgkmcnt(0)
	v_dot4c_i32_i8_e32 v12, v183, v4
	v_dot4c_i32_i8_e32 v14, v207, v4
	;; [unrolled: 1-line block ×47, first 2 shown]
	ds_read_b128 v[4:7], v145 offset:5120
	ds_read_b128 v[0:3], v145 offset:5136
	v_mov_b32_e32 v221, 0
	v_mov_b32_e32 v10, 0
	v_mov_b32_e32 v222, 0
	s_waitcnt lgkmcnt(1)
	v_dot4c_i32_i8_e32 v221, v208, v4
	v_dot4c_i32_i8_e32 v221, v208, v5
	;; [unrolled: 1-line block ×6, first 2 shown]
	s_waitcnt lgkmcnt(0)
	v_dot4c_i32_i8_e32 v222, v183, v0
	v_dot4c_i32_i8_e32 v10, v193, v6
	;; [unrolled: 1-line block ×7, first 2 shown]
	v_mul_lo_u32 v12, v12, v205
                                        ; kill: def $vgpr13 killed $sgpr0 killed $exec
	v_dot4c_i32_i8_e32 v221, v207, v2
	v_dot4c_i32_i8_e32 v222, v188, v3
	v_mul_lo_u32 v10, v10, v206
	v_mad_u64_u32 v[12:13], s[18:19], v11, v206, v[12:13]
                                        ; kill: def $vgpr11 killed $sgpr0 killed $exec
	v_dot4c_i32_i8_e32 v221, v207, v3
	v_mad_u64_u32 v[10:11], s[18:19], v222, v205, v[10:11]
	v_cvt_f32_i32_e32 v11, v10
	v_cvt_f32_i32_e32 v10, v12
	;; [unrolled: 1-line block ×4, first 2 shown]
	v_mov_b32_e32 v14, 0
	v_dot4c_i32_i8_e32 v14, v213, v4
	v_dot4c_i32_i8_e32 v14, v213, v5
	v_pk_mul_f32 v[12:13], v[146:147], v[12:13] op_sel_hi:[0,1]
	v_pk_fma_f32 v[10:11], v[144:145], v[10:11], v[12:13] op_sel_hi:[0,1,1] neg_lo:[0,0,1] neg_hi:[0,0,1]
	v_pk_fma_f32 v[30:31], v[8:9], v[10:11], v[30:31]
	v_mov_b32_e32 v10, 0
	v_dot4c_i32_i8_e32 v10, v195, v4
	v_dot4c_i32_i8_e32 v14, v213, v6
	v_mov_b32_e32 v11, 0
	v_dot4c_i32_i8_e32 v10, v189, v5
	v_dot4c_i32_i8_e32 v14, v213, v7
	;; [unrolled: 1-line block ×11, first 2 shown]
	v_mul_lo_u32 v10, v10, v211
	v_mul_lo_u32 v12, v155, v210
                                        ; kill: def $vgpr13 killed $sgpr0 killed $exec
	v_dot4c_i32_i8_e32 v14, v212, v3
	v_mad_u64_u32 v[12:13], s[18:19], v15, v211, v[12:13]
	v_mad_u64_u32 v[10:11], s[18:19], v11, v210, v[10:11]
	v_cvt_f32_i32_e32 v11, v10
	v_cvt_f32_i32_e32 v10, v12
	;; [unrolled: 1-line block ×4, first 2 shown]
	v_mov_b32_e32 v14, 0
	v_dot4c_i32_i8_e32 v14, v214, v4
	v_dot4c_i32_i8_e32 v14, v214, v5
	v_pk_mul_f32 v[12:13], v[150:151], v[12:13] op_sel_hi:[0,1]
	v_pk_fma_f32 v[10:11], v[148:149], v[10:11], v[12:13] op_sel_hi:[0,1,1] neg_lo:[0,0,1] neg_hi:[0,0,1]
	v_pk_fma_f32 v[28:29], v[8:9], v[10:11], v[28:29]
	v_mov_b32_e32 v10, 0
	v_dot4c_i32_i8_e32 v10, v200, v4
	v_dot4c_i32_i8_e32 v14, v214, v6
	v_mov_b32_e32 v11, 0
	v_dot4c_i32_i8_e32 v10, v197, v5
	v_dot4c_i32_i8_e32 v14, v214, v7
	;; [unrolled: 1-line block ×11, first 2 shown]
	v_mul_lo_u32 v10, v10, v203
	v_mul_lo_u32 v12, v217, v202
                                        ; kill: def $vgpr13 killed $sgpr0 killed $exec
	v_dot4c_i32_i8_e32 v14, v204, v3
	v_mad_u64_u32 v[12:13], s[18:19], v215, v203, v[12:13]
	v_mad_u64_u32 v[10:11], s[18:19], v11, v202, v[10:11]
	v_cvt_f32_i32_e32 v11, v10
	v_cvt_f32_i32_e32 v10, v12
	;; [unrolled: 1-line block ×4, first 2 shown]
	v_mov_b32_e32 v215, 0
	v_mov_b32_e32 v217, 0
	;; [unrolled: 1-line block ×3, first 2 shown]
	v_pk_mul_f32 v[12:13], v[142:143], v[12:13] op_sel_hi:[0,1]
	v_pk_fma_f32 v[10:11], v[140:141], v[10:11], v[12:13] op_sel_hi:[0,1,1] neg_lo:[0,0,1] neg_hi:[0,0,1]
	v_pk_fma_f32 v[26:27], v[8:9], v[10:11], v[26:27]
	v_mov_b32_e32 v11, 0
	v_dot4c_i32_i8_e32 v11, v209, v4
	v_mov_b32_e32 v10, 0
	v_dot4c_i32_i8_e32 v11, v209, v5
	v_dot4c_i32_i8_e32 v10, v180, v4
	;; [unrolled: 1-line block ×3, first 2 shown]
	v_mov_b32_e32 v4, 0
	v_dot4c_i32_i8_e32 v10, v177, v5
	v_dot4c_i32_i8_e32 v11, v209, v7
	;; [unrolled: 1-line block ×11, first 2 shown]
	v_mul_lo_u32 v0, v10, v153
	v_mul_lo_u32 v2, v220, v152
                                        ; kill: def $vgpr1 killed $sgpr0 killed $exec
	v_dot4c_i32_i8_e32 v11, v201, v3
	v_mad_u64_u32 v[2:3], s[18:19], v218, v153, v[2:3]
	v_mad_u64_u32 v[0:1], s[18:19], v4, v152, v[0:1]
	v_cvt_f32_i32_e32 v1, v0
	v_cvt_f32_i32_e32 v0, v2
	;; [unrolled: 1-line block ×4, first 2 shown]
	v_mov_b32_e32 v13, 0
	v_mov_b32_e32 v10, 0
	v_mov_b32_e32 v155, 0
	v_pk_mul_f32 v[2:3], v[138:139], v[2:3] op_sel_hi:[0,1]
	v_pk_fma_f32 v[0:1], v[136:137], v[0:1], v[2:3] op_sel_hi:[0,1,1] neg_lo:[0,0,1] neg_hi:[0,0,1]
	v_pk_fma_f32 v[24:25], v[8:9], v[0:1], v[24:25]
	ds_read2_b32 v[8:9], v147 offset0:192 offset1:224
	ds_read_b128 v[0:3], v145 offset:6144
	ds_read_b128 v[4:7], v145 offset:6160
	v_mov_b32_e32 v216, 0
	v_mov_b32_e32 v218, 0
	;; [unrolled: 1-line block ×3, first 2 shown]
	s_waitcnt lgkmcnt(1)
	v_dot4c_i32_i8_e32 v215, v208, v0
	v_dot4c_i32_i8_e32 v217, v213, v0
	;; [unrolled: 1-line block ×15, first 2 shown]
	v_mov_b32_e32 v219, 0
	v_mov_b32_e32 v11, 0
	v_dot4c_i32_i8_e32 v10, v209, v3
	v_mov_b32_e32 v12, 0
	v_dot4c_i32_i8_e32 v15, v196, v0
	s_waitcnt lgkmcnt(0)
	v_dot4c_i32_i8_e32 v155, v183, v4
	v_dot4c_i32_i8_e32 v215, v207, v4
	;; [unrolled: 1-line block ×47, first 2 shown]
	ds_read_b128 v[4:7], v145 offset:7168
	ds_read_b128 v[0:3], v145 offset:7184
	v_mov_b32_e32 v154, 0
	s_waitcnt lgkmcnt(1)
	v_dot4c_i32_i8_e32 v154, v196, v4
	v_mov_b32_e32 v196, 0
	v_dot4c_i32_i8_e32 v196, v208, v4
	v_dot4c_i32_i8_e32 v196, v208, v5
	;; [unrolled: 1-line block ×5, first 2 shown]
	v_mov_b32_e32 v190, 0
	s_waitcnt lgkmcnt(0)
	v_dot4c_i32_i8_e32 v190, v183, v0
	v_dot4c_i32_i8_e32 v196, v207, v0
	;; [unrolled: 1-line block ×8, first 2 shown]
	v_mul_lo_u32 v184, v155, v205
	v_dot4c_i32_i8_e32 v190, v188, v3
	v_dot4c_i32_i8_e32 v196, v207, v3
	v_mul_lo_u32 v154, v154, v206
                                        ; kill: def $vgpr155 killed $sgpr0 killed $exec
	v_mad_u64_u32 v[206:207], s[18:19], v15, v206, v[184:185]
	v_mov_b32_e32 v184, 0
	v_mad_u64_u32 v[154:155], s[18:19], v190, v205, v[154:155]
	v_dot4c_i32_i8_e32 v184, v213, v4
	v_cvt_f32_i32_e32 v155, v154
	v_cvt_f32_i32_e32 v154, v206
	;; [unrolled: 1-line block ×4, first 2 shown]
	v_mov_b32_e32 v15, 0
	v_dot4c_i32_i8_e32 v184, v213, v5
	v_dot4c_i32_i8_e32 v15, v195, v4
	;; [unrolled: 1-line block ×3, first 2 shown]
	v_mov_b32_e32 v183, 0
	v_dot4c_i32_i8_e32 v15, v189, v5
	v_dot4c_i32_i8_e32 v184, v213, v7
	v_dot4c_i32_i8_e32 v183, v181, v0
	v_dot4c_i32_i8_e32 v15, v191, v6
	v_dot4c_i32_i8_e32 v184, v212, v0
	v_dot4c_i32_i8_e32 v183, v182, v1
	v_pk_mul_f32 v[206:207], v[146:147], v[206:207] op_sel_hi:[0,1]
	v_dot4c_i32_i8_e32 v15, v192, v7
	v_dot4c_i32_i8_e32 v184, v212, v1
	;; [unrolled: 1-line block ×3, first 2 shown]
	v_pk_fma_f32 v[154:155], v[144:145], v[154:155], v[206:207] op_sel_hi:[0,1,1] neg_lo:[0,0,1] neg_hi:[0,0,1]
	v_dot4c_i32_i8_e32 v184, v212, v2
	v_dot4c_i32_i8_e32 v183, v186, v3
	v_mul_lo_u32 v144, v15, v211
	v_mul_lo_u32 v146, v218, v210
	v_pk_fma_f32 v[22:23], v[8:9], v[154:155], v[22:23]
	v_dot4c_i32_i8_e32 v184, v212, v3
	v_mad_u64_u32 v[154:155], s[18:19], v216, v211, v[146:147]
	v_mad_u64_u32 v[182:183], s[18:19], v183, v210, v[144:145]
	v_cvt_f32_i32_e32 v155, v182
	v_cvt_f32_i32_e32 v183, v184
	;; [unrolled: 1-line block ×4, first 2 shown]
	v_mov_b32_e32 v15, 0
	v_dot4c_i32_i8_e32 v15, v200, v4
	v_pk_mul_f32 v[182:183], v[150:151], v[182:183] op_sel_hi:[0,1]
	v_pk_fma_f32 v[154:155], v[148:149], v[154:155], v[182:183] op_sel_hi:[0,1,1] neg_lo:[0,0,1] neg_hi:[0,0,1]
	v_mov_b32_e32 v148, 0
	v_dot4c_i32_i8_e32 v148, v214, v4
	v_dot4c_i32_i8_e32 v148, v214, v5
	v_dot4c_i32_i8_e32 v148, v214, v6
	v_mov_b32_e32 v150, 0
	v_dot4c_i32_i8_e32 v15, v197, v5
	v_dot4c_i32_i8_e32 v148, v214, v7
	;; [unrolled: 1-line block ×11, first 2 shown]
	v_mul_lo_u32 v144, v15, v203
	v_mul_lo_u32 v146, v219, v202
	v_pk_fma_f32 v[20:21], v[8:9], v[154:155], v[20:21]
	v_dot4c_i32_i8_e32 v148, v204, v3
	v_mad_u64_u32 v[14:15], s[18:19], v14, v203, v[146:147]
	v_mad_u64_u32 v[154:155], s[18:19], v150, v202, v[144:145]
	v_cvt_f32_i32_e32 v15, v154
	v_cvt_f32_i32_e32 v155, v148
	;; [unrolled: 1-line block ×4, first 2 shown]
	v_mov_b32_e32 v13, 0
	v_dot4c_i32_i8_e32 v13, v180, v4
	v_pk_mul_f32 v[154:155], v[142:143], v[154:155] op_sel_hi:[0,1]
	v_pk_fma_f32 v[14:15], v[140:141], v[14:15], v[154:155] op_sel_hi:[0,1,1] neg_lo:[0,0,1] neg_hi:[0,0,1]
	v_pk_fma_f32 v[18:19], v[8:9], v[14:15], v[18:19]
	v_mov_b32_e32 v14, 0
	v_dot4c_i32_i8_e32 v14, v209, v4
	v_dot4c_i32_i8_e32 v14, v209, v5
	;; [unrolled: 1-line block ×3, first 2 shown]
	v_mov_b32_e32 v4, 0
	v_dot4c_i32_i8_e32 v13, v177, v5
	v_dot4c_i32_i8_e32 v14, v209, v7
	;; [unrolled: 1-line block ×11, first 2 shown]
	v_mul_lo_u32 v0, v13, v153
	v_mul_lo_u32 v2, v12, v152
                                        ; kill: def $vgpr1 killed $sgpr0 killed $exec
	v_dot4c_i32_i8_e32 v14, v201, v3
	v_mad_u64_u32 v[2:3], s[18:19], v11, v153, v[2:3]
	v_mad_u64_u32 v[0:1], s[18:19], v4, v152, v[0:1]
	v_cvt_f32_i32_e32 v1, v0
	v_cvt_f32_i32_e32 v0, v2
	;; [unrolled: 1-line block ×4, first 2 shown]
	v_add_u32_e32 v147, 4, v147
	v_add_u32_e32 v145, 32, v145
	v_pk_mul_f32 v[2:3], v[138:139], v[2:3] op_sel_hi:[0,1]
	v_pk_fma_f32 v[0:1], v[136:137], v[0:1], v[2:3] op_sel_hi:[0,1,1] neg_lo:[0,0,1] neg_hi:[0,0,1]
	v_pk_fma_f32 v[16:17], v[8:9], v[0:1], v[16:17]
	s_cbranch_scc1 .LBB148_14
; %bb.15:                               ;   in Loop: Header=BB148_6 Depth=1
	s_barrier
	s_branch .LBB148_5
.LBB148_16:
	v_mov_b32_e32 v1, v45
.LBB148_17:
	v_cmp_gt_u32_e32 vcc, s10, v47
	s_and_saveexec_b64 s[0:1], vcc
	s_cbranch_execz .LBB148_68
; %bb.18:
	v_add_u32_e32 v0, s16, v41
	v_mul_lo_u32 v5, v47, s14
	v_cmp_gt_u32_e32 vcc, s14, v0
	s_and_saveexec_b64 s[0:1], vcc
	s_cbranch_execz .LBB148_20
; %bb.19:
	v_cvt_f16_f32_e32 v4, v125
	v_add_u32_e32 v2, v0, v5
	v_mov_b32_e32 v3, 0
	s_waitcnt lgkmcnt(0)
	v_lshl_add_u64 v[2:3], v[2:3], 1, s[12:13]
	global_store_short v[2:3], v4, off
.LBB148_20:
	s_or_b64 exec, exec, s[0:1]
	v_add_u32_e32 v2, 32, v0
	v_cmp_gt_u32_e64 s[0:1], s14, v2
	s_and_saveexec_b64 s[2:3], s[0:1]
	s_cbranch_execz .LBB148_22
; %bb.21:
	v_cvt_f16_f32_e32 v3, v123
	v_add_u32_e32 v6, v2, v5
	v_mov_b32_e32 v7, 0
	s_waitcnt lgkmcnt(0)
	v_lshl_add_u64 v[6:7], v[6:7], 1, s[12:13]
	global_store_short v[6:7], v3, off
.LBB148_22:
	s_or_b64 exec, exec, s[2:3]
	v_add_u32_e32 v3, 64, v0
	v_cmp_gt_u32_e64 s[2:3], s14, v3
	s_and_saveexec_b64 s[4:5], s[2:3]
	;; [unrolled: 13-line block ×3, first 2 shown]
	s_cbranch_execz .LBB148_26
; %bb.25:
	v_cvt_f16_f32_e32 v8, v111
	v_add_u32_e32 v6, v4, v5
	v_mov_b32_e32 v7, 0
	s_waitcnt lgkmcnt(0)
	v_lshl_add_u64 v[6:7], v[6:7], 1, s[12:13]
	global_store_short v[6:7], v8, off
.LBB148_26:
	s_or_b64 exec, exec, s[6:7]
	v_add3_u32 v5, v1, s15, 8
	v_cmp_gt_u32_e64 s[6:7], s10, v5
	s_and_b64 exec, exec, s[6:7]
	s_cbranch_execz .LBB148_68
; %bb.27:
	v_mul_lo_u32 v5, v5, s14
	s_and_saveexec_b64 s[6:7], vcc
	s_cbranch_execnz .LBB148_69
; %bb.28:
	s_or_b64 exec, exec, s[6:7]
	s_and_saveexec_b64 s[6:7], s[0:1]
	s_cbranch_execnz .LBB148_70
.LBB148_29:
	s_or_b64 exec, exec, s[6:7]
	s_and_saveexec_b64 s[6:7], s[2:3]
	s_cbranch_execnz .LBB148_71
.LBB148_30:
	s_or_b64 exec, exec, s[6:7]
	s_and_saveexec_b64 s[6:7], s[4:5]
	s_cbranch_execz .LBB148_32
.LBB148_31:
	v_cvt_f16_f32_e32 v8, v110
	v_add_u32_e32 v6, v5, v4
	v_mov_b32_e32 v7, 0
	s_waitcnt lgkmcnt(0)
	v_lshl_add_u64 v[6:7], v[6:7], 1, s[12:13]
	global_store_short v[6:7], v8, off
.LBB148_32:
	s_or_b64 exec, exec, s[6:7]
	v_add3_u32 v5, v1, s15, 16
	v_cmp_gt_u32_e64 s[6:7], s10, v5
	s_and_b64 exec, exec, s[6:7]
	s_cbranch_execz .LBB148_68
; %bb.33:
	v_mul_lo_u32 v5, v5, s14
	s_and_saveexec_b64 s[6:7], vcc
	s_cbranch_execnz .LBB148_72
; %bb.34:
	s_or_b64 exec, exec, s[6:7]
	s_and_saveexec_b64 s[6:7], s[0:1]
	s_cbranch_execnz .LBB148_73
.LBB148_35:
	s_or_b64 exec, exec, s[6:7]
	s_and_saveexec_b64 s[6:7], s[2:3]
	s_cbranch_execnz .LBB148_74
.LBB148_36:
	s_or_b64 exec, exec, s[6:7]
	s_and_saveexec_b64 s[6:7], s[4:5]
	s_cbranch_execz .LBB148_38
.LBB148_37:
	v_cvt_f16_f32_e32 v8, v32
	v_add_u32_e32 v6, v5, v4
	v_mov_b32_e32 v7, 0
	s_waitcnt lgkmcnt(0)
	v_lshl_add_u64 v[6:7], v[6:7], 1, s[12:13]
	global_store_short v[6:7], v8, off
.LBB148_38:
	s_or_b64 exec, exec, s[6:7]
	v_add3_u32 v5, v1, s15, 24
	v_cmp_gt_u32_e64 s[6:7], s10, v5
	s_and_b64 exec, exec, s[6:7]
	s_cbranch_execz .LBB148_68
; %bb.39:
	v_mul_lo_u32 v5, v5, s14
	s_and_saveexec_b64 s[6:7], vcc
	s_cbranch_execnz .LBB148_75
; %bb.40:
	s_or_b64 exec, exec, s[6:7]
	s_and_saveexec_b64 s[6:7], s[0:1]
	s_cbranch_execnz .LBB148_76
.LBB148_41:
	s_or_b64 exec, exec, s[6:7]
	s_and_saveexec_b64 s[6:7], s[2:3]
	s_cbranch_execnz .LBB148_77
.LBB148_42:
	s_or_b64 exec, exec, s[6:7]
	s_and_saveexec_b64 s[6:7], s[4:5]
	s_cbranch_execz .LBB148_44
.LBB148_43:
	v_cvt_f16_f32_e32 v8, v33
	v_add_u32_e32 v6, v5, v4
	v_mov_b32_e32 v7, 0
	s_waitcnt lgkmcnt(0)
	v_lshl_add_u64 v[6:7], v[6:7], 1, s[12:13]
	global_store_short v[6:7], v8, off
.LBB148_44:
	s_or_b64 exec, exec, s[6:7]
	v_add3_u32 v5, v1, s15, 32
	v_cmp_gt_u32_e64 s[6:7], s10, v5
	s_and_b64 exec, exec, s[6:7]
	s_cbranch_execz .LBB148_68
; %bb.45:
	v_mul_lo_u32 v5, v5, s14
	s_and_saveexec_b64 s[6:7], vcc
	s_cbranch_execnz .LBB148_78
; %bb.46:
	s_or_b64 exec, exec, s[6:7]
	s_and_saveexec_b64 s[6:7], s[0:1]
	s_cbranch_execnz .LBB148_79
.LBB148_47:
	s_or_b64 exec, exec, s[6:7]
	s_and_saveexec_b64 s[6:7], s[2:3]
	s_cbranch_execnz .LBB148_80
.LBB148_48:
	s_or_b64 exec, exec, s[6:7]
	s_and_saveexec_b64 s[6:7], s[4:5]
	s_cbranch_execz .LBB148_50
.LBB148_49:
	v_cvt_f16_f32_e32 v8, v24
	v_add_u32_e32 v6, v5, v4
	v_mov_b32_e32 v7, 0
	s_waitcnt lgkmcnt(0)
	v_lshl_add_u64 v[6:7], v[6:7], 1, s[12:13]
	global_store_short v[6:7], v8, off
.LBB148_50:
	s_or_b64 exec, exec, s[6:7]
	v_add3_u32 v5, v1, s15, 40
	v_cmp_gt_u32_e64 s[6:7], s10, v5
	s_and_b64 exec, exec, s[6:7]
	s_cbranch_execz .LBB148_68
; %bb.51:
	v_mul_lo_u32 v5, v5, s14
	s_and_saveexec_b64 s[6:7], vcc
	s_cbranch_execnz .LBB148_81
; %bb.52:
	s_or_b64 exec, exec, s[6:7]
	s_and_saveexec_b64 s[6:7], s[0:1]
	s_cbranch_execnz .LBB148_82
.LBB148_53:
	s_or_b64 exec, exec, s[6:7]
	s_and_saveexec_b64 s[6:7], s[2:3]
	s_cbranch_execnz .LBB148_83
.LBB148_54:
	s_or_b64 exec, exec, s[6:7]
	s_and_saveexec_b64 s[6:7], s[4:5]
	s_cbranch_execz .LBB148_56
.LBB148_55:
	v_cvt_f16_f32_e32 v8, v25
	v_add_u32_e32 v6, v5, v4
	v_mov_b32_e32 v7, 0
	s_waitcnt lgkmcnt(0)
	v_lshl_add_u64 v[6:7], v[6:7], 1, s[12:13]
	global_store_short v[6:7], v8, off
.LBB148_56:
	s_or_b64 exec, exec, s[6:7]
	v_add3_u32 v5, v1, s15, 48
	v_cmp_gt_u32_e64 s[6:7], s10, v5
	s_and_b64 exec, exec, s[6:7]
	s_cbranch_execz .LBB148_68
; %bb.57:
	v_mul_lo_u32 v5, v5, s14
	s_and_saveexec_b64 s[6:7], vcc
	s_cbranch_execnz .LBB148_84
; %bb.58:
	s_or_b64 exec, exec, s[6:7]
	s_and_saveexec_b64 s[6:7], s[0:1]
	s_cbranch_execnz .LBB148_85
.LBB148_59:
	s_or_b64 exec, exec, s[6:7]
	s_and_saveexec_b64 s[6:7], s[2:3]
	s_cbranch_execnz .LBB148_86
.LBB148_60:
	s_or_b64 exec, exec, s[6:7]
	s_and_saveexec_b64 s[6:7], s[4:5]
	s_cbranch_execz .LBB148_62
.LBB148_61:
	v_cvt_f16_f32_e32 v8, v16
	v_add_u32_e32 v6, v5, v4
	v_mov_b32_e32 v7, 0
	s_waitcnt lgkmcnt(0)
	v_lshl_add_u64 v[6:7], v[6:7], 1, s[12:13]
	global_store_short v[6:7], v8, off
.LBB148_62:
	s_or_b64 exec, exec, s[6:7]
	v_add3_u32 v1, v1, s15, 56
	v_cmp_gt_u32_e64 s[6:7], s10, v1
	s_and_b64 exec, exec, s[6:7]
	s_cbranch_execz .LBB148_68
; %bb.63:
	v_mul_lo_u32 v1, v1, s14
	s_and_saveexec_b64 s[6:7], vcc
	s_cbranch_execnz .LBB148_87
; %bb.64:
	s_or_b64 exec, exec, s[6:7]
	s_and_saveexec_b64 s[6:7], s[0:1]
	s_cbranch_execnz .LBB148_88
.LBB148_65:
	s_or_b64 exec, exec, s[6:7]
	s_and_saveexec_b64 s[0:1], s[2:3]
	s_cbranch_execnz .LBB148_89
.LBB148_66:
	s_or_b64 exec, exec, s[0:1]
	s_and_b64 exec, exec, s[4:5]
	s_cbranch_execz .LBB148_68
.LBB148_67:
	v_cvt_f16_f32_e32 v2, v17
	v_add_u32_e32 v0, v1, v4
	v_mov_b32_e32 v1, 0
	s_waitcnt lgkmcnt(0)
	v_lshl_add_u64 v[0:1], v[0:1], 1, s[12:13]
	global_store_short v[0:1], v2, off
.LBB148_68:
	s_endpgm
.LBB148_69:
	v_cvt_f16_f32_e32 v8, v124
	v_add_u32_e32 v6, v5, v0
	v_mov_b32_e32 v7, 0
	s_waitcnt lgkmcnt(0)
	v_lshl_add_u64 v[6:7], v[6:7], 1, s[12:13]
	global_store_short v[6:7], v8, off
	s_or_b64 exec, exec, s[6:7]
	s_and_saveexec_b64 s[6:7], s[0:1]
	s_cbranch_execz .LBB148_29
.LBB148_70:
	v_cvt_f16_f32_e32 v8, v122
	v_add_u32_e32 v6, v5, v2
	v_mov_b32_e32 v7, 0
	s_waitcnt lgkmcnt(0)
	v_lshl_add_u64 v[6:7], v[6:7], 1, s[12:13]
	global_store_short v[6:7], v8, off
	s_or_b64 exec, exec, s[6:7]
	s_and_saveexec_b64 s[6:7], s[2:3]
	s_cbranch_execz .LBB148_30
.LBB148_71:
	v_cvt_f16_f32_e32 v8, v114
	v_add_u32_e32 v6, v5, v3
	v_mov_b32_e32 v7, 0
	s_waitcnt lgkmcnt(0)
	v_lshl_add_u64 v[6:7], v[6:7], 1, s[12:13]
	global_store_short v[6:7], v8, off
	s_or_b64 exec, exec, s[6:7]
	s_and_saveexec_b64 s[6:7], s[4:5]
	s_cbranch_execnz .LBB148_31
	s_branch .LBB148_32
.LBB148_72:
	v_cvt_f16_f32_e32 v8, v38
	v_add_u32_e32 v6, v5, v0
	v_mov_b32_e32 v7, 0
	s_waitcnt lgkmcnt(0)
	v_lshl_add_u64 v[6:7], v[6:7], 1, s[12:13]
	global_store_short v[6:7], v8, off
	s_or_b64 exec, exec, s[6:7]
	s_and_saveexec_b64 s[6:7], s[0:1]
	s_cbranch_execz .LBB148_35
.LBB148_73:
	v_cvt_f16_f32_e32 v8, v36
	v_add_u32_e32 v6, v5, v2
	v_mov_b32_e32 v7, 0
	s_waitcnt lgkmcnt(0)
	v_lshl_add_u64 v[6:7], v[6:7], 1, s[12:13]
	global_store_short v[6:7], v8, off
	s_or_b64 exec, exec, s[6:7]
	s_and_saveexec_b64 s[6:7], s[2:3]
	s_cbranch_execz .LBB148_36
.LBB148_74:
	v_cvt_f16_f32_e32 v8, v34
	v_add_u32_e32 v6, v5, v3
	v_mov_b32_e32 v7, 0
	s_waitcnt lgkmcnt(0)
	v_lshl_add_u64 v[6:7], v[6:7], 1, s[12:13]
	global_store_short v[6:7], v8, off
	s_or_b64 exec, exec, s[6:7]
	s_and_saveexec_b64 s[6:7], s[4:5]
	s_cbranch_execnz .LBB148_37
	s_branch .LBB148_38
.LBB148_75:
	v_cvt_f16_f32_e32 v8, v39
	v_add_u32_e32 v6, v5, v0
	v_mov_b32_e32 v7, 0
	s_waitcnt lgkmcnt(0)
	v_lshl_add_u64 v[6:7], v[6:7], 1, s[12:13]
	global_store_short v[6:7], v8, off
	s_or_b64 exec, exec, s[6:7]
	s_and_saveexec_b64 s[6:7], s[0:1]
	s_cbranch_execz .LBB148_41
.LBB148_76:
	v_cvt_f16_f32_e32 v8, v37
	v_add_u32_e32 v6, v5, v2
	v_mov_b32_e32 v7, 0
	s_waitcnt lgkmcnt(0)
	v_lshl_add_u64 v[6:7], v[6:7], 1, s[12:13]
	global_store_short v[6:7], v8, off
	s_or_b64 exec, exec, s[6:7]
	s_and_saveexec_b64 s[6:7], s[2:3]
	s_cbranch_execz .LBB148_42
.LBB148_77:
	v_cvt_f16_f32_e32 v8, v35
	v_add_u32_e32 v6, v5, v3
	v_mov_b32_e32 v7, 0
	s_waitcnt lgkmcnt(0)
	v_lshl_add_u64 v[6:7], v[6:7], 1, s[12:13]
	global_store_short v[6:7], v8, off
	s_or_b64 exec, exec, s[6:7]
	s_and_saveexec_b64 s[6:7], s[4:5]
	s_cbranch_execnz .LBB148_43
	s_branch .LBB148_44
.LBB148_78:
	v_cvt_f16_f32_e32 v8, v30
	v_add_u32_e32 v6, v5, v0
	v_mov_b32_e32 v7, 0
	s_waitcnt lgkmcnt(0)
	v_lshl_add_u64 v[6:7], v[6:7], 1, s[12:13]
	global_store_short v[6:7], v8, off
	s_or_b64 exec, exec, s[6:7]
	s_and_saveexec_b64 s[6:7], s[0:1]
	s_cbranch_execz .LBB148_47
.LBB148_79:
	v_cvt_f16_f32_e32 v8, v28
	v_add_u32_e32 v6, v5, v2
	v_mov_b32_e32 v7, 0
	s_waitcnt lgkmcnt(0)
	v_lshl_add_u64 v[6:7], v[6:7], 1, s[12:13]
	global_store_short v[6:7], v8, off
	s_or_b64 exec, exec, s[6:7]
	s_and_saveexec_b64 s[6:7], s[2:3]
	s_cbranch_execz .LBB148_48
.LBB148_80:
	v_cvt_f16_f32_e32 v8, v26
	v_add_u32_e32 v6, v5, v3
	v_mov_b32_e32 v7, 0
	s_waitcnt lgkmcnt(0)
	v_lshl_add_u64 v[6:7], v[6:7], 1, s[12:13]
	global_store_short v[6:7], v8, off
	s_or_b64 exec, exec, s[6:7]
	s_and_saveexec_b64 s[6:7], s[4:5]
	s_cbranch_execnz .LBB148_49
	s_branch .LBB148_50
.LBB148_81:
	v_cvt_f16_f32_e32 v8, v31
	v_add_u32_e32 v6, v5, v0
	v_mov_b32_e32 v7, 0
	s_waitcnt lgkmcnt(0)
	v_lshl_add_u64 v[6:7], v[6:7], 1, s[12:13]
	global_store_short v[6:7], v8, off
	s_or_b64 exec, exec, s[6:7]
	s_and_saveexec_b64 s[6:7], s[0:1]
	s_cbranch_execz .LBB148_53
.LBB148_82:
	v_cvt_f16_f32_e32 v8, v29
	v_add_u32_e32 v6, v5, v2
	v_mov_b32_e32 v7, 0
	s_waitcnt lgkmcnt(0)
	v_lshl_add_u64 v[6:7], v[6:7], 1, s[12:13]
	global_store_short v[6:7], v8, off
	s_or_b64 exec, exec, s[6:7]
	s_and_saveexec_b64 s[6:7], s[2:3]
	s_cbranch_execz .LBB148_54
.LBB148_83:
	v_cvt_f16_f32_e32 v8, v27
	v_add_u32_e32 v6, v5, v3
	v_mov_b32_e32 v7, 0
	s_waitcnt lgkmcnt(0)
	v_lshl_add_u64 v[6:7], v[6:7], 1, s[12:13]
	global_store_short v[6:7], v8, off
	s_or_b64 exec, exec, s[6:7]
	s_and_saveexec_b64 s[6:7], s[4:5]
	s_cbranch_execnz .LBB148_55
	s_branch .LBB148_56
.LBB148_84:
	v_cvt_f16_f32_e32 v8, v22
	v_add_u32_e32 v6, v5, v0
	v_mov_b32_e32 v7, 0
	s_waitcnt lgkmcnt(0)
	v_lshl_add_u64 v[6:7], v[6:7], 1, s[12:13]
	global_store_short v[6:7], v8, off
	s_or_b64 exec, exec, s[6:7]
	s_and_saveexec_b64 s[6:7], s[0:1]
	s_cbranch_execz .LBB148_59
.LBB148_85:
	v_cvt_f16_f32_e32 v8, v20
	v_add_u32_e32 v6, v5, v2
	v_mov_b32_e32 v7, 0
	s_waitcnt lgkmcnt(0)
	v_lshl_add_u64 v[6:7], v[6:7], 1, s[12:13]
	global_store_short v[6:7], v8, off
	s_or_b64 exec, exec, s[6:7]
	s_and_saveexec_b64 s[6:7], s[2:3]
	s_cbranch_execz .LBB148_60
.LBB148_86:
	v_cvt_f16_f32_e32 v8, v18
	v_add_u32_e32 v6, v5, v3
	v_mov_b32_e32 v7, 0
	s_waitcnt lgkmcnt(0)
	v_lshl_add_u64 v[6:7], v[6:7], 1, s[12:13]
	global_store_short v[6:7], v8, off
	s_or_b64 exec, exec, s[6:7]
	s_and_saveexec_b64 s[6:7], s[4:5]
	s_cbranch_execnz .LBB148_61
	s_branch .LBB148_62
.LBB148_87:
	v_cvt_f16_f32_e32 v5, v23
	v_add_u32_e32 v6, v1, v0
	v_mov_b32_e32 v7, 0
	s_waitcnt lgkmcnt(0)
	v_lshl_add_u64 v[6:7], v[6:7], 1, s[12:13]
	global_store_short v[6:7], v5, off
	s_or_b64 exec, exec, s[6:7]
	s_and_saveexec_b64 s[6:7], s[0:1]
	s_cbranch_execz .LBB148_65
.LBB148_88:
	v_cvt_f16_f32_e32 v0, v21
	v_add_u32_e32 v6, v1, v2
	v_mov_b32_e32 v7, 0
	s_waitcnt lgkmcnt(0)
	v_lshl_add_u64 v[6:7], v[6:7], 1, s[12:13]
	global_store_short v[6:7], v0, off
	s_or_b64 exec, exec, s[6:7]
	s_and_saveexec_b64 s[0:1], s[2:3]
	s_cbranch_execz .LBB148_66
.LBB148_89:
	v_cvt_f16_f32_e32 v0, v19
	v_add_u32_e32 v2, v1, v3
	v_mov_b32_e32 v3, 0
	s_waitcnt lgkmcnt(0)
	v_lshl_add_u64 v[2:3], v[2:3], 1, s[12:13]
	global_store_short v[2:3], v0, off
	s_or_b64 exec, exec, s[0:1]
	s_and_b64 exec, exec, s[4:5]
	s_cbranch_execnz .LBB148_67
	s_branch .LBB148_68
	.section	.rodata,"a",@progbits
	.p2align	6, 0x0
	.amdhsa_kernel _ZL12mul_mat_q2_KIN3c104HalfELb1EEvPKvS3_PT_iiiii
		.amdhsa_group_segment_fixed_size 31392
		.amdhsa_private_segment_fixed_size 0
		.amdhsa_kernarg_size 44
		.amdhsa_user_sgpr_count 2
		.amdhsa_user_sgpr_dispatch_ptr 0
		.amdhsa_user_sgpr_queue_ptr 0
		.amdhsa_user_sgpr_kernarg_segment_ptr 1
		.amdhsa_user_sgpr_dispatch_id 0
		.amdhsa_user_sgpr_kernarg_preload_length 0
		.amdhsa_user_sgpr_kernarg_preload_offset 0
		.amdhsa_user_sgpr_private_segment_size 0
		.amdhsa_uses_dynamic_stack 0
		.amdhsa_enable_private_segment 0
		.amdhsa_system_sgpr_workgroup_id_x 1
		.amdhsa_system_sgpr_workgroup_id_y 1
		.amdhsa_system_sgpr_workgroup_id_z 0
		.amdhsa_system_sgpr_workgroup_info 0
		.amdhsa_system_vgpr_workitem_id 1
		.amdhsa_next_free_vgpr 225
		.amdhsa_next_free_sgpr 22
		.amdhsa_accum_offset 228
		.amdhsa_reserve_vcc 1
		.amdhsa_float_round_mode_32 0
		.amdhsa_float_round_mode_16_64 0
		.amdhsa_float_denorm_mode_32 3
		.amdhsa_float_denorm_mode_16_64 3
		.amdhsa_dx10_clamp 1
		.amdhsa_ieee_mode 1
		.amdhsa_fp16_overflow 0
		.amdhsa_tg_split 0
		.amdhsa_exception_fp_ieee_invalid_op 0
		.amdhsa_exception_fp_denorm_src 0
		.amdhsa_exception_fp_ieee_div_zero 0
		.amdhsa_exception_fp_ieee_overflow 0
		.amdhsa_exception_fp_ieee_underflow 0
		.amdhsa_exception_fp_ieee_inexact 0
		.amdhsa_exception_int_div_zero 0
	.end_amdhsa_kernel
	.section	.text._ZL12mul_mat_q2_KIN3c104HalfELb1EEvPKvS3_PT_iiiii,"axG",@progbits,_ZL12mul_mat_q2_KIN3c104HalfELb1EEvPKvS3_PT_iiiii,comdat
.Lfunc_end148:
	.size	_ZL12mul_mat_q2_KIN3c104HalfELb1EEvPKvS3_PT_iiiii, .Lfunc_end148-_ZL12mul_mat_q2_KIN3c104HalfELb1EEvPKvS3_PT_iiiii
                                        ; -- End function
	.section	.AMDGPU.csdata,"",@progbits
; Kernel info:
; codeLenInByte = 25212
; NumSgprs: 28
; NumVgprs: 225
; NumAgprs: 0
; TotalNumVgprs: 225
; ScratchSize: 0
; MemoryBound: 0
; FloatMode: 240
; IeeeMode: 1
; LDSByteSize: 31392 bytes/workgroup (compile time only)
; SGPRBlocks: 3
; VGPRBlocks: 28
; NumSGPRsForWavesPerEU: 28
; NumVGPRsForWavesPerEU: 225
; AccumOffset: 228
; Occupancy: 2
; WaveLimiterHint : 0
; COMPUTE_PGM_RSRC2:SCRATCH_EN: 0
; COMPUTE_PGM_RSRC2:USER_SGPR: 2
; COMPUTE_PGM_RSRC2:TRAP_HANDLER: 0
; COMPUTE_PGM_RSRC2:TGID_X_EN: 1
; COMPUTE_PGM_RSRC2:TGID_Y_EN: 1
; COMPUTE_PGM_RSRC2:TGID_Z_EN: 0
; COMPUTE_PGM_RSRC2:TIDIG_COMP_CNT: 1
; COMPUTE_PGM_RSRC3_GFX90A:ACCUM_OFFSET: 56
; COMPUTE_PGM_RSRC3_GFX90A:TG_SPLIT: 0
	.section	.text._ZL12mul_mat_q3_KIN3c104HalfELb0EEvPKvS3_PT_iiiii,"axG",@progbits,_ZL12mul_mat_q3_KIN3c104HalfELb0EEvPKvS3_PT_iiiii,comdat
	.globl	_ZL12mul_mat_q3_KIN3c104HalfELb0EEvPKvS3_PT_iiiii ; -- Begin function _ZL12mul_mat_q3_KIN3c104HalfELb0EEvPKvS3_PT_iiiii
	.p2align	8
	.type	_ZL12mul_mat_q3_KIN3c104HalfELb0EEvPKvS3_PT_iiiii,@function
_ZL12mul_mat_q3_KIN3c104HalfELb0EEvPKvS3_PT_iiiii: ; @_ZL12mul_mat_q3_KIN3c104HalfELb0EEvPKvS3_PT_iiiii
; %bb.0:
	s_load_dword s7, s[0:1], 0x18
	s_load_dwordx4 s[8:11], s[0:1], 0x20
	s_waitcnt lgkmcnt(0)
	s_lshl_b32 s11, s3, 6
	v_bfe_u32 v41, v0, 10, 10
	s_cmpk_gt_i32 s7, 0xff
	s_cbranch_scc1 .LBB149_2
; %bb.1:
	v_bfe_u32 v1, v0, 10, 10
	v_and_b32_e32 v35, 0x3ff, v0
	v_add_u32_e32 v89, s11, v1
	s_mov_b64 s[4:5], 0
	s_mov_b32 s3, 0
	s_branch .LBB149_3
.LBB149_2:
	s_mov_b64 s[4:5], -1
                                        ; implicit-def: $sgpr3
                                        ; implicit-def: $vgpr1
                                        ; implicit-def: $vgpr35
                                        ; implicit-def: $vgpr89
.LBB149_3:
	s_load_dwordx2 s[12:13], s[0:1], 0x10
	s_lshl_b32 s6, s2, 7
	s_andn2_b64 vcc, exec, s[4:5]
	v_mov_b32_e32 v9, s3
	v_mov_b32_e32 v19, s3
	;; [unrolled: 1-line block ×32, first 2 shown]
	s_cbranch_vccnz .LBB149_17
; %bb.4:
	s_ashr_i32 s4, s7, 31
	s_load_dwordx4 s[0:3], s[0:1], 0x0
	s_lshr_b32 s4, s4, 24
	s_add_i32 s7, s7, s4
	s_ashr_i32 s5, s9, 31
	s_ashr_i32 s4, s7, 8
	s_lshr_b32 s5, s5, 27
	s_add_i32 s5, s9, s5
	s_mul_i32 s7, s4, s6
	s_ashr_i32 s15, s5, 5
	s_mul_hi_i32 s9, s7, 0x6e
	s_mulk_i32 s7, 0x6e
	s_waitcnt lgkmcnt(0)
	s_add_u32 s7, s0, s7
	s_addc_u32 s9, s1, s9
	s_lshl_b32 s1, s4, 3
	v_mov_b32_e32 v2, s1
	v_mad_i32_i24 v14, s4, v41, v2
	v_add_u32_e32 v16, s1, v14
	v_add_u32_e32 v18, s1, v16
	;; [unrolled: 1-line block ×9, first 2 shown]
	v_and_b32_e32 v35, 0x3ff, v0
	v_add_u32_e32 v34, s1, v32
	v_add_u32_e32 v36, s1, v34
	v_lshlrev_b32_e32 v96, 4, v41
	v_lshrrev_b32_e32 v6, 1, v35
	v_add_u32_e32 v38, s1, v36
	v_and_b32_e32 v44, 1, v35
	v_add_u32_e32 v2, v6, v96
	v_add_u32_e32 v40, s1, v38
	v_and_b32_e32 v3, 0x7f, v2
	v_lshlrev_b32_e32 v4, 2, v44
	v_lshrrev_b32_e32 v2, 2, v2
	v_add_u32_e32 v42, s1, v40
	v_mul_i32_i24_e32 v46, s4, v3
	v_lshl_or_b32 v3, v3, 3, v4
	v_and_b32_e32 v2, 28, v2
	s_mov_b32 s1, 0x9380
	v_lshrrev_b32_e32 v8, 4, v35
	v_add3_u32 v97, v3, v2, s1
	v_lshlrev_b32_e32 v2, 1, v41
	v_add_u32_e32 v3, v8, v2
	v_add_u16_e32 v2, v8, v2
	v_and_b32_e32 v0, 15, v35
	v_lshrrev_b16_e32 v2, 1, v2
	v_lshlrev_b32_e32 v10, 2, v0
	v_lshlrev_b32_e32 v2, 2, v2
	s_movk_i32 s16, 0x4200
	s_lshl_b32 s17, s4, 4
	v_add3_u32 v7, v2, v10, s16
	v_add_u32_e32 v2, 16, v3
	v_mov_b32_e32 v4, s17
	v_mad_i32_i24 v54, s4, v3, v4
	v_lshlrev_b32_e32 v4, 1, v2
	v_and_b32_e32 v4, 0xffc, v4
	v_lshlrev_b32_e32 v15, 6, v2
	v_add_u32_e32 v2, 32, v3
	v_add3_u32 v13, v4, v10, s16
	v_lshlrev_b32_e32 v4, 1, v2
	v_and_b32_e32 v4, 0xffc, v4
	v_lshlrev_b32_e32 v19, 6, v2
	v_add_u32_e32 v2, 48, v3
	v_add3_u32 v17, v4, v10, s16
	;; [unrolled: 5-line block ×5, first 2 shown]
	v_lshlrev_b32_e32 v4, 1, v2
	v_lshlrev_b32_e32 v37, 6, v2
	v_add_u32_e32 v2, 0x70, v3
	v_cmp_lt_u32_e32 vcc, 7, v0
	v_and_b32_e32 v0, 7, v35
	v_mul_i32_i24_e32 v52, s4, v3
	v_lshlrev_b32_e32 v9, 6, v3
	v_lshlrev_b32_e32 v3, 1, v2
	v_cndmask_b32_e64 v48, 0, 1, vcc
	v_lshlrev_b32_e32 v50, 2, v0
	v_add_u32_e32 v56, s17, v54
	v_and_b32_e32 v3, 0xffc, v3
	v_cmp_lt_u32_e32 vcc, 3, v0
	v_and_b32_e32 v0, 3, v35
	v_add_u32_e32 v58, s17, v56
	v_add3_u32 v39, v3, v10, s16
	v_cndmask_b32_e64 v68, 0, 1, vcc
	v_add_u16_e32 v3, -2, v0
	v_cmp_gt_u32_e32 vcc, 2, v0
	v_add_u32_e32 v60, s17, v58
	v_and_b32_e32 v4, 0xffc, v4
	v_cndmask_b32_e32 v3, v3, v0, vcc
	v_cmp_lt_u32_e32 vcc, 1, v0
	v_add_u32_e32 v62, s17, v60
	v_add3_u32 v33, v4, v10, s16
	v_lshrrev_b32_e32 v102, 3, v35
	v_cndmask_b32_e64 v4, 0, 1, vcc
	v_add_u32_e32 v64, s17, v62
	v_lshlrev_b32_e32 v43, 6, v2
	v_lshl_add_u32 v2, v41, 2, v102
	v_lshlrev_b32_e32 v103, 2, v4
	v_mov_b32_e32 v4, 2
	v_add_u32_e32 v66, s17, v64
	v_lshlrev_b32_sdwa v70, v4, v3 dst_sel:DWORD dst_unused:UNUSED_PAD src0_sel:DWORD src1_sel:BYTE_0
	v_and_b32_e32 v3, 0x7fc, v2
	s_mov_b32 s16, 0x8300
	s_lshl_b32 s17, s4, 5
	v_add3_u32 v45, v3, v50, s16
	v_add_u32_e32 v3, 32, v2
	v_mov_b32_e32 v4, s17
	v_mad_i32_i24 v74, s4, v2, v4
	v_and_b32_e32 v4, 0xffc, v3
	v_lshlrev_b32_e32 v53, 5, v3
	v_add_u32_e32 v3, 64, v2
	v_lshlrev_b32_e32 v1, 2, v35
	s_movk_i32 s0, 0x84
	v_add3_u32 v49, v4, v50, s16
	v_and_b32_e32 v4, 0xffc, v3
	v_mad_u32_u24 v57, v41, s0, v1
	v_add3_u32 v55, v4, v50, s16
	v_and_b32_e32 v4, 28, v1
	v_lshrrev_b32_e32 v1, 2, v35
	v_mov_b32_e32 v11, 0
	v_mul_i32_i24_e32 v72, s4, v2
	v_lshlrev_b32_e32 v47, 5, v2
	v_add_u32_e32 v2, 0x60, v2
	v_lshl_add_u32 v1, v41, 3, v1
	v_lshlrev_b32_e32 v63, 5, v3
	v_and_b32_e32 v3, 0xffc, v2
	v_mov_b32_e32 v5, v11
	v_and_b32_e32 v1, 63, v1
	v_add3_u32 v79, v3, v50, s16
	s_add_i32 s16, s8, -1
	v_lshl_add_u64 v[80:81], s[2:3], 0, v[4:5]
	v_or_b32_e32 v4, s11, v1
	v_add_u32_e32 v76, s17, v74
	v_min_i32_e32 v4, s16, v4
	v_lshlrev_b32_e32 v104, 1, v0
	v_add_u32_e32 v78, s17, v76
	v_lshlrev_b32_e32 v84, 5, v2
	v_cvt_f64_i32_e32 v[2:3], s16
	v_mad_u64_u32 v[82:83], s[16:17], v4, s15, v[0:1]
	v_lshlrev_b32_e32 v0, 2, v0
	v_add_u32_e32 v89, s11, v41
	v_lshl_or_b32 v0, v1, 4, v0
	v_add_u32_e32 v107, 0x97a0, v0
	v_cvt_f64_u32_e32 v[0:1], v89
	v_min_f64 v[0:1], v[0:1], v[2:3]
	v_cvt_i32_f64_e32 v0, v[0:1]
	v_mul_lo_u32 v109, s15, v0
	v_add_u32_e32 v0, 8, v89
	v_cvt_f64_u32_e32 v[0:1], v0
	v_min_f64 v[0:1], v[0:1], v[2:3]
	v_cvt_i32_f64_e32 v0, v[0:1]
	v_mul_lo_u32 v112, s15, v0
	;; [unrolled: 5-line block ×8, first 2 shown]
	v_add_u32_e32 v0, 32, v35
	v_lshrrev_b32_e32 v1, 1, v0
	v_lshl_add_u32 v132, v0, 4, v1
	v_mov_b32_e32 v1, 0x1080
	v_lshl_add_u32 v129, v35, 4, v6
	v_lshlrev_b32_e32 v6, 2, v8
	v_lshlrev_b32_e32 v83, 3, v35
	v_mad_u32_u24 v133, v35, s0, v1
	v_lshrrev_b32_e32 v1, 2, v0
	v_add3_u32 v131, v6, v83, s1
	v_and_b32_e32 v1, 0x7c, v1
	v_lshlrev_b32_e32 v6, 3, v0
	v_add_u32_e32 v2, 64, v35
	v_add3_u32 v134, v6, v1, s1
	v_mov_b32_e32 v1, 0x2100
	v_and_b32_e32 v85, 31, v35
	v_lshlrev_b32_e32 v110, 7, v41
	v_lshrrev_b32_e32 v3, 1, v2
	v_mad_u32_u24 v136, v35, s0, v1
	v_lshrrev_b32_e32 v1, 2, v2
	v_lshl_or_b32 v4, v85, 2, v110
	v_lshl_add_u32 v135, v2, 4, v3
	v_and_b32_e32 v1, 0x7c, v1
	v_lshlrev_b32_e32 v3, 3, v2
	v_add_u32_e32 v111, 0x6300, v4
	v_add_u32_e32 v113, 0x6700, v4
	;; [unrolled: 1-line block ×9, first 2 shown]
	v_add3_u32 v137, v3, v1, s1
	v_mov_b32_e32 v1, 0x3180
	v_mad_u32_u24 v139, v35, s0, v1
	v_lshrrev_b32_e32 v1, 2, v4
	v_lshrrev_b32_e32 v5, 1, v4
	v_and_b32_e32 v1, 0x7c, v1
	v_lshlrev_b32_e32 v3, 3, v4
	v_and_b32_e32 v144, 0xfc, v35
	v_and_b32_e32 v146, 0x1fc, v0
	;; [unrolled: 1-line block ×4, first 2 shown]
	s_movk_i32 s5, 0x6e
	s_mov_b32 s14, 0
	v_mul_i32_i24_e32 v12, s4, v41
	v_add_u32_e32 v59, 0x420, v57
	v_add_u32_e32 v61, 0x840, v57
	;; [unrolled: 1-line block ×15, first 2 shown]
	v_mov_b32_e32 v51, v11
	v_mov_b32_e32 v71, v11
	v_lshlrev_b32_e32 v128, 5, v35
	v_mul_u32_u24_e32 v130, 0x84, v35
	v_lshl_add_u32 v138, v4, 4, v5
	v_add3_u32 v140, v3, v1, s1
	v_lshrrev_b32_e32 v141, 3, v0
	v_lshrrev_b32_e32 v142, 3, v2
	;; [unrolled: 1-line block ×3, first 2 shown]
	v_or_b32_e32 v145, 0x6300, v144
	v_add_u32_e32 v147, 0x6300, v146
	v_add_u32_e32 v149, 0x6300, v148
	;; [unrolled: 1-line block ×13, first 2 shown]
	s_mov_b64 s[0:1], 0x60
	s_mov_b32 s15, 0x30303030
	s_movk_i32 s16, 0x3f00
	s_movk_i32 s17, 0xe000
	v_add_u32_e32 v162, v45, v47
	v_add_u32_e32 v163, v49, v53
	;; [unrolled: 1-line block ×4, first 2 shown]
	v_mov_b32_e32 v166, 8
	v_mov_b32_e32 v125, v11
	;; [unrolled: 1-line block ×33, first 2 shown]
	s_branch .LBB149_6
.LBB149_5:                              ;   in Loop: Header=BB149_6 Depth=1
	s_add_i32 s14, s14, 2
	s_cmp_ge_i32 s14, s4
	s_cbranch_scc1 .LBB149_16
.LBB149_6:                              ; =>This Loop Header: Depth=1
                                        ;     Child Loop BB149_7 Depth 2
                                        ;     Child Loop BB149_9 Depth 2
                                        ;     Child Loop BB149_12 Depth 2
                                        ;     Child Loop BB149_14 Depth 2
	s_mul_i32 s18, s14, 0x6e
	s_mul_hi_u32 s19, s14, 0x6e
	s_add_u32 s18, s7, s18
	s_addc_u32 s19, s9, s19
	v_mov_b64_e32 v[0:1], s[18:19]
	v_mad_u64_u32 v[2:3], s[18:19], v8, s5, v[0:1]
	v_lshl_add_u64 v[2:3], v[2:3], 0, v[10:11]
	v_lshl_add_u64 v[2:3], v[2:3], 0, 32
	v_mad_u64_u32 v[4:5], s[18:19], v12, s5, v[2:3]
	v_mad_u64_u32 v[6:7], s[18:19], v14, s5, v[2:3]
	;; [unrolled: 1-line block ×8, first 2 shown]
	global_load_dword v167, v[4:5], off
	global_load_dword v176, v[6:7], off
	;; [unrolled: 1-line block ×7, first 2 shown]
	s_nop 0
	global_load_dword v174, v[174:175], off
	v_mad_u64_u32 v[4:5], s[18:19], v28, s5, v[2:3]
	v_mad_u64_u32 v[6:7], s[18:19], v30, s5, v[2:3]
	v_mad_u64_u32 v[84:85], s[18:19], v32, s5, v[2:3]
	v_mad_u64_u32 v[86:87], s[18:19], v34, s5, v[2:3]
	v_mad_u64_u32 v[168:169], s[18:19], v36, s5, v[2:3]
	v_mad_u64_u32 v[170:171], s[18:19], v38, s5, v[2:3]
	v_mad_u64_u32 v[172:173], s[18:19], v40, s5, v[2:3]
	v_mad_u64_u32 v[2:3], s[18:19], v42, s5, v[2:3]
	global_load_dword v175, v[4:5], off
	global_load_dword v182, v[6:7], off
	;; [unrolled: 1-line block ×4, first 2 shown]
	s_nop 0
	global_load_dword v168, v[168:169], off
	s_nop 0
	global_load_dword v169, v[170:171], off
	s_nop 0
	global_load_dword v170, v[172:173], off
	global_load_dword v171, v[2:3], off
	v_mad_u64_u32 v[2:3], s[18:19], v46, s5, v[0:1]
	v_mad_u64_u32 v[2:3], s[18:19], v44, s5, v[2:3]
	global_load_ushort v172, v[2:3], off offset:108
	v_mad_u64_u32 v[4:5], s[18:19], v48, s5, v[0:1]
	v_lshl_add_u64 v[4:5], v[4:5], 0, v[50:51]
	v_mad_u64_u32 v[6:7], s[18:19], v52, s5, v[4:5]
	v_mad_u64_u32 v[84:85], s[18:19], v54, s5, v[4:5]
	global_load_dword v173, v[6:7], off
	global_load_dword v185, v[84:85], off
	v_mad_u64_u32 v[2:3], s[18:19], v56, s5, v[4:5]
	v_mad_u64_u32 v[86:87], s[18:19], v58, s5, v[4:5]
	global_load_dword v186, v[2:3], off
	s_nop 0
	global_load_dword v86, v[86:87], off
	v_mad_u64_u32 v[6:7], s[18:19], v60, s5, v[4:5]
	v_mad_u64_u32 v[2:3], s[18:19], v62, s5, v[4:5]
	global_load_dword v87, v[6:7], off
	global_load_dword v187, v[2:3], off
	v_mad_u64_u32 v[2:3], s[18:19], v64, s5, v[4:5]
	v_mad_u64_u32 v[0:1], s[18:19], v68, s5, v[0:1]
	global_load_dword v188, v[2:3], off
	v_mad_u64_u32 v[2:3], s[18:19], v66, s5, v[4:5]
	v_lshl_add_u64 v[0:1], v[0:1], 0, s[0:1]
	global_load_dword v189, v[2:3], off
	v_mad_u64_u32 v[2:3], s[18:19], v72, s5, v[0:1]
	v_mad_u64_u32 v[6:7], s[18:19], v74, s5, v[0:1]
	;; [unrolled: 1-line block ×4, first 2 shown]
	v_lshl_add_u64 v[4:5], v[2:3], 0, v[70:71]
	global_load_dword v190, v[0:1], off offset:8
	global_load_dword v191, v[84:85], off offset:8
	;; [unrolled: 1-line block ×3, first 2 shown]
	global_load_dword v193, v[4:5], off
	global_load_dword v194, v[2:3], off offset:8
	v_lshl_add_u64 v[2:3], v[6:7], 0, v[70:71]
	global_load_dword v195, v[2:3], off
	v_lshl_add_u64 v[2:3], v[84:85], 0, v[70:71]
	global_load_dword v196, v[2:3], off
	s_waitcnt vmcnt(31)
	ds_write_b32 v57, v167
	s_waitcnt vmcnt(30)
	ds_write_b32 v59, v176
	;; [unrolled: 2-line block ×13, first 2 shown]
	v_lshl_add_u64 v[0:1], v[0:1], 0, v[70:71]
	s_lshl_b32 s18, s14, 3
	v_add_u32_e32 v167, s18, v82
	s_mov_b32 s19, 0
	s_mov_b32 s22, -2
	s_waitcnt vmcnt(15)
	v_cvt_f32_f16_e32 v2, v172
	ds_write_b32 v93, v169
	ds_write_b32 v94, v170
	;; [unrolled: 1-line block ×4, first 2 shown]
	global_load_dword v175, v[0:1], off
	v_add_u32_e32 v170, s18, v102
	v_add_u32_e32 v0, v170, v109
	;; [unrolled: 1-line block ×4, first 2 shown]
	s_waitcnt vmcnt(15)
	v_not_b32_e32 v2, v173
	ds_write_b32 v154, v2
	s_waitcnt vmcnt(14)
	v_not_b32_e32 v2, v185
	ds_write_b32 v155, v2
	v_add_u32_e32 v84, v170, v119
	s_waitcnt vmcnt(13)
	v_not_b32_e32 v2, v186
	ds_write_b32 v156, v2
	s_waitcnt vmcnt(12)
	v_not_b32_e32 v2, v86
	ds_write_b32 v157, v2
	v_mad_i64_i32 v[0:1], s[20:21], v0, 36, v[80:81]
	s_waitcnt vmcnt(11)
	v_not_b32_e32 v2, v87
	ds_write_b32 v158, v2
	s_waitcnt vmcnt(10)
	v_not_b32_e32 v2, v187
	ds_write_b32 v159, v2
	v_add_u32_e32 v2, v170, v112
	v_mad_i64_i32 v[2:3], s[20:21], v2, 36, v[80:81]
	v_mad_i64_i32 v[4:5], s[20:21], v4, 36, v[80:81]
	;; [unrolled: 1-line block ×4, first 2 shown]
	v_add_u32_e32 v86, v170, v121
	v_add_u32_e32 v168, v170, v123
	;; [unrolled: 1-line block ×3, first 2 shown]
	v_mad_i64_i32 v[86:87], s[20:21], v86, 36, v[80:81]
	v_mad_i64_i32 v[168:169], s[20:21], v168, 36, v[80:81]
	;; [unrolled: 1-line block ×3, first 2 shown]
	v_mad_u64_u32 v[172:173], s[20:21], v167, 36, s[2:3]
	global_load_dword v0, v[0:1], off offset:4
	s_nop 0
	global_load_dword v1, v[2:3], off offset:4
	s_nop 0
	global_load_dword v2, v[4:5], off offset:4
	global_load_dword v3, v[6:7], off offset:4
	s_nop 0
	global_load_dword v4, v[84:85], off offset:4
	global_load_dword v5, v[172:173], off
	global_load_dword v6, v[86:87], off offset:4
	global_load_dword v7, v[168:169], off offset:4
	s_nop 0
	global_load_dword v84, v[170:171], off offset:4
	s_waitcnt vmcnt(18)
	v_not_b32_e32 v174, v188
	s_waitcnt vmcnt(17)
	v_not_b32_e32 v85, v189
	ds_write_b32 v160, v174
	ds_write_b32 v161, v85
	s_waitcnt vmcnt(13)
	v_ashrrev_i32_e32 v85, v103, v193
	s_waitcnt vmcnt(12)
	v_ashrrev_i32_e32 v86, v104, v194
	v_and_b32_e32 v85, 0xf0f0f0f, v85
	v_lshlrev_b32_e32 v86, 4, v86
	v_and_or_b32 v85, v86, s15, v85
	v_lshlrev_b16_e32 v87, 8, v85
	v_and_b32_e32 v86, 0x3f00, v85
	v_add_u16_e32 v87, 0xe000, v87
	v_or_b32_sdwa v86, v86, v87 dst_sel:DWORD dst_unused:UNUSED_PAD src0_sel:DWORD src1_sel:BYTE_1
	v_and_b32_sdwa v87, v85, s16 dst_sel:DWORD dst_unused:UNUSED_PAD src0_sel:WORD_1 src1_sel:DWORD
	v_lshlrev_b16_sdwa v85, v166, v85 dst_sel:DWORD dst_unused:UNUSED_PAD src0_sel:DWORD src1_sel:WORD_1
	v_add_u16_e32 v85, 0xe000, v85
	v_or_b32_sdwa v85, v87, v85 dst_sel:DWORD dst_unused:UNUSED_PAD src0_sel:DWORD src1_sel:BYTE_1
	v_add_u16_e32 v86, 0xe000, v86
	v_add_u16_sdwa v85, v85, s17 dst_sel:WORD_1 dst_unused:UNUSED_PAD src0_sel:DWORD src1_sel:DWORD
	v_mov_b32_e32 v168, v110
	v_or_b32_e32 v85, v86, v85
	ds_write_b32 v162, v85
	s_waitcnt vmcnt(11)
	v_ashrrev_i32_e32 v85, v103, v195
	v_ashrrev_i32_e32 v86, v104, v192
	v_and_b32_e32 v85, 0xf0f0f0f, v85
	v_lshlrev_b32_e32 v86, 4, v86
	v_and_or_b32 v85, v86, s15, v85
	v_lshlrev_b16_e32 v87, 8, v85
	v_and_b32_e32 v86, 0x3f00, v85
	v_add_u16_e32 v87, 0xe000, v87
	v_or_b32_sdwa v86, v86, v87 dst_sel:DWORD dst_unused:UNUSED_PAD src0_sel:DWORD src1_sel:BYTE_1
	v_and_b32_sdwa v87, v85, s16 dst_sel:DWORD dst_unused:UNUSED_PAD src0_sel:WORD_1 src1_sel:DWORD
	v_lshlrev_b16_sdwa v85, v166, v85 dst_sel:DWORD dst_unused:UNUSED_PAD src0_sel:DWORD src1_sel:WORD_1
	v_add_u16_e32 v85, 0xe000, v85
	v_or_b32_sdwa v85, v87, v85 dst_sel:DWORD dst_unused:UNUSED_PAD src0_sel:DWORD src1_sel:BYTE_1
	v_add_u16_e32 v86, 0xe000, v86
	v_add_u16_sdwa v85, v85, s17 dst_sel:WORD_1 dst_unused:UNUSED_PAD src0_sel:DWORD src1_sel:DWORD
	v_mov_b32_e32 v169, v96
	v_or_b32_e32 v85, v86, v85
	ds_write_b32 v163, v85
	s_waitcnt vmcnt(10)
	v_ashrrev_i32_e32 v85, v103, v196
	v_ashrrev_i32_e32 v86, v104, v191
	v_and_b32_e32 v85, 0xf0f0f0f, v85
	v_lshlrev_b32_e32 v86, 4, v86
	v_and_or_b32 v85, v86, s15, v85
	v_lshlrev_b16_e32 v87, 8, v85
	v_and_b32_e32 v86, 0x3f00, v85
	v_add_u16_e32 v87, 0xe000, v87
	v_or_b32_sdwa v86, v86, v87 dst_sel:DWORD dst_unused:UNUSED_PAD src0_sel:DWORD src1_sel:BYTE_1
	v_and_b32_sdwa v87, v85, s16 dst_sel:DWORD dst_unused:UNUSED_PAD src0_sel:WORD_1 src1_sel:DWORD
	v_lshlrev_b16_sdwa v85, v166, v85 dst_sel:DWORD dst_unused:UNUSED_PAD src0_sel:DWORD src1_sel:WORD_1
	v_add_u16_e32 v85, 0xe000, v85
	v_or_b32_sdwa v85, v87, v85 dst_sel:DWORD dst_unused:UNUSED_PAD src0_sel:DWORD src1_sel:BYTE_1
	v_add_u16_e32 v86, 0xe000, v86
	v_add_u16_sdwa v85, v85, s17 dst_sel:WORD_1 dst_unused:UNUSED_PAD src0_sel:DWORD src1_sel:DWORD
	s_mov_b32 s20, 0
	v_or_b32_e32 v85, v86, v85
	ds_write_b32 v164, v85
	s_waitcnt vmcnt(9)
	v_ashrrev_i32_e32 v85, v103, v175
	v_ashrrev_i32_e32 v86, v104, v190
	v_and_b32_e32 v85, 0xf0f0f0f, v85
	v_lshlrev_b32_e32 v86, 4, v86
	v_and_or_b32 v85, v86, s15, v85
	v_lshlrev_b16_e32 v87, 8, v85
	v_and_b32_e32 v86, 0x3f00, v85
	v_add_u16_e32 v87, 0xe000, v87
	v_or_b32_sdwa v86, v86, v87 dst_sel:DWORD dst_unused:UNUSED_PAD src0_sel:DWORD src1_sel:BYTE_1
	v_and_b32_sdwa v87, v85, s16 dst_sel:DWORD dst_unused:UNUSED_PAD src0_sel:WORD_1 src1_sel:DWORD
	v_lshlrev_b16_sdwa v85, v166, v85 dst_sel:DWORD dst_unused:UNUSED_PAD src0_sel:DWORD src1_sel:WORD_1
	v_add_u16_e32 v85, 0xe000, v85
	v_or_b32_sdwa v85, v87, v85 dst_sel:DWORD dst_unused:UNUSED_PAD src0_sel:DWORD src1_sel:BYTE_1
	v_add_u16_e32 v86, 0xe000, v86
	v_add_u16_sdwa v85, v85, s17 dst_sel:WORD_1 dst_unused:UNUSED_PAD src0_sel:DWORD src1_sel:DWORD
	s_nop 0
	v_or_b32_e32 v85, v86, v85
	ds_write_b32 v165, v85
	s_waitcnt vmcnt(8)
	ds_write_b32 v111, v0
	s_waitcnt vmcnt(7)
	;; [unrolled: 2-line block ×6, first 2 shown]
	v_cvt_f32_f16_e32 v0, v5
	s_waitcnt vmcnt(2)
	ds_write_b32 v122, v6
	s_waitcnt vmcnt(1)
	ds_write_b32 v124, v7
	;; [unrolled: 2-line block ×3, first 2 shown]
	ds_write_b32 v107, v0
	s_waitcnt lgkmcnt(0)
	s_barrier
.LBB149_7:                              ;   Parent Loop BB149_6 Depth=1
                                        ; =>  This Inner Loop Header: Depth=2
	s_add_i32 s21, s22, 2
	s_and_b32 s23, s20, -16
	s_lshr_b32 s25, s21, 4
	v_add_u32_e32 v86, s23, v128
	s_and_b32 s24, s21, 0x3ffffff8
	s_lshl_b32 s23, s25, 3
	s_lshl_b32 s24, s24, 2
	v_add_lshl_u32 v180, v129, s23, 2
	v_add_u32_e32 v0, 0x9600, v169
	v_add_u32_e32 v87, s24, v130
	v_add_u32_e32 v172, 0x4200, v180
	ds_read2_b32 v[84:85], v0 offset0:104 offset1:136
	ds_read_b128 v[4:7], v168 offset:25344
	ds_read_b128 v[0:3], v168 offset:25360
	ds_read2_b32 v[170:171], v87 offset1:1
	ds_read2_b32 v[172:173], v172 offset1:1
	s_lshl_b32 s25, s25, 2
	v_add_lshl_u32 v190, v132, s23, 2
	v_add_u32_e32 v183, 0x4200, v190
	s_waitcnt lgkmcnt(1)
	v_ashrrev_i32_e32 v170, s21, v170
	s_waitcnt lgkmcnt(0)
	v_ashrrev_i32_e32 v172, s19, v172
	v_lshlrev_b32_e32 v172, 2, v172
	v_and_b32_e32 v174, 0x3030303, v170
	v_bfe_u32 v170, v170, 24, 2
	v_and_b32_e32 v172, 0x4040404, v172
	v_ashrrev_i32_e32 v173, s19, v173
	v_sub_u16_e32 v175, v174, v172
	v_sub_u16_sdwa v176, v174, v172 dst_sel:BYTE_1 dst_unused:UNUSED_PAD src0_sel:BYTE_1 src1_sel:BYTE_1
	v_sub_u16_sdwa v170, v170, v172 dst_sel:BYTE_1 dst_unused:UNUSED_PAD src0_sel:DWORD src1_sel:BYTE_3
	v_sub_u16_sdwa v172, v174, v172 dst_sel:DWORD dst_unused:UNUSED_PAD src0_sel:WORD_1 src1_sel:WORD_1
	v_ashrrev_i32_e32 v171, s21, v171
	v_lshlrev_b32_e32 v173, 2, v173
	v_or_b32_sdwa v175, v175, v176 dst_sel:DWORD dst_unused:UNUSED_PAD src0_sel:BYTE_0 src1_sel:DWORD
	v_or_b32_sdwa v170, v172, v170 dst_sel:WORD_1 dst_unused:UNUSED_PAD src0_sel:BYTE_0 src1_sel:DWORD
	v_and_b32_e32 v172, 0x3030303, v171
	v_bfe_u32 v171, v171, 24, 2
	v_and_b32_e32 v173, 0x4040404, v173
	v_or_b32_sdwa v170, v175, v170 dst_sel:DWORD dst_unused:UNUSED_PAD src0_sel:WORD_0 src1_sel:DWORD
	v_sub_u16_e32 v174, v172, v173
	v_sub_u16_sdwa v175, v172, v173 dst_sel:BYTE_1 dst_unused:UNUSED_PAD src0_sel:BYTE_1 src1_sel:BYTE_1
	v_sub_u16_sdwa v171, v171, v173 dst_sel:BYTE_1 dst_unused:UNUSED_PAD src0_sel:DWORD src1_sel:BYTE_3
	v_sub_u16_sdwa v172, v172, v173 dst_sel:DWORD dst_unused:UNUSED_PAD src0_sel:WORD_1 src1_sel:WORD_1
	v_or_b32_sdwa v174, v174, v175 dst_sel:DWORD dst_unused:UNUSED_PAD src0_sel:BYTE_0 src1_sel:DWORD
	v_or_b32_sdwa v171, v172, v171 dst_sel:WORD_1 dst_unused:UNUSED_PAD src0_sel:BYTE_0 src1_sel:DWORD
	ds_read2_b32 v[172:173], v87 offset0:2 offset1:3
	v_or_b32_sdwa v171, v174, v171 dst_sel:DWORD dst_unused:UNUSED_PAD src0_sel:WORD_0 src1_sel:DWORD
	v_add_u32_e32 v174, 0x4208, v180
	ds_read2_b32 v[174:175], v174 offset1:1
	v_add_lshl_u32 v212, v138, s23, 2
	s_waitcnt lgkmcnt(1)
	v_ashrrev_i32_e32 v172, s21, v172
	v_and_b32_e32 v176, 0x3030303, v172
	v_bfe_u32 v172, v172, 24, 2
	s_waitcnt lgkmcnt(0)
	v_ashrrev_i32_e32 v174, s19, v174
	v_lshlrev_b32_e32 v174, 2, v174
	v_and_b32_e32 v174, 0x4040404, v174
	v_ashrrev_i32_e32 v175, s19, v175
	v_sub_u16_e32 v177, v176, v174
	v_sub_u16_sdwa v178, v176, v174 dst_sel:BYTE_1 dst_unused:UNUSED_PAD src0_sel:BYTE_1 src1_sel:BYTE_1
	v_sub_u16_sdwa v172, v172, v174 dst_sel:BYTE_1 dst_unused:UNUSED_PAD src0_sel:DWORD src1_sel:BYTE_3
	v_sub_u16_sdwa v174, v176, v174 dst_sel:DWORD dst_unused:UNUSED_PAD src0_sel:WORD_1 src1_sel:WORD_1
	v_ashrrev_i32_e32 v173, s21, v173
	v_lshlrev_b32_e32 v175, 2, v175
	v_or_b32_sdwa v177, v177, v178 dst_sel:DWORD dst_unused:UNUSED_PAD src0_sel:BYTE_0 src1_sel:DWORD
	v_or_b32_sdwa v172, v174, v172 dst_sel:WORD_1 dst_unused:UNUSED_PAD src0_sel:BYTE_0 src1_sel:DWORD
	v_and_b32_e32 v174, 0x3030303, v173
	v_bfe_u32 v173, v173, 24, 2
	v_and_b32_e32 v175, 0x4040404, v175
	v_or_b32_sdwa v172, v177, v172 dst_sel:DWORD dst_unused:UNUSED_PAD src0_sel:WORD_0 src1_sel:DWORD
	v_sub_u16_e32 v176, v174, v175
	v_sub_u16_sdwa v177, v174, v175 dst_sel:BYTE_1 dst_unused:UNUSED_PAD src0_sel:BYTE_1 src1_sel:BYTE_1
	v_sub_u16_sdwa v173, v173, v175 dst_sel:BYTE_1 dst_unused:UNUSED_PAD src0_sel:DWORD src1_sel:BYTE_3
	v_sub_u16_sdwa v174, v174, v175 dst_sel:DWORD dst_unused:UNUSED_PAD src0_sel:WORD_1 src1_sel:WORD_1
	v_or_b32_sdwa v176, v176, v177 dst_sel:DWORD dst_unused:UNUSED_PAD src0_sel:BYTE_0 src1_sel:DWORD
	v_or_b32_sdwa v173, v174, v173 dst_sel:WORD_1 dst_unused:UNUSED_PAD src0_sel:BYTE_0 src1_sel:DWORD
	ds_read2_b32 v[174:175], v87 offset0:4 offset1:5
	v_or_b32_sdwa v173, v176, v173 dst_sel:DWORD dst_unused:UNUSED_PAD src0_sel:WORD_0 src1_sel:DWORD
	v_add_u32_e32 v176, 0x4210, v180
	ds_read2_b32 v[176:177], v176 offset1:1
	ds_read2_b32 v[186:187], v183 offset1:1
	s_waitcnt lgkmcnt(2)
	v_ashrrev_i32_e32 v174, s21, v174
	v_and_b32_e32 v178, 0x3030303, v174
	v_bfe_u32 v174, v174, 24, 2
	s_waitcnt lgkmcnt(1)
	v_ashrrev_i32_e32 v176, s19, v176
	v_lshlrev_b32_e32 v176, 2, v176
	v_and_b32_e32 v176, 0x4040404, v176
	v_ashrrev_i32_e32 v177, s19, v177
	v_sub_u16_e32 v179, v178, v176
	v_sub_u16_sdwa v181, v178, v176 dst_sel:BYTE_1 dst_unused:UNUSED_PAD src0_sel:BYTE_1 src1_sel:BYTE_1
	v_sub_u16_sdwa v174, v174, v176 dst_sel:BYTE_1 dst_unused:UNUSED_PAD src0_sel:DWORD src1_sel:BYTE_3
	v_sub_u16_sdwa v176, v178, v176 dst_sel:DWORD dst_unused:UNUSED_PAD src0_sel:WORD_1 src1_sel:WORD_1
	v_ashrrev_i32_e32 v175, s21, v175
	v_lshlrev_b32_e32 v177, 2, v177
	v_or_b32_sdwa v179, v179, v181 dst_sel:DWORD dst_unused:UNUSED_PAD src0_sel:BYTE_0 src1_sel:DWORD
	v_or_b32_sdwa v174, v176, v174 dst_sel:WORD_1 dst_unused:UNUSED_PAD src0_sel:BYTE_0 src1_sel:DWORD
	v_and_b32_e32 v176, 0x3030303, v175
	v_bfe_u32 v175, v175, 24, 2
	v_and_b32_e32 v177, 0x4040404, v177
	v_or_b32_sdwa v174, v179, v174 dst_sel:DWORD dst_unused:UNUSED_PAD src0_sel:WORD_0 src1_sel:DWORD
	v_sub_u16_e32 v178, v176, v177
	v_sub_u16_sdwa v179, v176, v177 dst_sel:BYTE_1 dst_unused:UNUSED_PAD src0_sel:BYTE_1 src1_sel:BYTE_1
	v_sub_u16_sdwa v175, v175, v177 dst_sel:BYTE_1 dst_unused:UNUSED_PAD src0_sel:DWORD src1_sel:BYTE_3
	v_sub_u16_sdwa v176, v176, v177 dst_sel:DWORD dst_unused:UNUSED_PAD src0_sel:WORD_1 src1_sel:WORD_1
	v_or_b32_sdwa v178, v178, v179 dst_sel:DWORD dst_unused:UNUSED_PAD src0_sel:BYTE_0 src1_sel:DWORD
	v_or_b32_sdwa v175, v176, v175 dst_sel:WORD_1 dst_unused:UNUSED_PAD src0_sel:BYTE_0 src1_sel:DWORD
	v_add_u32_e32 v177, 0x4218, v180
	v_or_b32_sdwa v176, v178, v175 dst_sel:DWORD dst_unused:UNUSED_PAD src0_sel:WORD_0 src1_sel:DWORD
	ds_read2_b32 v[178:179], v87 offset0:6 offset1:7
	ds_read2_b32 v[180:181], v177 offset1:1
	s_waitcnt lgkmcnt(2)
	v_ashrrev_i32_e32 v183, s19, v186
	v_lshlrev_b32_e32 v183, 2, v183
	v_and_b32_e32 v183, 0x4040404, v183
	s_waitcnt lgkmcnt(1)
	v_ashrrev_i32_e32 v87, s21, v178
	s_waitcnt lgkmcnt(0)
	v_ashrrev_i32_e32 v177, s19, v180
	v_lshlrev_b32_e32 v177, 2, v177
	v_and_b32_e32 v175, 0x3030303, v87
	v_bfe_u32 v87, v87, 24, 2
	v_and_b32_e32 v177, 0x4040404, v177
	v_sub_u16_e32 v178, v175, v177
	v_sub_u16_sdwa v180, v175, v177 dst_sel:BYTE_1 dst_unused:UNUSED_PAD src0_sel:BYTE_1 src1_sel:BYTE_1
	v_sub_u16_sdwa v87, v87, v177 dst_sel:BYTE_1 dst_unused:UNUSED_PAD src0_sel:DWORD src1_sel:BYTE_3
	v_sub_u16_sdwa v175, v175, v177 dst_sel:DWORD dst_unused:UNUSED_PAD src0_sel:WORD_1 src1_sel:WORD_1
	v_or_b32_sdwa v178, v178, v180 dst_sel:DWORD dst_unused:UNUSED_PAD src0_sel:BYTE_0 src1_sel:DWORD
	v_or_b32_sdwa v87, v175, v87 dst_sel:WORD_1 dst_unused:UNUSED_PAD src0_sel:BYTE_0 src1_sel:DWORD
	v_add_lshl_u32 v202, v135, s23, 2
	v_or_b32_sdwa v177, v178, v87 dst_sel:DWORD dst_unused:UNUSED_PAD src0_sel:WORD_0 src1_sel:DWORD
	v_ashrrev_i32_e32 v178, s19, v181
	v_ashrrev_i32_e32 v87, s21, v179
	v_lshlrev_b32_e32 v178, 2, v178
	v_and_b32_e32 v175, 0x3030303, v87
	v_bfe_u32 v87, v87, 24, 2
	v_and_b32_e32 v178, 0x4040404, v178
	v_sub_u16_e32 v179, v175, v178
	v_sub_u16_sdwa v180, v175, v178 dst_sel:BYTE_1 dst_unused:UNUSED_PAD src0_sel:BYTE_1 src1_sel:BYTE_1
	v_sub_u16_sdwa v87, v87, v178 dst_sel:BYTE_1 dst_unused:UNUSED_PAD src0_sel:DWORD src1_sel:BYTE_3
	v_sub_u16_sdwa v175, v175, v178 dst_sel:DWORD dst_unused:UNUSED_PAD src0_sel:WORD_1 src1_sel:WORD_1
	v_or_b32_sdwa v179, v179, v180 dst_sel:DWORD dst_unused:UNUSED_PAD src0_sel:BYTE_0 src1_sel:DWORD
	v_or_b32_sdwa v87, v175, v87 dst_sel:WORD_1 dst_unused:UNUSED_PAD src0_sel:BYTE_0 src1_sel:DWORD
	v_add_u32_e32 v175, s25, v131
	v_or_b32_sdwa v178, v179, v87 dst_sel:DWORD dst_unused:UNUSED_PAD src0_sel:WORD_0 src1_sel:DWORD
	v_add3_u32 v87, v145, s22, v86
	ds_read_b32 v175, v175
	ds_read_u16 v87, v87 offset:8194
	v_mov_b32_e32 v179, 0
	v_dot4c_i32_i8_e32 v179, v170, v4
	v_dot4c_i32_i8_e32 v179, v171, v5
	;; [unrolled: 1-line block ×3, first 2 shown]
	s_waitcnt lgkmcnt(0)
	v_lshrrev_b16_e32 v181, 8, v87
	v_bfe_i32 v180, v87, 0, 8
	v_mov_b32_e32 v87, 0
	v_dot4c_i32_i8_e32 v87, v174, v0
	v_dot4c_i32_i8_e32 v87, v176, v1
	;; [unrolled: 1-line block ×5, first 2 shown]
	v_bfe_i32 v182, v181, 0, 8
	v_mul_lo_u32 v184, v179, v180
	v_add_u32_e32 v206, 0x4200, v212
	v_mad_u64_u32 v[184:185], s[26:27], v87, v182, v[184:185]
	v_cvt_f32_i32_e32 v179, v184
	v_mul_f32_e32 v87, v84, v175
	ds_read2_b32 v[206:207], v206 offset1:1
	s_add_i32 s20, s20, 2
	v_fmac_f32_e32 v125, v87, v179
	v_add_u32_e32 v87, s24, v133
	ds_read2_b32 v[184:185], v87 offset1:1
	s_waitcnt lgkmcnt(1)
	v_ashrrev_i32_e32 v206, s19, v206
	v_lshlrev_b32_e32 v206, 2, v206
	v_and_b32_e32 v206, 0x4040404, v206
	s_waitcnt lgkmcnt(0)
	v_ashrrev_i32_e32 v179, s21, v184
	v_and_b32_e32 v181, 0x3030303, v179
	v_bfe_u32 v179, v179, 24, 2
	v_sub_u16_e32 v184, v181, v183
	v_sub_u16_sdwa v186, v181, v183 dst_sel:BYTE_1 dst_unused:UNUSED_PAD src0_sel:BYTE_1 src1_sel:BYTE_1
	v_sub_u16_sdwa v179, v179, v183 dst_sel:BYTE_1 dst_unused:UNUSED_PAD src0_sel:DWORD src1_sel:BYTE_3
	v_sub_u16_sdwa v181, v181, v183 dst_sel:DWORD dst_unused:UNUSED_PAD src0_sel:WORD_1 src1_sel:WORD_1
	v_or_b32_sdwa v184, v184, v186 dst_sel:DWORD dst_unused:UNUSED_PAD src0_sel:BYTE_0 src1_sel:DWORD
	v_or_b32_sdwa v179, v181, v179 dst_sel:WORD_1 dst_unused:UNUSED_PAD src0_sel:BYTE_0 src1_sel:DWORD
	v_ashrrev_i32_e32 v181, s21, v185
	v_or_b32_sdwa v179, v184, v179 dst_sel:DWORD dst_unused:UNUSED_PAD src0_sel:WORD_0 src1_sel:DWORD
	v_ashrrev_i32_e32 v184, s19, v187
	v_lshlrev_b32_e32 v184, 2, v184
	v_and_b32_e32 v183, 0x3030303, v181
	v_bfe_u32 v181, v181, 24, 2
	v_and_b32_e32 v184, 0x4040404, v184
	v_sub_u16_e32 v185, v183, v184
	v_sub_u16_sdwa v186, v183, v184 dst_sel:BYTE_1 dst_unused:UNUSED_PAD src0_sel:BYTE_1 src1_sel:BYTE_1
	v_sub_u16_sdwa v181, v181, v184 dst_sel:BYTE_1 dst_unused:UNUSED_PAD src0_sel:DWORD src1_sel:BYTE_3
	v_sub_u16_sdwa v183, v183, v184 dst_sel:DWORD dst_unused:UNUSED_PAD src0_sel:WORD_1 src1_sel:WORD_1
	v_or_b32_sdwa v185, v185, v186 dst_sel:DWORD dst_unused:UNUSED_PAD src0_sel:BYTE_0 src1_sel:DWORD
	v_or_b32_sdwa v181, v183, v181 dst_sel:WORD_1 dst_unused:UNUSED_PAD src0_sel:BYTE_0 src1_sel:DWORD
	v_add_u32_e32 v186, 0x4208, v190
	v_or_b32_sdwa v181, v185, v181 dst_sel:DWORD dst_unused:UNUSED_PAD src0_sel:WORD_0 src1_sel:DWORD
	ds_read2_b32 v[184:185], v87 offset0:2 offset1:3
	ds_read2_b32 v[186:187], v186 offset1:1
	s_waitcnt lgkmcnt(1)
	v_ashrrev_i32_e32 v183, s21, v184
	s_waitcnt lgkmcnt(0)
	v_ashrrev_i32_e32 v186, s19, v186
	v_lshlrev_b32_e32 v186, 2, v186
	v_and_b32_e32 v184, 0x3030303, v183
	v_bfe_u32 v183, v183, 24, 2
	v_and_b32_e32 v186, 0x4040404, v186
	v_sub_u16_e32 v188, v184, v186
	v_sub_u16_sdwa v189, v184, v186 dst_sel:BYTE_1 dst_unused:UNUSED_PAD src0_sel:BYTE_1 src1_sel:BYTE_1
	v_sub_u16_sdwa v183, v183, v186 dst_sel:BYTE_1 dst_unused:UNUSED_PAD src0_sel:DWORD src1_sel:BYTE_3
	v_sub_u16_sdwa v184, v184, v186 dst_sel:DWORD dst_unused:UNUSED_PAD src0_sel:WORD_1 src1_sel:WORD_1
	v_ashrrev_i32_e32 v186, s19, v187
	v_or_b32_sdwa v183, v184, v183 dst_sel:WORD_1 dst_unused:UNUSED_PAD src0_sel:BYTE_0 src1_sel:DWORD
	v_ashrrev_i32_e32 v184, s21, v185
	v_lshlrev_b32_e32 v186, 2, v186
	v_or_b32_sdwa v188, v188, v189 dst_sel:DWORD dst_unused:UNUSED_PAD src0_sel:BYTE_0 src1_sel:DWORD
	v_and_b32_e32 v185, 0x3030303, v184
	v_bfe_u32 v184, v184, 24, 2
	v_and_b32_e32 v186, 0x4040404, v186
	v_or_b32_sdwa v183, v188, v183 dst_sel:DWORD dst_unused:UNUSED_PAD src0_sel:WORD_0 src1_sel:DWORD
	v_sub_u16_e32 v187, v185, v186
	v_sub_u16_sdwa v188, v185, v186 dst_sel:BYTE_1 dst_unused:UNUSED_PAD src0_sel:BYTE_1 src1_sel:BYTE_1
	v_sub_u16_sdwa v184, v184, v186 dst_sel:BYTE_1 dst_unused:UNUSED_PAD src0_sel:DWORD src1_sel:BYTE_3
	v_sub_u16_sdwa v185, v185, v186 dst_sel:DWORD dst_unused:UNUSED_PAD src0_sel:WORD_1 src1_sel:WORD_1
	v_or_b32_sdwa v187, v187, v188 dst_sel:DWORD dst_unused:UNUSED_PAD src0_sel:BYTE_0 src1_sel:DWORD
	v_or_b32_sdwa v184, v185, v184 dst_sel:WORD_1 dst_unused:UNUSED_PAD src0_sel:BYTE_0 src1_sel:DWORD
	v_add_u32_e32 v188, 0x4210, v190
	v_or_b32_sdwa v184, v187, v184 dst_sel:DWORD dst_unused:UNUSED_PAD src0_sel:WORD_0 src1_sel:DWORD
	ds_read2_b32 v[186:187], v87 offset0:4 offset1:5
	ds_read2_b32 v[188:189], v188 offset1:1
	s_waitcnt lgkmcnt(1)
	v_ashrrev_i32_e32 v185, s21, v186
	s_waitcnt lgkmcnt(0)
	v_ashrrev_i32_e32 v188, s19, v188
	v_lshlrev_b32_e32 v188, 2, v188
	v_and_b32_e32 v186, 0x3030303, v185
	v_bfe_u32 v185, v185, 24, 2
	v_and_b32_e32 v188, 0x4040404, v188
	v_sub_u16_e32 v191, v186, v188
	v_sub_u16_sdwa v192, v186, v188 dst_sel:BYTE_1 dst_unused:UNUSED_PAD src0_sel:BYTE_1 src1_sel:BYTE_1
	v_sub_u16_sdwa v185, v185, v188 dst_sel:BYTE_1 dst_unused:UNUSED_PAD src0_sel:DWORD src1_sel:BYTE_3
	v_sub_u16_sdwa v186, v186, v188 dst_sel:DWORD dst_unused:UNUSED_PAD src0_sel:WORD_1 src1_sel:WORD_1
	v_ashrrev_i32_e32 v188, s19, v189
	v_or_b32_sdwa v185, v186, v185 dst_sel:WORD_1 dst_unused:UNUSED_PAD src0_sel:BYTE_0 src1_sel:DWORD
	v_ashrrev_i32_e32 v186, s21, v187
	v_lshlrev_b32_e32 v188, 2, v188
	v_or_b32_sdwa v191, v191, v192 dst_sel:DWORD dst_unused:UNUSED_PAD src0_sel:BYTE_0 src1_sel:DWORD
	v_and_b32_e32 v187, 0x3030303, v186
	v_bfe_u32 v186, v186, 24, 2
	v_and_b32_e32 v188, 0x4040404, v188
	v_or_b32_sdwa v185, v191, v185 dst_sel:DWORD dst_unused:UNUSED_PAD src0_sel:WORD_0 src1_sel:DWORD
	v_sub_u16_e32 v189, v187, v188
	v_sub_u16_sdwa v191, v187, v188 dst_sel:BYTE_1 dst_unused:UNUSED_PAD src0_sel:BYTE_1 src1_sel:BYTE_1
	v_sub_u16_sdwa v186, v186, v188 dst_sel:BYTE_1 dst_unused:UNUSED_PAD src0_sel:DWORD src1_sel:BYTE_3
	v_sub_u16_sdwa v187, v187, v188 dst_sel:DWORD dst_unused:UNUSED_PAD src0_sel:WORD_1 src1_sel:WORD_1
	v_or_b32_sdwa v189, v189, v191 dst_sel:DWORD dst_unused:UNUSED_PAD src0_sel:BYTE_0 src1_sel:DWORD
	v_or_b32_sdwa v186, v187, v186 dst_sel:WORD_1 dst_unused:UNUSED_PAD src0_sel:BYTE_0 src1_sel:DWORD
	s_nop 0
	v_or_b32_sdwa v187, v189, v186 dst_sel:DWORD dst_unused:UNUSED_PAD src0_sel:WORD_0 src1_sel:DWORD
	ds_read2_b32 v[188:189], v87 offset0:6 offset1:7
	s_waitcnt lgkmcnt(0)
	v_ashrrev_i32_e32 v87, s21, v188
	v_add_u32_e32 v188, 0x4218, v190
	ds_read2_b32 v[190:191], v188 offset1:1
	v_and_b32_e32 v186, 0x3030303, v87
	v_bfe_u32 v87, v87, 24, 2
	s_waitcnt lgkmcnt(0)
	v_ashrrev_i32_e32 v188, s19, v190
	v_lshlrev_b32_e32 v188, 2, v188
	v_and_b32_e32 v188, 0x4040404, v188
	v_sub_u16_e32 v190, v186, v188
	v_sub_u16_sdwa v192, v186, v188 dst_sel:BYTE_1 dst_unused:UNUSED_PAD src0_sel:BYTE_1 src1_sel:BYTE_1
	v_sub_u16_sdwa v87, v87, v188 dst_sel:BYTE_1 dst_unused:UNUSED_PAD src0_sel:DWORD src1_sel:BYTE_3
	v_sub_u16_sdwa v186, v186, v188 dst_sel:DWORD dst_unused:UNUSED_PAD src0_sel:WORD_1 src1_sel:WORD_1
	v_or_b32_sdwa v190, v190, v192 dst_sel:DWORD dst_unused:UNUSED_PAD src0_sel:BYTE_0 src1_sel:DWORD
	v_or_b32_sdwa v87, v186, v87 dst_sel:WORD_1 dst_unused:UNUSED_PAD src0_sel:BYTE_0 src1_sel:DWORD
	s_nop 0
	v_or_b32_sdwa v188, v190, v87 dst_sel:DWORD dst_unused:UNUSED_PAD src0_sel:WORD_0 src1_sel:DWORD
	v_ashrrev_i32_e32 v87, s21, v189
	v_ashrrev_i32_e32 v189, s19, v191
	v_lshlrev_b32_e32 v189, 2, v189
	v_and_b32_e32 v186, 0x3030303, v87
	v_bfe_u32 v87, v87, 24, 2
	v_and_b32_e32 v189, 0x4040404, v189
	v_sub_u16_e32 v190, v186, v189
	v_sub_u16_sdwa v191, v186, v189 dst_sel:BYTE_1 dst_unused:UNUSED_PAD src0_sel:BYTE_1 src1_sel:BYTE_1
	v_sub_u16_sdwa v87, v87, v189 dst_sel:BYTE_1 dst_unused:UNUSED_PAD src0_sel:DWORD src1_sel:BYTE_3
	v_sub_u16_sdwa v186, v186, v189 dst_sel:DWORD dst_unused:UNUSED_PAD src0_sel:WORD_1 src1_sel:WORD_1
	v_or_b32_sdwa v190, v190, v191 dst_sel:DWORD dst_unused:UNUSED_PAD src0_sel:BYTE_0 src1_sel:DWORD
	v_or_b32_sdwa v87, v186, v87 dst_sel:WORD_1 dst_unused:UNUSED_PAD src0_sel:BYTE_0 src1_sel:DWORD
	v_add_u32_e32 v186, s25, v134
	v_or_b32_sdwa v189, v190, v87 dst_sel:DWORD dst_unused:UNUSED_PAD src0_sel:WORD_0 src1_sel:DWORD
	v_add3_u32 v87, v147, s22, v86
	ds_read_b32 v186, v186
	ds_read_u16 v87, v87 offset:9218
	v_mov_b32_e32 v191, 0
	v_dot4c_i32_i8_e32 v191, v179, v4
	v_dot4c_i32_i8_e32 v191, v181, v5
	;; [unrolled: 1-line block ×3, first 2 shown]
	s_waitcnt lgkmcnt(0)
	v_lshrrev_b16_e32 v193, 8, v87
	v_bfe_i32 v190, v87, 0, 8
	v_mov_b32_e32 v87, 0
	v_dot4c_i32_i8_e32 v87, v185, v0
	v_dot4c_i32_i8_e32 v87, v187, v1
	;; [unrolled: 1-line block ×5, first 2 shown]
	v_bfe_i32 v193, v193, 0, 8
	v_mul_lo_u32 v192, v191, v190
	s_nop 0
	v_mad_u64_u32 v[194:195], s[26:27], v87, v193, v[192:193]
	v_cvt_f32_i32_e32 v191, v194
	v_mul_f32_e32 v87, v84, v186
	v_fmac_f32_e32 v116, v87, v191
	v_add_u32_e32 v87, s24, v136
	ds_read2_b32 v[194:195], v87 offset1:1
	s_waitcnt lgkmcnt(0)
	v_ashrrev_i32_e32 v191, s21, v194
	v_add_u32_e32 v194, 0x4200, v202
	ds_read2_b32 v[196:197], v194 offset1:1
	v_and_b32_e32 v192, 0x3030303, v191
	v_bfe_u32 v191, v191, 24, 2
	s_waitcnt lgkmcnt(0)
	v_ashrrev_i32_e32 v194, s19, v196
	v_lshlrev_b32_e32 v194, 2, v194
	v_and_b32_e32 v194, 0x4040404, v194
	v_sub_u16_e32 v196, v192, v194
	v_sub_u16_sdwa v198, v192, v194 dst_sel:BYTE_1 dst_unused:UNUSED_PAD src0_sel:BYTE_1 src1_sel:BYTE_1
	v_sub_u16_sdwa v191, v191, v194 dst_sel:BYTE_1 dst_unused:UNUSED_PAD src0_sel:DWORD src1_sel:BYTE_3
	v_sub_u16_sdwa v192, v192, v194 dst_sel:DWORD dst_unused:UNUSED_PAD src0_sel:WORD_1 src1_sel:WORD_1
	v_or_b32_sdwa v191, v192, v191 dst_sel:WORD_1 dst_unused:UNUSED_PAD src0_sel:BYTE_0 src1_sel:DWORD
	v_ashrrev_i32_e32 v192, s21, v195
	v_ashrrev_i32_e32 v195, s19, v197
	v_lshlrev_b32_e32 v195, 2, v195
	v_or_b32_sdwa v196, v196, v198 dst_sel:DWORD dst_unused:UNUSED_PAD src0_sel:BYTE_0 src1_sel:DWORD
	v_and_b32_e32 v194, 0x3030303, v192
	v_bfe_u32 v192, v192, 24, 2
	v_and_b32_e32 v195, 0x4040404, v195
	v_or_b32_sdwa v191, v196, v191 dst_sel:DWORD dst_unused:UNUSED_PAD src0_sel:WORD_0 src1_sel:DWORD
	v_sub_u16_e32 v196, v194, v195
	v_sub_u16_sdwa v197, v194, v195 dst_sel:BYTE_1 dst_unused:UNUSED_PAD src0_sel:BYTE_1 src1_sel:BYTE_1
	v_sub_u16_sdwa v192, v192, v195 dst_sel:BYTE_1 dst_unused:UNUSED_PAD src0_sel:DWORD src1_sel:BYTE_3
	v_sub_u16_sdwa v194, v194, v195 dst_sel:DWORD dst_unused:UNUSED_PAD src0_sel:WORD_1 src1_sel:WORD_1
	v_or_b32_sdwa v196, v196, v197 dst_sel:DWORD dst_unused:UNUSED_PAD src0_sel:BYTE_0 src1_sel:DWORD
	v_or_b32_sdwa v192, v194, v192 dst_sel:WORD_1 dst_unused:UNUSED_PAD src0_sel:BYTE_0 src1_sel:DWORD
	ds_read2_b32 v[194:195], v87 offset0:2 offset1:3
	v_or_b32_sdwa v192, v196, v192 dst_sel:DWORD dst_unused:UNUSED_PAD src0_sel:WORD_0 src1_sel:DWORD
	v_add_u32_e32 v196, 0x4208, v202
	ds_read2_b32 v[196:197], v196 offset1:1
	s_waitcnt lgkmcnt(1)
	v_ashrrev_i32_e32 v194, s21, v194
	v_and_b32_e32 v198, 0x3030303, v194
	v_bfe_u32 v194, v194, 24, 2
	s_waitcnt lgkmcnt(0)
	v_ashrrev_i32_e32 v196, s19, v196
	v_lshlrev_b32_e32 v196, 2, v196
	v_and_b32_e32 v196, 0x4040404, v196
	v_ashrrev_i32_e32 v197, s19, v197
	v_sub_u16_e32 v199, v198, v196
	v_sub_u16_sdwa v200, v198, v196 dst_sel:BYTE_1 dst_unused:UNUSED_PAD src0_sel:BYTE_1 src1_sel:BYTE_1
	v_sub_u16_sdwa v194, v194, v196 dst_sel:BYTE_1 dst_unused:UNUSED_PAD src0_sel:DWORD src1_sel:BYTE_3
	v_sub_u16_sdwa v196, v198, v196 dst_sel:DWORD dst_unused:UNUSED_PAD src0_sel:WORD_1 src1_sel:WORD_1
	v_ashrrev_i32_e32 v195, s21, v195
	v_lshlrev_b32_e32 v197, 2, v197
	v_or_b32_sdwa v199, v199, v200 dst_sel:DWORD dst_unused:UNUSED_PAD src0_sel:BYTE_0 src1_sel:DWORD
	v_or_b32_sdwa v194, v196, v194 dst_sel:WORD_1 dst_unused:UNUSED_PAD src0_sel:BYTE_0 src1_sel:DWORD
	v_and_b32_e32 v196, 0x3030303, v195
	v_bfe_u32 v195, v195, 24, 2
	v_and_b32_e32 v197, 0x4040404, v197
	v_or_b32_sdwa v194, v199, v194 dst_sel:DWORD dst_unused:UNUSED_PAD src0_sel:WORD_0 src1_sel:DWORD
	v_sub_u16_e32 v198, v196, v197
	v_sub_u16_sdwa v199, v196, v197 dst_sel:BYTE_1 dst_unused:UNUSED_PAD src0_sel:BYTE_1 src1_sel:BYTE_1
	v_sub_u16_sdwa v195, v195, v197 dst_sel:BYTE_1 dst_unused:UNUSED_PAD src0_sel:DWORD src1_sel:BYTE_3
	v_sub_u16_sdwa v196, v196, v197 dst_sel:DWORD dst_unused:UNUSED_PAD src0_sel:WORD_1 src1_sel:WORD_1
	v_or_b32_sdwa v198, v198, v199 dst_sel:DWORD dst_unused:UNUSED_PAD src0_sel:BYTE_0 src1_sel:DWORD
	v_or_b32_sdwa v195, v196, v195 dst_sel:WORD_1 dst_unused:UNUSED_PAD src0_sel:BYTE_0 src1_sel:DWORD
	ds_read2_b32 v[196:197], v87 offset0:4 offset1:5
	v_or_b32_sdwa v195, v198, v195 dst_sel:DWORD dst_unused:UNUSED_PAD src0_sel:WORD_0 src1_sel:DWORD
	v_add_u32_e32 v198, 0x4210, v202
	ds_read2_b32 v[198:199], v198 offset1:1
	s_waitcnt lgkmcnt(1)
	v_ashrrev_i32_e32 v196, s21, v196
	v_and_b32_e32 v200, 0x3030303, v196
	v_bfe_u32 v196, v196, 24, 2
	s_waitcnt lgkmcnt(0)
	v_ashrrev_i32_e32 v198, s19, v198
	v_lshlrev_b32_e32 v198, 2, v198
	v_and_b32_e32 v198, 0x4040404, v198
	v_ashrrev_i32_e32 v199, s19, v199
	v_sub_u16_e32 v201, v200, v198
	v_sub_u16_sdwa v203, v200, v198 dst_sel:BYTE_1 dst_unused:UNUSED_PAD src0_sel:BYTE_1 src1_sel:BYTE_1
	v_sub_u16_sdwa v196, v196, v198 dst_sel:BYTE_1 dst_unused:UNUSED_PAD src0_sel:DWORD src1_sel:BYTE_3
	v_sub_u16_sdwa v198, v200, v198 dst_sel:DWORD dst_unused:UNUSED_PAD src0_sel:WORD_1 src1_sel:WORD_1
	v_ashrrev_i32_e32 v197, s21, v197
	v_lshlrev_b32_e32 v199, 2, v199
	v_or_b32_sdwa v201, v201, v203 dst_sel:DWORD dst_unused:UNUSED_PAD src0_sel:BYTE_0 src1_sel:DWORD
	v_or_b32_sdwa v196, v198, v196 dst_sel:WORD_1 dst_unused:UNUSED_PAD src0_sel:BYTE_0 src1_sel:DWORD
	v_and_b32_e32 v198, 0x3030303, v197
	v_bfe_u32 v197, v197, 24, 2
	v_and_b32_e32 v199, 0x4040404, v199
	v_or_b32_sdwa v196, v201, v196 dst_sel:DWORD dst_unused:UNUSED_PAD src0_sel:WORD_0 src1_sel:DWORD
	v_sub_u16_e32 v200, v198, v199
	v_sub_u16_sdwa v201, v198, v199 dst_sel:BYTE_1 dst_unused:UNUSED_PAD src0_sel:BYTE_1 src1_sel:BYTE_1
	v_sub_u16_sdwa v197, v197, v199 dst_sel:BYTE_1 dst_unused:UNUSED_PAD src0_sel:DWORD src1_sel:BYTE_3
	v_sub_u16_sdwa v198, v198, v199 dst_sel:DWORD dst_unused:UNUSED_PAD src0_sel:WORD_1 src1_sel:WORD_1
	v_or_b32_sdwa v200, v200, v201 dst_sel:DWORD dst_unused:UNUSED_PAD src0_sel:BYTE_0 src1_sel:DWORD
	v_or_b32_sdwa v197, v198, v197 dst_sel:WORD_1 dst_unused:UNUSED_PAD src0_sel:BYTE_0 src1_sel:DWORD
	v_add_u32_e32 v199, 0x4218, v202
	v_or_b32_sdwa v198, v200, v197 dst_sel:DWORD dst_unused:UNUSED_PAD src0_sel:WORD_0 src1_sel:DWORD
	ds_read2_b32 v[200:201], v87 offset0:6 offset1:7
	ds_read2_b32 v[202:203], v199 offset1:1
	s_waitcnt lgkmcnt(1)
	v_ashrrev_i32_e32 v87, s21, v200
	s_waitcnt lgkmcnt(0)
	v_ashrrev_i32_e32 v199, s19, v202
	v_lshlrev_b32_e32 v199, 2, v199
	v_and_b32_e32 v197, 0x3030303, v87
	v_bfe_u32 v87, v87, 24, 2
	v_and_b32_e32 v199, 0x4040404, v199
	v_sub_u16_e32 v200, v197, v199
	v_sub_u16_sdwa v202, v197, v199 dst_sel:BYTE_1 dst_unused:UNUSED_PAD src0_sel:BYTE_1 src1_sel:BYTE_1
	v_sub_u16_sdwa v87, v87, v199 dst_sel:BYTE_1 dst_unused:UNUSED_PAD src0_sel:DWORD src1_sel:BYTE_3
	v_sub_u16_sdwa v197, v197, v199 dst_sel:DWORD dst_unused:UNUSED_PAD src0_sel:WORD_1 src1_sel:WORD_1
	v_or_b32_sdwa v200, v200, v202 dst_sel:DWORD dst_unused:UNUSED_PAD src0_sel:BYTE_0 src1_sel:DWORD
	v_or_b32_sdwa v87, v197, v87 dst_sel:WORD_1 dst_unused:UNUSED_PAD src0_sel:BYTE_0 src1_sel:DWORD
	s_nop 0
	v_or_b32_sdwa v199, v200, v87 dst_sel:DWORD dst_unused:UNUSED_PAD src0_sel:WORD_0 src1_sel:DWORD
	v_ashrrev_i32_e32 v200, s19, v203
	v_ashrrev_i32_e32 v87, s21, v201
	v_lshlrev_b32_e32 v200, 2, v200
	v_and_b32_e32 v197, 0x3030303, v87
	v_bfe_u32 v87, v87, 24, 2
	v_and_b32_e32 v200, 0x4040404, v200
	v_sub_u16_e32 v201, v197, v200
	v_sub_u16_sdwa v202, v197, v200 dst_sel:BYTE_1 dst_unused:UNUSED_PAD src0_sel:BYTE_1 src1_sel:BYTE_1
	v_sub_u16_sdwa v87, v87, v200 dst_sel:BYTE_1 dst_unused:UNUSED_PAD src0_sel:DWORD src1_sel:BYTE_3
	v_sub_u16_sdwa v197, v197, v200 dst_sel:DWORD dst_unused:UNUSED_PAD src0_sel:WORD_1 src1_sel:WORD_1
	v_or_b32_sdwa v201, v201, v202 dst_sel:DWORD dst_unused:UNUSED_PAD src0_sel:BYTE_0 src1_sel:DWORD
	v_or_b32_sdwa v87, v197, v87 dst_sel:WORD_1 dst_unused:UNUSED_PAD src0_sel:BYTE_0 src1_sel:DWORD
	v_add_u32_e32 v197, s25, v137
	v_or_b32_sdwa v200, v201, v87 dst_sel:DWORD dst_unused:UNUSED_PAD src0_sel:WORD_0 src1_sel:DWORD
	v_add3_u32 v87, v149, s22, v86
	ds_read_b32 v197, v197
	ds_read_u16 v87, v87 offset:10242
	v_mov_b32_e32 v202, 0
	v_dot4c_i32_i8_e32 v202, v191, v4
	v_dot4c_i32_i8_e32 v202, v192, v5
	v_dot4c_i32_i8_e32 v202, v194, v6
	s_waitcnt lgkmcnt(0)
	v_lshrrev_b16_e32 v203, 8, v87
	v_bfe_i32 v201, v87, 0, 8
	v_mov_b32_e32 v87, 0
	v_dot4c_i32_i8_e32 v87, v196, v0
	v_dot4c_i32_i8_e32 v87, v198, v1
	;; [unrolled: 1-line block ×5, first 2 shown]
	v_bfe_i32 v204, v203, 0, 8
	v_mul_lo_u32 v202, v202, v201
	v_add3_u32 v86, v151, s22, v86
	v_mad_u64_u32 v[202:203], s[26:27], v87, v204, v[202:203]
	v_cvt_f32_i32_e32 v202, v202
	v_mul_f32_e32 v87, v84, v197
	v_fmac_f32_e32 v108, v87, v202
	v_add_u32_e32 v87, s24, v139
	ds_read2_b32 v[202:203], v87 offset1:1
	s_waitcnt lgkmcnt(0)
	v_ashrrev_i32_e32 v202, s21, v202
	v_and_b32_e32 v205, 0x3030303, v202
	v_bfe_u32 v202, v202, 24, 2
	v_sub_u16_e32 v208, v205, v206
	v_sub_u16_sdwa v209, v205, v206 dst_sel:BYTE_1 dst_unused:UNUSED_PAD src0_sel:BYTE_1 src1_sel:BYTE_1
	v_sub_u16_sdwa v202, v202, v206 dst_sel:BYTE_1 dst_unused:UNUSED_PAD src0_sel:DWORD src1_sel:BYTE_3
	v_sub_u16_sdwa v205, v205, v206 dst_sel:DWORD dst_unused:UNUSED_PAD src0_sel:WORD_1 src1_sel:WORD_1
	v_ashrrev_i32_e32 v206, s19, v207
	v_ashrrev_i32_e32 v203, s21, v203
	v_lshlrev_b32_e32 v206, 2, v206
	v_or_b32_sdwa v208, v208, v209 dst_sel:DWORD dst_unused:UNUSED_PAD src0_sel:BYTE_0 src1_sel:DWORD
	v_or_b32_sdwa v202, v205, v202 dst_sel:WORD_1 dst_unused:UNUSED_PAD src0_sel:BYTE_0 src1_sel:DWORD
	v_and_b32_e32 v205, 0x3030303, v203
	v_bfe_u32 v203, v203, 24, 2
	v_and_b32_e32 v206, 0x4040404, v206
	v_or_b32_sdwa v202, v208, v202 dst_sel:DWORD dst_unused:UNUSED_PAD src0_sel:WORD_0 src1_sel:DWORD
	v_sub_u16_e32 v207, v205, v206
	v_sub_u16_sdwa v208, v205, v206 dst_sel:BYTE_1 dst_unused:UNUSED_PAD src0_sel:BYTE_1 src1_sel:BYTE_1
	v_sub_u16_sdwa v203, v203, v206 dst_sel:BYTE_1 dst_unused:UNUSED_PAD src0_sel:DWORD src1_sel:BYTE_3
	v_sub_u16_sdwa v205, v205, v206 dst_sel:DWORD dst_unused:UNUSED_PAD src0_sel:WORD_1 src1_sel:WORD_1
	v_or_b32_sdwa v207, v207, v208 dst_sel:DWORD dst_unused:UNUSED_PAD src0_sel:BYTE_0 src1_sel:DWORD
	v_or_b32_sdwa v203, v205, v203 dst_sel:WORD_1 dst_unused:UNUSED_PAD src0_sel:BYTE_0 src1_sel:DWORD
	v_add_u32_e32 v208, 0x4208, v212
	v_or_b32_sdwa v203, v207, v203 dst_sel:DWORD dst_unused:UNUSED_PAD src0_sel:WORD_0 src1_sel:DWORD
	ds_read2_b32 v[206:207], v87 offset0:2 offset1:3
	ds_read2_b32 v[208:209], v208 offset1:1
	s_waitcnt lgkmcnt(1)
	v_ashrrev_i32_e32 v205, s21, v206
	s_waitcnt lgkmcnt(0)
	v_ashrrev_i32_e32 v208, s19, v208
	v_lshlrev_b32_e32 v208, 2, v208
	v_and_b32_e32 v206, 0x3030303, v205
	v_bfe_u32 v205, v205, 24, 2
	v_and_b32_e32 v208, 0x4040404, v208
	v_sub_u16_e32 v210, v206, v208
	v_sub_u16_sdwa v211, v206, v208 dst_sel:BYTE_1 dst_unused:UNUSED_PAD src0_sel:BYTE_1 src1_sel:BYTE_1
	v_sub_u16_sdwa v205, v205, v208 dst_sel:BYTE_1 dst_unused:UNUSED_PAD src0_sel:DWORD src1_sel:BYTE_3
	v_sub_u16_sdwa v206, v206, v208 dst_sel:DWORD dst_unused:UNUSED_PAD src0_sel:WORD_1 src1_sel:WORD_1
	v_ashrrev_i32_e32 v208, s19, v209
	v_or_b32_sdwa v205, v206, v205 dst_sel:WORD_1 dst_unused:UNUSED_PAD src0_sel:BYTE_0 src1_sel:DWORD
	v_ashrrev_i32_e32 v206, s21, v207
	v_lshlrev_b32_e32 v208, 2, v208
	v_or_b32_sdwa v210, v210, v211 dst_sel:DWORD dst_unused:UNUSED_PAD src0_sel:BYTE_0 src1_sel:DWORD
	v_and_b32_e32 v207, 0x3030303, v206
	v_bfe_u32 v206, v206, 24, 2
	v_and_b32_e32 v208, 0x4040404, v208
	v_or_b32_sdwa v205, v210, v205 dst_sel:DWORD dst_unused:UNUSED_PAD src0_sel:WORD_0 src1_sel:DWORD
	v_sub_u16_e32 v209, v207, v208
	v_sub_u16_sdwa v210, v207, v208 dst_sel:BYTE_1 dst_unused:UNUSED_PAD src0_sel:BYTE_1 src1_sel:BYTE_1
	v_sub_u16_sdwa v206, v206, v208 dst_sel:BYTE_1 dst_unused:UNUSED_PAD src0_sel:DWORD src1_sel:BYTE_3
	v_sub_u16_sdwa v207, v207, v208 dst_sel:DWORD dst_unused:UNUSED_PAD src0_sel:WORD_1 src1_sel:WORD_1
	v_or_b32_sdwa v209, v209, v210 dst_sel:DWORD dst_unused:UNUSED_PAD src0_sel:BYTE_0 src1_sel:DWORD
	v_or_b32_sdwa v206, v207, v206 dst_sel:WORD_1 dst_unused:UNUSED_PAD src0_sel:BYTE_0 src1_sel:DWORD
	v_add_u32_e32 v210, 0x4210, v212
	v_or_b32_sdwa v206, v209, v206 dst_sel:DWORD dst_unused:UNUSED_PAD src0_sel:WORD_0 src1_sel:DWORD
	ds_read2_b32 v[208:209], v87 offset0:4 offset1:5
	ds_read2_b32 v[210:211], v210 offset1:1
	s_waitcnt lgkmcnt(1)
	v_ashrrev_i32_e32 v207, s21, v208
	s_waitcnt lgkmcnt(0)
	v_ashrrev_i32_e32 v210, s19, v210
	v_lshlrev_b32_e32 v210, 2, v210
	v_and_b32_e32 v208, 0x3030303, v207
	v_bfe_u32 v207, v207, 24, 2
	v_and_b32_e32 v210, 0x4040404, v210
	v_sub_u16_e32 v213, v208, v210
	v_sub_u16_sdwa v214, v208, v210 dst_sel:BYTE_1 dst_unused:UNUSED_PAD src0_sel:BYTE_1 src1_sel:BYTE_1
	v_sub_u16_sdwa v207, v207, v210 dst_sel:BYTE_1 dst_unused:UNUSED_PAD src0_sel:DWORD src1_sel:BYTE_3
	v_sub_u16_sdwa v208, v208, v210 dst_sel:DWORD dst_unused:UNUSED_PAD src0_sel:WORD_1 src1_sel:WORD_1
	v_ashrrev_i32_e32 v210, s19, v211
	v_or_b32_sdwa v207, v208, v207 dst_sel:WORD_1 dst_unused:UNUSED_PAD src0_sel:BYTE_0 src1_sel:DWORD
	v_ashrrev_i32_e32 v208, s21, v209
	v_lshlrev_b32_e32 v210, 2, v210
	v_or_b32_sdwa v213, v213, v214 dst_sel:DWORD dst_unused:UNUSED_PAD src0_sel:BYTE_0 src1_sel:DWORD
	v_and_b32_e32 v209, 0x3030303, v208
	v_bfe_u32 v208, v208, 24, 2
	v_and_b32_e32 v210, 0x4040404, v210
	v_or_b32_sdwa v207, v213, v207 dst_sel:DWORD dst_unused:UNUSED_PAD src0_sel:WORD_0 src1_sel:DWORD
	v_sub_u16_e32 v211, v209, v210
	v_sub_u16_sdwa v213, v209, v210 dst_sel:BYTE_1 dst_unused:UNUSED_PAD src0_sel:BYTE_1 src1_sel:BYTE_1
	v_sub_u16_sdwa v208, v208, v210 dst_sel:BYTE_1 dst_unused:UNUSED_PAD src0_sel:DWORD src1_sel:BYTE_3
	v_sub_u16_sdwa v209, v209, v210 dst_sel:DWORD dst_unused:UNUSED_PAD src0_sel:WORD_1 src1_sel:WORD_1
	v_or_b32_sdwa v211, v211, v213 dst_sel:DWORD dst_unused:UNUSED_PAD src0_sel:BYTE_0 src1_sel:DWORD
	v_or_b32_sdwa v208, v209, v208 dst_sel:WORD_1 dst_unused:UNUSED_PAD src0_sel:BYTE_0 src1_sel:DWORD
	s_nop 0
	v_or_b32_sdwa v209, v211, v208 dst_sel:DWORD dst_unused:UNUSED_PAD src0_sel:WORD_0 src1_sel:DWORD
	ds_read2_b32 v[210:211], v87 offset0:6 offset1:7
	s_waitcnt lgkmcnt(0)
	v_ashrrev_i32_e32 v87, s21, v210
	v_add_u32_e32 v210, 0x4218, v212
	ds_read2_b32 v[212:213], v210 offset1:1
	v_and_b32_e32 v208, 0x3030303, v87
	v_bfe_u32 v87, v87, 24, 2
	s_waitcnt lgkmcnt(0)
	v_ashrrev_i32_e32 v210, s19, v212
	v_lshlrev_b32_e32 v210, 2, v210
	v_and_b32_e32 v210, 0x4040404, v210
	v_sub_u16_e32 v212, v208, v210
	v_sub_u16_sdwa v214, v208, v210 dst_sel:BYTE_1 dst_unused:UNUSED_PAD src0_sel:BYTE_1 src1_sel:BYTE_1
	v_sub_u16_sdwa v87, v87, v210 dst_sel:BYTE_1 dst_unused:UNUSED_PAD src0_sel:DWORD src1_sel:BYTE_3
	v_sub_u16_sdwa v208, v208, v210 dst_sel:DWORD dst_unused:UNUSED_PAD src0_sel:WORD_1 src1_sel:WORD_1
	v_or_b32_sdwa v212, v212, v214 dst_sel:DWORD dst_unused:UNUSED_PAD src0_sel:BYTE_0 src1_sel:DWORD
	v_or_b32_sdwa v87, v208, v87 dst_sel:WORD_1 dst_unused:UNUSED_PAD src0_sel:BYTE_0 src1_sel:DWORD
	s_nop 0
	v_or_b32_sdwa v210, v212, v87 dst_sel:DWORD dst_unused:UNUSED_PAD src0_sel:WORD_0 src1_sel:DWORD
	v_ashrrev_i32_e32 v87, s21, v211
	v_ashrrev_i32_e32 v211, s19, v213
	v_lshlrev_b32_e32 v211, 2, v211
	v_and_b32_e32 v208, 0x3030303, v87
	v_bfe_u32 v87, v87, 24, 2
	v_and_b32_e32 v211, 0x4040404, v211
	v_sub_u16_e32 v212, v208, v211
	v_sub_u16_sdwa v213, v208, v211 dst_sel:BYTE_1 dst_unused:UNUSED_PAD src0_sel:BYTE_1 src1_sel:BYTE_1
	v_sub_u16_sdwa v87, v87, v211 dst_sel:BYTE_1 dst_unused:UNUSED_PAD src0_sel:DWORD src1_sel:BYTE_3
	v_sub_u16_sdwa v208, v208, v211 dst_sel:DWORD dst_unused:UNUSED_PAD src0_sel:WORD_1 src1_sel:WORD_1
	v_or_b32_sdwa v212, v212, v213 dst_sel:DWORD dst_unused:UNUSED_PAD src0_sel:BYTE_0 src1_sel:DWORD
	v_or_b32_sdwa v87, v208, v87 dst_sel:WORD_1 dst_unused:UNUSED_PAD src0_sel:BYTE_0 src1_sel:DWORD
	s_add_i32 s19, s19, 1
	v_or_b32_sdwa v211, v212, v87 dst_sel:DWORD dst_unused:UNUSED_PAD src0_sel:WORD_0 src1_sel:DWORD
	v_add_u32_e32 v87, s25, v140
	ds_read_b32 v208, v87
	v_mov_b32_e32 v87, 0
	v_dot4c_i32_i8_e32 v87, v202, v4
	ds_read_u16 v4, v86 offset:11266
	v_dot4c_i32_i8_e32 v87, v203, v5
	v_dot4c_i32_i8_e32 v87, v205, v6
	v_mov_b32_e32 v6, 0
	v_dot4c_i32_i8_e32 v6, v207, v0
	v_dot4c_i32_i8_e32 v6, v209, v1
	;; [unrolled: 1-line block ×3, first 2 shown]
	s_waitcnt lgkmcnt(0)
	v_lshrrev_b16_e32 v5, 8, v4
	v_bfe_i32 v212, v4, 0, 8
	v_dot4c_i32_i8_e32 v6, v210, v2
	v_mul_lo_u32 v4, v87, v212
	v_dot4c_i32_i8_e32 v6, v211, v3
	v_bfe_i32 v213, v5, 0, 8
	v_mov_b32_e32 v86, 0
	s_cmp_lt_u32 s21, 6
	v_mad_u64_u32 v[0:1], s[22:23], v6, v213, v[4:5]
	v_cvt_f32_i32_e32 v0, v0
	v_mul_f32_e32 v1, v84, v208
	v_mov_b32_e32 v84, 0
	v_fmac_f32_e32 v106, v1, v0
	ds_read_b128 v[0:3], v168 offset:26368
	ds_read_b128 v[4:7], v168 offset:26384
	s_waitcnt lgkmcnt(1)
	v_dot4c_i32_i8_e32 v84, v170, v0
	v_dot4c_i32_i8_e32 v84, v171, v1
	s_waitcnt lgkmcnt(0)
	v_dot4c_i32_i8_e32 v86, v174, v4
	v_dot4c_i32_i8_e32 v84, v172, v2
	;; [unrolled: 1-line block ×6, first 2 shown]
	s_nop 0
	v_mul_lo_u32 v84, v84, v180
	s_nop 0
	v_mad_u64_u32 v[86:87], s[22:23], v86, v182, v[84:85]
	v_cvt_f32_i32_e32 v86, v86
	v_mul_f32_e32 v84, v175, v85
	v_fmac_f32_e32 v105, v84, v86
	v_mov_b32_e32 v84, 0
	v_dot4c_i32_i8_e32 v84, v179, v0
	v_mov_b32_e32 v86, 0
	v_dot4c_i32_i8_e32 v84, v181, v1
	v_dot4c_i32_i8_e32 v86, v185, v4
	;; [unrolled: 1-line block ×7, first 2 shown]
	s_nop 0
	v_mul_lo_u32 v84, v84, v190
	s_nop 0
	v_mad_u64_u32 v[86:87], s[22:23], v86, v193, v[84:85]
	v_cvt_f32_i32_e32 v86, v86
	v_mul_f32_e32 v84, v186, v85
	v_fmac_f32_e32 v101, v84, v86
	v_mov_b32_e32 v84, 0
	v_dot4c_i32_i8_e32 v84, v191, v0
	v_mov_b32_e32 v86, 0
	v_dot4c_i32_i8_e32 v84, v192, v1
	v_dot4c_i32_i8_e32 v86, v196, v4
	;; [unrolled: 1-line block ×7, first 2 shown]
	s_nop 0
	v_mul_lo_u32 v84, v84, v201
	s_nop 0
	v_mad_u64_u32 v[86:87], s[22:23], v86, v204, v[84:85]
	v_cvt_f32_i32_e32 v86, v86
	v_mul_f32_e32 v84, v197, v85
	v_fmac_f32_e32 v100, v84, v86
	v_mov_b32_e32 v84, 0
	v_dot4c_i32_i8_e32 v84, v202, v0
	v_dot4c_i32_i8_e32 v84, v203, v1
	v_mov_b32_e32 v1, 0
	v_dot4c_i32_i8_e32 v1, v207, v4
	v_dot4c_i32_i8_e32 v84, v205, v2
	;; [unrolled: 1-line block ×6, first 2 shown]
	s_nop 0
	v_mul_lo_u32 v0, v84, v212
	s_nop 0
	v_mad_u64_u32 v[0:1], s[22:23], v1, v213, v[0:1]
	v_cvt_f32_i32_e32 v0, v0
	v_mul_f32_e32 v1, v208, v85
	v_fmac_f32_e32 v99, v1, v0
	v_add_u32_e32 v0, 0x9800, v169
	ds_read2_b32 v[6:7], v0 offset0:40 offset1:72
	ds_read_b128 v[2:5], v168 offset:27392
	ds_read_b128 v[84:87], v168 offset:27408
	v_mov_b32_e32 v1, 0
	v_add_u32_e32 v169, 4, v169
	s_waitcnt lgkmcnt(1)
	v_dot4c_i32_i8_e32 v1, v170, v2
	v_dot4c_i32_i8_e32 v1, v171, v3
	v_dot4c_i32_i8_e32 v1, v172, v4
	v_dot4c_i32_i8_e32 v1, v173, v5
	s_nop 2
	v_mul_lo_u32 v214, v1, v180
	v_mov_b32_e32 v1, 0
	s_waitcnt lgkmcnt(0)
	v_dot4c_i32_i8_e32 v1, v174, v84
	v_dot4c_i32_i8_e32 v1, v176, v85
	v_dot4c_i32_i8_e32 v1, v177, v86
	v_dot4c_i32_i8_e32 v1, v178, v87
	s_nop 2
	v_mad_u64_u32 v[214:215], s[22:23], v1, v182, v[214:215]
	v_cvt_f32_i32_e32 v214, v214
	v_mul_f32_e32 v1, v175, v6
	v_fmac_f32_e32 v98, v1, v214
	v_mov_b32_e32 v1, 0
	v_dot4c_i32_i8_e32 v1, v179, v2
	v_dot4c_i32_i8_e32 v1, v181, v3
	v_dot4c_i32_i8_e32 v1, v183, v4
	v_dot4c_i32_i8_e32 v1, v184, v5
	s_nop 2
	v_mul_lo_u32 v214, v1, v190
	v_mov_b32_e32 v1, 0
	v_dot4c_i32_i8_e32 v1, v185, v84
	v_dot4c_i32_i8_e32 v1, v187, v85
	v_dot4c_i32_i8_e32 v1, v188, v86
	v_dot4c_i32_i8_e32 v1, v189, v87
	s_nop 2
	v_mad_u64_u32 v[214:215], s[22:23], v1, v193, v[214:215]
	v_cvt_f32_i32_e32 v214, v214
	v_mul_f32_e32 v1, v186, v6
	v_fmac_f32_e32 v83, v1, v214
	v_mov_b32_e32 v1, 0
	v_dot4c_i32_i8_e32 v1, v191, v2
	v_dot4c_i32_i8_e32 v1, v192, v3
	v_dot4c_i32_i8_e32 v1, v194, v4
	v_dot4c_i32_i8_e32 v1, v195, v5
	s_nop 2
	v_mul_lo_u32 v214, v1, v201
	v_mov_b32_e32 v1, 0
	;; [unrolled: 17-line block ×3, first 2 shown]
	v_dot4c_i32_i8_e32 v1, v207, v84
	v_dot4c_i32_i8_e32 v1, v209, v85
	v_dot4c_i32_i8_e32 v1, v210, v86
	v_dot4c_i32_i8_e32 v1, v211, v87
	s_nop 2
	v_mad_u64_u32 v[2:3], s[22:23], v1, v213, v[2:3]
	v_cvt_f32_i32_e32 v2, v2
	v_mul_f32_e32 v1, v208, v6
	v_fmac_f32_e32 v63, v1, v2
	ds_read_b128 v[2:5], v168 offset:28416
	ds_read_b128 v[84:87], v168 offset:28432
	v_mov_b32_e32 v1, 0
	s_waitcnt lgkmcnt(1)
	v_dot4c_i32_i8_e32 v1, v170, v2
	v_dot4c_i32_i8_e32 v1, v171, v3
	;; [unrolled: 1-line block ×4, first 2 shown]
	s_nop 2
	v_mul_lo_u32 v6, v1, v180
	v_mov_b32_e32 v1, 0
	s_waitcnt lgkmcnt(0)
	v_dot4c_i32_i8_e32 v1, v174, v84
	v_dot4c_i32_i8_e32 v1, v176, v85
	v_dot4c_i32_i8_e32 v1, v177, v86
	v_dot4c_i32_i8_e32 v1, v178, v87
	s_nop 2
	v_mad_u64_u32 v[214:215], s[22:23], v1, v182, v[6:7]
	v_cvt_f32_i32_e32 v6, v214
	v_mul_f32_e32 v1, v175, v7
	v_fmac_f32_e32 v55, v1, v6
	v_mov_b32_e32 v1, 0
	v_dot4c_i32_i8_e32 v1, v179, v2
	v_dot4c_i32_i8_e32 v1, v181, v3
	v_dot4c_i32_i8_e32 v1, v183, v4
	v_dot4c_i32_i8_e32 v1, v184, v5
	s_nop 2
	v_mul_lo_u32 v6, v1, v190
	v_mov_b32_e32 v1, 0
	v_dot4c_i32_i8_e32 v1, v185, v84
	v_dot4c_i32_i8_e32 v1, v187, v85
	v_dot4c_i32_i8_e32 v1, v188, v86
	v_dot4c_i32_i8_e32 v1, v189, v87
	s_nop 2
	v_mad_u64_u32 v[214:215], s[22:23], v1, v193, v[6:7]
	v_cvt_f32_i32_e32 v6, v214
	v_mul_f32_e32 v1, v186, v7
	v_fmac_f32_e32 v53, v1, v6
	v_mov_b32_e32 v1, 0
	v_dot4c_i32_i8_e32 v1, v191, v2
	v_dot4c_i32_i8_e32 v1, v192, v3
	v_dot4c_i32_i8_e32 v1, v194, v4
	v_dot4c_i32_i8_e32 v1, v195, v5
	s_nop 2
	v_mul_lo_u32 v6, v1, v201
	v_mov_b32_e32 v1, 0
	;; [unrolled: 17-line block ×3, first 2 shown]
	v_dot4c_i32_i8_e32 v1, v207, v84
	v_dot4c_i32_i8_e32 v1, v209, v85
	;; [unrolled: 1-line block ×4, first 2 shown]
	s_nop 2
	v_mad_u64_u32 v[2:3], s[22:23], v1, v213, v[2:3]
	v_cvt_f32_i32_e32 v2, v2
	v_mul_f32_e32 v1, v208, v7
	v_fmac_f32_e32 v47, v1, v2
	ds_read2_b32 v[6:7], v0 offset0:104 offset1:136
	ds_read_b128 v[2:5], v168 offset:29440
	ds_read_b128 v[84:87], v168 offset:29456
	v_mov_b32_e32 v1, 0
	s_waitcnt lgkmcnt(1)
	v_dot4c_i32_i8_e32 v1, v170, v2
	v_dot4c_i32_i8_e32 v1, v171, v3
	v_dot4c_i32_i8_e32 v1, v172, v4
	v_dot4c_i32_i8_e32 v1, v173, v5
	s_nop 2
	v_mul_lo_u32 v214, v1, v180
	v_mov_b32_e32 v1, 0
	s_waitcnt lgkmcnt(0)
	v_dot4c_i32_i8_e32 v1, v174, v84
	v_dot4c_i32_i8_e32 v1, v176, v85
	v_dot4c_i32_i8_e32 v1, v177, v86
	v_dot4c_i32_i8_e32 v1, v178, v87
	s_nop 2
	v_mad_u64_u32 v[214:215], s[22:23], v1, v182, v[214:215]
	v_cvt_f32_i32_e32 v214, v214
	v_mul_f32_e32 v1, v175, v6
	v_fmac_f32_e32 v45, v1, v214
	v_mov_b32_e32 v1, 0
	v_dot4c_i32_i8_e32 v1, v179, v2
	v_dot4c_i32_i8_e32 v1, v181, v3
	v_dot4c_i32_i8_e32 v1, v183, v4
	v_dot4c_i32_i8_e32 v1, v184, v5
	s_nop 2
	v_mul_lo_u32 v214, v1, v190
	v_mov_b32_e32 v1, 0
	v_dot4c_i32_i8_e32 v1, v185, v84
	v_dot4c_i32_i8_e32 v1, v187, v85
	v_dot4c_i32_i8_e32 v1, v188, v86
	v_dot4c_i32_i8_e32 v1, v189, v87
	s_nop 2
	v_mad_u64_u32 v[214:215], s[22:23], v1, v193, v[214:215]
	v_cvt_f32_i32_e32 v214, v214
	v_mul_f32_e32 v1, v186, v6
	v_fmac_f32_e32 v43, v1, v214
	v_mov_b32_e32 v1, 0
	v_dot4c_i32_i8_e32 v1, v191, v2
	v_dot4c_i32_i8_e32 v1, v192, v3
	v_dot4c_i32_i8_e32 v1, v194, v4
	v_dot4c_i32_i8_e32 v1, v195, v5
	s_nop 2
	v_mul_lo_u32 v214, v1, v201
	v_mov_b32_e32 v1, 0
	;; [unrolled: 17-line block ×3, first 2 shown]
	v_dot4c_i32_i8_e32 v1, v207, v84
	v_dot4c_i32_i8_e32 v1, v209, v85
	;; [unrolled: 1-line block ×4, first 2 shown]
	s_nop 2
	v_mad_u64_u32 v[2:3], s[22:23], v1, v213, v[2:3]
	v_cvt_f32_i32_e32 v2, v2
	v_mul_f32_e32 v1, v208, v6
	v_fmac_f32_e32 v37, v1, v2
	ds_read_b128 v[2:5], v168 offset:30464
	ds_read_b128 v[84:87], v168 offset:30480
	v_mov_b32_e32 v1, 0
	s_waitcnt lgkmcnt(1)
	v_dot4c_i32_i8_e32 v1, v170, v2
	v_dot4c_i32_i8_e32 v1, v171, v3
	v_dot4c_i32_i8_e32 v1, v172, v4
	v_dot4c_i32_i8_e32 v1, v173, v5
	s_nop 2
	v_mul_lo_u32 v6, v1, v180
	v_mov_b32_e32 v1, 0
	s_waitcnt lgkmcnt(0)
	v_dot4c_i32_i8_e32 v1, v174, v84
	v_dot4c_i32_i8_e32 v1, v176, v85
	v_dot4c_i32_i8_e32 v1, v177, v86
	v_dot4c_i32_i8_e32 v1, v178, v87
	s_nop 2
	v_mad_u64_u32 v[214:215], s[22:23], v1, v182, v[6:7]
	v_cvt_f32_i32_e32 v6, v214
	v_mul_f32_e32 v1, v175, v7
	v_fmac_f32_e32 v33, v1, v6
	v_mov_b32_e32 v1, 0
	v_dot4c_i32_i8_e32 v1, v179, v2
	v_dot4c_i32_i8_e32 v1, v181, v3
	v_dot4c_i32_i8_e32 v1, v183, v4
	v_dot4c_i32_i8_e32 v1, v184, v5
	s_nop 2
	v_mul_lo_u32 v6, v1, v190
	v_mov_b32_e32 v1, 0
	v_dot4c_i32_i8_e32 v1, v185, v84
	v_dot4c_i32_i8_e32 v1, v187, v85
	v_dot4c_i32_i8_e32 v1, v188, v86
	v_dot4c_i32_i8_e32 v1, v189, v87
	s_nop 2
	v_mad_u64_u32 v[214:215], s[22:23], v1, v193, v[6:7]
	v_cvt_f32_i32_e32 v6, v214
	v_mul_f32_e32 v1, v186, v7
	v_fmac_f32_e32 v31, v1, v6
	v_mov_b32_e32 v1, 0
	v_dot4c_i32_i8_e32 v1, v191, v2
	v_dot4c_i32_i8_e32 v1, v192, v3
	v_dot4c_i32_i8_e32 v1, v194, v4
	v_dot4c_i32_i8_e32 v1, v195, v5
	s_nop 2
	v_mul_lo_u32 v6, v1, v201
	v_mov_b32_e32 v1, 0
	;; [unrolled: 17-line block ×3, first 2 shown]
	v_dot4c_i32_i8_e32 v1, v207, v84
	v_dot4c_i32_i8_e32 v1, v209, v85
	;; [unrolled: 1-line block ×4, first 2 shown]
	v_mov_b32_e32 v86, 0
	v_mov_b32_e32 v87, 0
	s_nop 0
	v_mad_u64_u32 v[2:3], s[22:23], v1, v213, v[2:3]
	v_cvt_f32_i32_e32 v2, v2
	v_mul_f32_e32 v1, v208, v7
	v_fmac_f32_e32 v27, v1, v2
	ds_read2_b32 v[84:85], v0 offset0:168 offset1:200
	ds_read_b128 v[4:7], v168 offset:31488
	ds_read_b128 v[0:3], v168 offset:31504
	s_waitcnt lgkmcnt(1)
	v_dot4c_i32_i8_e32 v86, v170, v4
	v_dot4c_i32_i8_e32 v86, v171, v5
	s_waitcnt lgkmcnt(0)
	v_dot4c_i32_i8_e32 v87, v174, v0
	v_dot4c_i32_i8_e32 v86, v172, v6
	v_dot4c_i32_i8_e32 v87, v176, v1
	v_dot4c_i32_i8_e32 v86, v173, v7
	v_dot4c_i32_i8_e32 v87, v177, v2
	v_dot4c_i32_i8_e32 v87, v178, v3
	s_nop 0
	v_mul_lo_u32 v86, v86, v180
	s_nop 0
	v_mad_u64_u32 v[86:87], s[22:23], v87, v182, v[86:87]
	v_cvt_f32_i32_e32 v86, v86
	v_mul_f32_e32 v87, v175, v84
	v_fmac_f32_e32 v25, v87, v86
	v_mov_b32_e32 v86, 0
	v_dot4c_i32_i8_e32 v86, v179, v4
	v_mov_b32_e32 v87, 0
	v_dot4c_i32_i8_e32 v86, v181, v5
	v_dot4c_i32_i8_e32 v87, v185, v0
	;; [unrolled: 1-line block ×7, first 2 shown]
	s_nop 0
	v_mul_lo_u32 v86, v86, v190
	s_nop 0
	v_mad_u64_u32 v[86:87], s[22:23], v87, v193, v[86:87]
	v_cvt_f32_i32_e32 v86, v86
	v_mul_f32_e32 v87, v186, v84
	v_fmac_f32_e32 v23, v87, v86
	v_mov_b32_e32 v86, 0
	v_dot4c_i32_i8_e32 v86, v191, v4
	v_mov_b32_e32 v87, 0
	v_dot4c_i32_i8_e32 v86, v192, v5
	v_dot4c_i32_i8_e32 v87, v196, v0
	;; [unrolled: 1-line block ×7, first 2 shown]
	s_nop 0
	v_mul_lo_u32 v86, v86, v201
	s_nop 0
	v_mad_u64_u32 v[86:87], s[22:23], v87, v204, v[86:87]
	v_cvt_f32_i32_e32 v86, v86
	v_mul_f32_e32 v87, v197, v84
	v_fmac_f32_e32 v21, v87, v86
	v_mov_b32_e32 v86, 0
	v_dot4c_i32_i8_e32 v86, v202, v4
	v_dot4c_i32_i8_e32 v86, v203, v5
	v_mov_b32_e32 v5, 0
	v_dot4c_i32_i8_e32 v5, v207, v0
	v_dot4c_i32_i8_e32 v86, v205, v6
	;; [unrolled: 1-line block ×6, first 2 shown]
	s_nop 0
	v_mul_lo_u32 v4, v86, v212
	v_mov_b32_e32 v86, 0
	v_mad_u64_u32 v[0:1], s[22:23], v5, v213, v[4:5]
	v_cvt_f32_i32_e32 v0, v0
	v_mul_f32_e32 v1, v208, v84
	v_mov_b32_e32 v84, 0
	v_fmac_f32_e32 v19, v1, v0
	ds_read_b128 v[0:3], v168 offset:32512
	ds_read_b128 v[4:7], v168 offset:32528
	v_add_u32_e32 v168, 32, v168
	s_waitcnt lgkmcnt(1)
	v_dot4c_i32_i8_e32 v84, v170, v0
	v_dot4c_i32_i8_e32 v84, v171, v1
	s_waitcnt lgkmcnt(0)
	v_dot4c_i32_i8_e32 v86, v174, v4
	v_dot4c_i32_i8_e32 v84, v172, v2
	;; [unrolled: 1-line block ×6, first 2 shown]
	s_nop 0
	v_mul_lo_u32 v84, v84, v180
	s_nop 0
	v_mad_u64_u32 v[86:87], s[22:23], v86, v182, v[84:85]
	v_cvt_f32_i32_e32 v86, v86
	v_mul_f32_e32 v84, v175, v85
	v_fmac_f32_e32 v17, v84, v86
	v_mov_b32_e32 v84, 0
	v_dot4c_i32_i8_e32 v84, v179, v0
	v_mov_b32_e32 v86, 0
	v_dot4c_i32_i8_e32 v84, v181, v1
	v_dot4c_i32_i8_e32 v86, v185, v4
	;; [unrolled: 1-line block ×7, first 2 shown]
	s_nop 0
	v_mul_lo_u32 v84, v84, v190
	s_nop 0
	v_mad_u64_u32 v[86:87], s[22:23], v86, v193, v[84:85]
	v_cvt_f32_i32_e32 v86, v86
	v_mul_f32_e32 v84, v186, v85
	v_fmac_f32_e32 v15, v84, v86
	v_mov_b32_e32 v84, 0
	v_dot4c_i32_i8_e32 v84, v191, v0
	v_mov_b32_e32 v86, 0
	v_dot4c_i32_i8_e32 v84, v192, v1
	v_dot4c_i32_i8_e32 v86, v196, v4
	v_dot4c_i32_i8_e32 v84, v194, v2
	v_dot4c_i32_i8_e32 v86, v198, v5
	v_dot4c_i32_i8_e32 v84, v195, v3
	v_dot4c_i32_i8_e32 v86, v199, v6
	v_dot4c_i32_i8_e32 v86, v200, v7
	s_nop 0
	v_mul_lo_u32 v84, v84, v201
	s_nop 0
	v_mad_u64_u32 v[86:87], s[22:23], v86, v204, v[84:85]
	v_cvt_f32_i32_e32 v86, v86
	v_mul_f32_e32 v84, v197, v85
	v_fmac_f32_e32 v13, v84, v86
	v_mov_b32_e32 v84, 0
	v_dot4c_i32_i8_e32 v84, v202, v0
	v_dot4c_i32_i8_e32 v84, v203, v1
	v_mov_b32_e32 v1, 0
	v_dot4c_i32_i8_e32 v1, v207, v4
	v_dot4c_i32_i8_e32 v84, v205, v2
	;; [unrolled: 1-line block ×6, first 2 shown]
	s_nop 0
	v_mul_lo_u32 v0, v84, v212
	s_nop 0
	v_mad_u64_u32 v[0:1], s[22:23], v1, v213, v[0:1]
	v_cvt_f32_i32_e32 v0, v0
	v_mul_f32_e32 v1, v208, v85
	s_mov_b32 s22, s21
	v_fmac_f32_e32 v9, v1, v0
	s_cbranch_scc1 .LBB149_7
; %bb.8:                                ;   in Loop: Header=BB149_6 Depth=1
	v_add_u32_e32 v170, s18, v141
	v_add_u32_e32 v0, v170, v109
	;; [unrolled: 1-line block ×6, first 2 shown]
	v_mad_i64_i32 v[0:1], s[20:21], v0, 36, v[80:81]
	v_mad_i64_i32 v[2:3], s[20:21], v2, 36, v[80:81]
	;; [unrolled: 1-line block ×4, first 2 shown]
	v_add_u32_e32 v84, v170, v119
	v_add_u32_e32 v86, v170, v121
	;; [unrolled: 1-line block ×4, first 2 shown]
	v_mad_u64_u32 v[172:173], s[20:21], v172, 36, s[2:3]
	s_barrier
	v_mad_i64_i32 v[84:85], s[20:21], v84, 36, v[80:81]
	v_mad_i64_i32 v[86:87], s[20:21], v86, 36, v[80:81]
	;; [unrolled: 1-line block ×4, first 2 shown]
	global_load_dword v172, v[172:173], off
	s_nop 0
	global_load_dword v0, v[0:1], off offset:4
	s_nop 0
	global_load_dword v1, v[2:3], off offset:4
	;; [unrolled: 2-line block ×3, first 2 shown]
	global_load_dword v3, v[6:7], off offset:4
	s_nop 0
	global_load_dword v4, v[84:85], off offset:4
	global_load_dword v5, v[86:87], off offset:4
	;; [unrolled: 1-line block ×4, first 2 shown]
	s_mov_b32 s19, 4
	s_mov_b32 s20, 8
	;; [unrolled: 1-line block ×3, first 2 shown]
	v_mov_b32_e32 v168, v110
	v_mov_b32_e32 v169, v96
	s_waitcnt vmcnt(8)
	v_cvt_f32_f16_e32 v84, v172
	s_waitcnt vmcnt(7)
	ds_write_b32 v111, v0
	s_waitcnt vmcnt(6)
	ds_write_b32 v113, v1
	;; [unrolled: 2-line block ×8, first 2 shown]
	ds_write_b32 v107, v84
	s_waitcnt lgkmcnt(0)
	s_barrier
.LBB149_9:                              ;   Parent Loop BB149_6 Depth=1
                                        ; =>  This Inner Loop Header: Depth=2
	s_and_b32 s21, s20, -16
	v_add_u32_e32 v86, s21, v128
	s_add_i32 s21, s22, 2
	s_lshr_b32 s26, s21, 4
	s_and_b32 s25, s21, 0x3ffffff8
	s_lshl_b32 s24, s26, 3
	s_lshl_b32 s25, s25, 2
	v_add_lshl_u32 v180, v129, s24, 2
	v_add_u32_e32 v0, 0x9600, v169
	v_add_u32_e32 v87, s25, v130
	;; [unrolled: 1-line block ×3, first 2 shown]
	ds_read2_b32 v[84:85], v0 offset0:104 offset1:136
	ds_read_b128 v[4:7], v168 offset:25344
	ds_read_b128 v[0:3], v168 offset:25360
	ds_read2_b32 v[170:171], v87 offset1:1
	ds_read2_b32 v[172:173], v172 offset1:1
	s_add_i32 s23, s22, -6
	s_lshl_b32 s26, s26, 2
	v_add_lshl_u32 v190, v132, s24, 2
	s_waitcnt lgkmcnt(1)
	v_ashrrev_i32_e32 v170, s23, v170
	s_waitcnt lgkmcnt(0)
	v_ashrrev_i32_e32 v172, s19, v172
	v_lshlrev_b32_e32 v172, 2, v172
	v_and_b32_e32 v174, 0x3030303, v170
	v_bfe_u32 v170, v170, 24, 2
	v_and_b32_e32 v172, 0x4040404, v172
	v_ashrrev_i32_e32 v173, s19, v173
	v_sub_u16_e32 v175, v174, v172
	v_sub_u16_sdwa v176, v174, v172 dst_sel:BYTE_1 dst_unused:UNUSED_PAD src0_sel:BYTE_1 src1_sel:BYTE_1
	v_sub_u16_sdwa v170, v170, v172 dst_sel:BYTE_1 dst_unused:UNUSED_PAD src0_sel:DWORD src1_sel:BYTE_3
	v_sub_u16_sdwa v172, v174, v172 dst_sel:DWORD dst_unused:UNUSED_PAD src0_sel:WORD_1 src1_sel:WORD_1
	v_ashrrev_i32_e32 v171, s23, v171
	v_lshlrev_b32_e32 v173, 2, v173
	v_or_b32_sdwa v175, v175, v176 dst_sel:DWORD dst_unused:UNUSED_PAD src0_sel:BYTE_0 src1_sel:DWORD
	v_or_b32_sdwa v170, v172, v170 dst_sel:WORD_1 dst_unused:UNUSED_PAD src0_sel:BYTE_0 src1_sel:DWORD
	v_and_b32_e32 v172, 0x3030303, v171
	v_bfe_u32 v171, v171, 24, 2
	v_and_b32_e32 v173, 0x4040404, v173
	v_or_b32_sdwa v170, v175, v170 dst_sel:DWORD dst_unused:UNUSED_PAD src0_sel:WORD_0 src1_sel:DWORD
	v_sub_u16_e32 v174, v172, v173
	v_sub_u16_sdwa v175, v172, v173 dst_sel:BYTE_1 dst_unused:UNUSED_PAD src0_sel:BYTE_1 src1_sel:BYTE_1
	v_sub_u16_sdwa v171, v171, v173 dst_sel:BYTE_1 dst_unused:UNUSED_PAD src0_sel:DWORD src1_sel:BYTE_3
	v_sub_u16_sdwa v172, v172, v173 dst_sel:DWORD dst_unused:UNUSED_PAD src0_sel:WORD_1 src1_sel:WORD_1
	v_or_b32_sdwa v174, v174, v175 dst_sel:DWORD dst_unused:UNUSED_PAD src0_sel:BYTE_0 src1_sel:DWORD
	v_or_b32_sdwa v171, v172, v171 dst_sel:WORD_1 dst_unused:UNUSED_PAD src0_sel:BYTE_0 src1_sel:DWORD
	ds_read2_b32 v[172:173], v87 offset0:2 offset1:3
	v_or_b32_sdwa v171, v174, v171 dst_sel:DWORD dst_unused:UNUSED_PAD src0_sel:WORD_0 src1_sel:DWORD
	v_add_u32_e32 v174, 0x4208, v180
	ds_read2_b32 v[174:175], v174 offset1:1
	v_add_u32_e32 v184, 0x4200, v190
	s_waitcnt lgkmcnt(1)
	v_ashrrev_i32_e32 v172, s23, v172
	v_and_b32_e32 v176, 0x3030303, v172
	v_bfe_u32 v172, v172, 24, 2
	s_waitcnt lgkmcnt(0)
	v_ashrrev_i32_e32 v174, s19, v174
	v_lshlrev_b32_e32 v174, 2, v174
	v_and_b32_e32 v174, 0x4040404, v174
	v_ashrrev_i32_e32 v175, s19, v175
	v_sub_u16_e32 v177, v176, v174
	v_sub_u16_sdwa v178, v176, v174 dst_sel:BYTE_1 dst_unused:UNUSED_PAD src0_sel:BYTE_1 src1_sel:BYTE_1
	v_sub_u16_sdwa v172, v172, v174 dst_sel:BYTE_1 dst_unused:UNUSED_PAD src0_sel:DWORD src1_sel:BYTE_3
	v_sub_u16_sdwa v174, v176, v174 dst_sel:DWORD dst_unused:UNUSED_PAD src0_sel:WORD_1 src1_sel:WORD_1
	v_ashrrev_i32_e32 v173, s23, v173
	v_lshlrev_b32_e32 v175, 2, v175
	v_or_b32_sdwa v177, v177, v178 dst_sel:DWORD dst_unused:UNUSED_PAD src0_sel:BYTE_0 src1_sel:DWORD
	v_or_b32_sdwa v172, v174, v172 dst_sel:WORD_1 dst_unused:UNUSED_PAD src0_sel:BYTE_0 src1_sel:DWORD
	v_and_b32_e32 v174, 0x3030303, v173
	v_bfe_u32 v173, v173, 24, 2
	v_and_b32_e32 v175, 0x4040404, v175
	v_or_b32_sdwa v172, v177, v172 dst_sel:DWORD dst_unused:UNUSED_PAD src0_sel:WORD_0 src1_sel:DWORD
	v_sub_u16_e32 v176, v174, v175
	v_sub_u16_sdwa v177, v174, v175 dst_sel:BYTE_1 dst_unused:UNUSED_PAD src0_sel:BYTE_1 src1_sel:BYTE_1
	v_sub_u16_sdwa v173, v173, v175 dst_sel:BYTE_1 dst_unused:UNUSED_PAD src0_sel:DWORD src1_sel:BYTE_3
	v_sub_u16_sdwa v174, v174, v175 dst_sel:DWORD dst_unused:UNUSED_PAD src0_sel:WORD_1 src1_sel:WORD_1
	v_or_b32_sdwa v176, v176, v177 dst_sel:DWORD dst_unused:UNUSED_PAD src0_sel:BYTE_0 src1_sel:DWORD
	v_or_b32_sdwa v173, v174, v173 dst_sel:WORD_1 dst_unused:UNUSED_PAD src0_sel:BYTE_0 src1_sel:DWORD
	v_add_lshl_u32 v212, v138, s24, 2
	v_or_b32_sdwa v173, v176, v173 dst_sel:DWORD dst_unused:UNUSED_PAD src0_sel:WORD_0 src1_sel:DWORD
	ds_read2_b32 v[176:177], v87 offset0:4 offset1:5
	v_add_lshl_u32 v202, v135, s24, 2
	v_add_u32_e32 v206, 0x4200, v212
                                        ; kill: def $vgpr215 killed $sgpr0 killed $exec
	s_add_i32 s20, s20, 2
	ds_read2_b32 v[184:185], v184 offset1:1
	s_waitcnt lgkmcnt(1)
	v_ashrrev_i32_e32 v174, s23, v176
	v_add_u32_e32 v176, 0x4210, v180
	ds_read2_b32 v[178:179], v176 offset1:1
	v_and_b32_e32 v175, 0x3030303, v174
	v_bfe_u32 v174, v174, 24, 2
	s_waitcnt lgkmcnt(1)
	v_ashrrev_i32_e32 v184, s19, v184
	v_lshlrev_b32_e32 v184, 2, v184
	s_waitcnt lgkmcnt(0)
	v_ashrrev_i32_e32 v176, s19, v178
	v_lshlrev_b32_e32 v176, 2, v176
	v_and_b32_e32 v176, 0x4040404, v176
	v_sub_u16_e32 v178, v175, v176
	v_sub_u16_sdwa v181, v175, v176 dst_sel:BYTE_1 dst_unused:UNUSED_PAD src0_sel:BYTE_1 src1_sel:BYTE_1
	v_sub_u16_sdwa v174, v174, v176 dst_sel:BYTE_1 dst_unused:UNUSED_PAD src0_sel:DWORD src1_sel:BYTE_3
	v_sub_u16_sdwa v175, v175, v176 dst_sel:DWORD dst_unused:UNUSED_PAD src0_sel:WORD_1 src1_sel:WORD_1
	v_or_b32_sdwa v178, v178, v181 dst_sel:DWORD dst_unused:UNUSED_PAD src0_sel:BYTE_0 src1_sel:DWORD
	v_or_b32_sdwa v174, v175, v174 dst_sel:WORD_1 dst_unused:UNUSED_PAD src0_sel:BYTE_0 src1_sel:DWORD
	v_and_b32_e32 v184, 0x4040404, v184
	v_or_b32_sdwa v175, v178, v174 dst_sel:DWORD dst_unused:UNUSED_PAD src0_sel:WORD_0 src1_sel:DWORD
	v_ashrrev_i32_e32 v174, s23, v177
	v_ashrrev_i32_e32 v177, s19, v179
	v_lshlrev_b32_e32 v177, 2, v177
	v_and_b32_e32 v176, 0x3030303, v174
	v_bfe_u32 v174, v174, 24, 2
	v_and_b32_e32 v177, 0x4040404, v177
	v_sub_u16_e32 v178, v176, v177
	v_sub_u16_sdwa v179, v176, v177 dst_sel:BYTE_1 dst_unused:UNUSED_PAD src0_sel:BYTE_1 src1_sel:BYTE_1
	v_sub_u16_sdwa v174, v174, v177 dst_sel:BYTE_1 dst_unused:UNUSED_PAD src0_sel:DWORD src1_sel:BYTE_3
	v_sub_u16_sdwa v176, v176, v177 dst_sel:DWORD dst_unused:UNUSED_PAD src0_sel:WORD_1 src1_sel:WORD_1
	v_or_b32_sdwa v178, v178, v179 dst_sel:DWORD dst_unused:UNUSED_PAD src0_sel:BYTE_0 src1_sel:DWORD
	v_or_b32_sdwa v174, v176, v174 dst_sel:WORD_1 dst_unused:UNUSED_PAD src0_sel:BYTE_0 src1_sel:DWORD
	v_add_u32_e32 v177, 0x4218, v180
	v_or_b32_sdwa v176, v178, v174 dst_sel:DWORD dst_unused:UNUSED_PAD src0_sel:WORD_0 src1_sel:DWORD
	ds_read2_b32 v[178:179], v87 offset0:6 offset1:7
	ds_read2_b32 v[180:181], v177 offset1:1
	ds_read2_b32 v[206:207], v206 offset1:1
	s_waitcnt lgkmcnt(2)
	v_ashrrev_i32_e32 v87, s23, v178
	s_waitcnt lgkmcnt(1)
	v_ashrrev_i32_e32 v177, s19, v180
	v_lshlrev_b32_e32 v177, 2, v177
	v_and_b32_e32 v174, 0x3030303, v87
	v_bfe_u32 v87, v87, 24, 2
	v_and_b32_e32 v177, 0x4040404, v177
	v_sub_u16_e32 v178, v174, v177
	v_sub_u16_sdwa v180, v174, v177 dst_sel:BYTE_1 dst_unused:UNUSED_PAD src0_sel:BYTE_1 src1_sel:BYTE_1
	v_sub_u16_sdwa v87, v87, v177 dst_sel:BYTE_1 dst_unused:UNUSED_PAD src0_sel:DWORD src1_sel:BYTE_3
	v_sub_u16_sdwa v174, v174, v177 dst_sel:DWORD dst_unused:UNUSED_PAD src0_sel:WORD_1 src1_sel:WORD_1
	v_or_b32_sdwa v178, v178, v180 dst_sel:DWORD dst_unused:UNUSED_PAD src0_sel:BYTE_0 src1_sel:DWORD
	v_or_b32_sdwa v87, v174, v87 dst_sel:WORD_1 dst_unused:UNUSED_PAD src0_sel:BYTE_0 src1_sel:DWORD
	s_waitcnt lgkmcnt(0)
	v_ashrrev_i32_e32 v206, s19, v206
	v_or_b32_sdwa v177, v178, v87 dst_sel:DWORD dst_unused:UNUSED_PAD src0_sel:WORD_0 src1_sel:DWORD
	v_ashrrev_i32_e32 v178, s19, v181
	v_ashrrev_i32_e32 v87, s23, v179
	v_lshlrev_b32_e32 v178, 2, v178
	v_and_b32_e32 v174, 0x3030303, v87
	v_bfe_u32 v87, v87, 24, 2
	v_and_b32_e32 v178, 0x4040404, v178
	v_sub_u16_e32 v179, v174, v178
	v_sub_u16_sdwa v180, v174, v178 dst_sel:BYTE_1 dst_unused:UNUSED_PAD src0_sel:BYTE_1 src1_sel:BYTE_1
	v_sub_u16_sdwa v87, v87, v178 dst_sel:BYTE_1 dst_unused:UNUSED_PAD src0_sel:DWORD src1_sel:BYTE_3
	v_sub_u16_sdwa v174, v174, v178 dst_sel:DWORD dst_unused:UNUSED_PAD src0_sel:WORD_1 src1_sel:WORD_1
	v_or_b32_sdwa v179, v179, v180 dst_sel:DWORD dst_unused:UNUSED_PAD src0_sel:BYTE_0 src1_sel:DWORD
	v_or_b32_sdwa v87, v174, v87 dst_sel:WORD_1 dst_unused:UNUSED_PAD src0_sel:BYTE_0 src1_sel:DWORD
	v_add_u32_e32 v174, s26, v131
	v_or_b32_sdwa v178, v179, v87 dst_sel:DWORD dst_unused:UNUSED_PAD src0_sel:WORD_0 src1_sel:DWORD
	v_add3_u32 v87, v145, s22, v86
	ds_read_b32 v174, v174
	ds_read_u16 v87, v87 offset:8194
	v_mov_b32_e32 v180, 0
	v_dot4c_i32_i8_e32 v180, v170, v4
	v_dot4c_i32_i8_e32 v180, v171, v5
	;; [unrolled: 1-line block ×3, first 2 shown]
	s_waitcnt lgkmcnt(0)
	v_lshrrev_b16_e32 v181, 8, v87
	v_bfe_i32 v179, v87, 0, 8
	v_mov_b32_e32 v87, 0
	v_dot4c_i32_i8_e32 v87, v175, v0
	v_dot4c_i32_i8_e32 v87, v176, v1
	v_dot4c_i32_i8_e32 v180, v173, v7
	v_dot4c_i32_i8_e32 v87, v177, v2
	v_dot4c_i32_i8_e32 v87, v178, v3
	v_bfe_i32 v181, v181, 0, 8
	v_mul_lo_u32 v180, v180, v179
	v_lshlrev_b32_e32 v206, 2, v206
	v_mad_u64_u32 v[182:183], s[28:29], v87, v181, v[180:181]
	v_cvt_f32_i32_e32 v180, v182
	v_mul_f32_e32 v87, v84, v174
	v_and_b32_e32 v206, 0x4040404, v206
	v_fmac_f32_e32 v125, v87, v180
	v_add_u32_e32 v87, s25, v133
	ds_read2_b32 v[182:183], v87 offset1:1
	s_waitcnt lgkmcnt(0)
	v_ashrrev_i32_e32 v180, s23, v182
	v_and_b32_e32 v182, 0x3030303, v180
	v_bfe_u32 v180, v180, 24, 2
	v_sub_u16_e32 v186, v182, v184
	v_sub_u16_sdwa v187, v182, v184 dst_sel:BYTE_1 dst_unused:UNUSED_PAD src0_sel:BYTE_1 src1_sel:BYTE_1
	v_sub_u16_sdwa v180, v180, v184 dst_sel:BYTE_1 dst_unused:UNUSED_PAD src0_sel:DWORD src1_sel:BYTE_3
	v_sub_u16_sdwa v182, v182, v184 dst_sel:DWORD dst_unused:UNUSED_PAD src0_sel:WORD_1 src1_sel:WORD_1
	v_ashrrev_i32_e32 v184, s19, v185
	v_or_b32_sdwa v180, v182, v180 dst_sel:WORD_1 dst_unused:UNUSED_PAD src0_sel:BYTE_0 src1_sel:DWORD
	v_ashrrev_i32_e32 v182, s23, v183
	v_lshlrev_b32_e32 v184, 2, v184
	v_or_b32_sdwa v186, v186, v187 dst_sel:DWORD dst_unused:UNUSED_PAD src0_sel:BYTE_0 src1_sel:DWORD
	v_and_b32_e32 v183, 0x3030303, v182
	v_bfe_u32 v182, v182, 24, 2
	v_and_b32_e32 v184, 0x4040404, v184
	v_or_b32_sdwa v180, v186, v180 dst_sel:DWORD dst_unused:UNUSED_PAD src0_sel:WORD_0 src1_sel:DWORD
	v_sub_u16_e32 v185, v183, v184
	v_sub_u16_sdwa v186, v183, v184 dst_sel:BYTE_1 dst_unused:UNUSED_PAD src0_sel:BYTE_1 src1_sel:BYTE_1
	v_sub_u16_sdwa v182, v182, v184 dst_sel:BYTE_1 dst_unused:UNUSED_PAD src0_sel:DWORD src1_sel:BYTE_3
	v_sub_u16_sdwa v183, v183, v184 dst_sel:DWORD dst_unused:UNUSED_PAD src0_sel:WORD_1 src1_sel:WORD_1
	v_or_b32_sdwa v185, v185, v186 dst_sel:DWORD dst_unused:UNUSED_PAD src0_sel:BYTE_0 src1_sel:DWORD
	v_or_b32_sdwa v182, v183, v182 dst_sel:WORD_1 dst_unused:UNUSED_PAD src0_sel:BYTE_0 src1_sel:DWORD
	v_add_u32_e32 v186, 0x4208, v190
	v_or_b32_sdwa v182, v185, v182 dst_sel:DWORD dst_unused:UNUSED_PAD src0_sel:WORD_0 src1_sel:DWORD
	ds_read2_b32 v[184:185], v87 offset0:2 offset1:3
	ds_read2_b32 v[186:187], v186 offset1:1
	s_waitcnt lgkmcnt(1)
	v_ashrrev_i32_e32 v183, s23, v184
	s_waitcnt lgkmcnt(0)
	v_ashrrev_i32_e32 v186, s19, v186
	v_lshlrev_b32_e32 v186, 2, v186
	v_and_b32_e32 v184, 0x3030303, v183
	v_bfe_u32 v183, v183, 24, 2
	v_and_b32_e32 v186, 0x4040404, v186
	v_sub_u16_e32 v188, v184, v186
	v_sub_u16_sdwa v189, v184, v186 dst_sel:BYTE_1 dst_unused:UNUSED_PAD src0_sel:BYTE_1 src1_sel:BYTE_1
	v_sub_u16_sdwa v183, v183, v186 dst_sel:BYTE_1 dst_unused:UNUSED_PAD src0_sel:DWORD src1_sel:BYTE_3
	v_sub_u16_sdwa v184, v184, v186 dst_sel:DWORD dst_unused:UNUSED_PAD src0_sel:WORD_1 src1_sel:WORD_1
	v_ashrrev_i32_e32 v186, s19, v187
	v_or_b32_sdwa v183, v184, v183 dst_sel:WORD_1 dst_unused:UNUSED_PAD src0_sel:BYTE_0 src1_sel:DWORD
	v_ashrrev_i32_e32 v184, s23, v185
	v_lshlrev_b32_e32 v186, 2, v186
	v_or_b32_sdwa v188, v188, v189 dst_sel:DWORD dst_unused:UNUSED_PAD src0_sel:BYTE_0 src1_sel:DWORD
	v_and_b32_e32 v185, 0x3030303, v184
	v_bfe_u32 v184, v184, 24, 2
	v_and_b32_e32 v186, 0x4040404, v186
	v_or_b32_sdwa v183, v188, v183 dst_sel:DWORD dst_unused:UNUSED_PAD src0_sel:WORD_0 src1_sel:DWORD
	v_sub_u16_e32 v187, v185, v186
	v_sub_u16_sdwa v188, v185, v186 dst_sel:BYTE_1 dst_unused:UNUSED_PAD src0_sel:BYTE_1 src1_sel:BYTE_1
	v_sub_u16_sdwa v184, v184, v186 dst_sel:BYTE_1 dst_unused:UNUSED_PAD src0_sel:DWORD src1_sel:BYTE_3
	v_sub_u16_sdwa v185, v185, v186 dst_sel:DWORD dst_unused:UNUSED_PAD src0_sel:WORD_1 src1_sel:WORD_1
	v_or_b32_sdwa v187, v187, v188 dst_sel:DWORD dst_unused:UNUSED_PAD src0_sel:BYTE_0 src1_sel:DWORD
	v_or_b32_sdwa v184, v185, v184 dst_sel:WORD_1 dst_unused:UNUSED_PAD src0_sel:BYTE_0 src1_sel:DWORD
	v_add_u32_e32 v188, 0x4210, v190
	v_or_b32_sdwa v184, v187, v184 dst_sel:DWORD dst_unused:UNUSED_PAD src0_sel:WORD_0 src1_sel:DWORD
	ds_read2_b32 v[186:187], v87 offset0:4 offset1:5
	ds_read2_b32 v[188:189], v188 offset1:1
	s_waitcnt lgkmcnt(1)
	v_ashrrev_i32_e32 v185, s23, v186
	s_waitcnt lgkmcnt(0)
	v_ashrrev_i32_e32 v188, s19, v188
	v_lshlrev_b32_e32 v188, 2, v188
	v_and_b32_e32 v186, 0x3030303, v185
	v_bfe_u32 v185, v185, 24, 2
	v_and_b32_e32 v188, 0x4040404, v188
	v_sub_u16_e32 v191, v186, v188
	v_sub_u16_sdwa v192, v186, v188 dst_sel:BYTE_1 dst_unused:UNUSED_PAD src0_sel:BYTE_1 src1_sel:BYTE_1
	v_sub_u16_sdwa v185, v185, v188 dst_sel:BYTE_1 dst_unused:UNUSED_PAD src0_sel:DWORD src1_sel:BYTE_3
	v_sub_u16_sdwa v186, v186, v188 dst_sel:DWORD dst_unused:UNUSED_PAD src0_sel:WORD_1 src1_sel:WORD_1
	v_ashrrev_i32_e32 v188, s19, v189
	v_or_b32_sdwa v185, v186, v185 dst_sel:WORD_1 dst_unused:UNUSED_PAD src0_sel:BYTE_0 src1_sel:DWORD
	v_ashrrev_i32_e32 v186, s23, v187
	v_lshlrev_b32_e32 v188, 2, v188
	v_or_b32_sdwa v191, v191, v192 dst_sel:DWORD dst_unused:UNUSED_PAD src0_sel:BYTE_0 src1_sel:DWORD
	v_and_b32_e32 v187, 0x3030303, v186
	v_bfe_u32 v186, v186, 24, 2
	v_and_b32_e32 v188, 0x4040404, v188
	v_or_b32_sdwa v185, v191, v185 dst_sel:DWORD dst_unused:UNUSED_PAD src0_sel:WORD_0 src1_sel:DWORD
	v_sub_u16_e32 v189, v187, v188
	v_sub_u16_sdwa v191, v187, v188 dst_sel:BYTE_1 dst_unused:UNUSED_PAD src0_sel:BYTE_1 src1_sel:BYTE_1
	v_sub_u16_sdwa v186, v186, v188 dst_sel:BYTE_1 dst_unused:UNUSED_PAD src0_sel:DWORD src1_sel:BYTE_3
	v_sub_u16_sdwa v187, v187, v188 dst_sel:DWORD dst_unused:UNUSED_PAD src0_sel:WORD_1 src1_sel:WORD_1
	v_or_b32_sdwa v189, v189, v191 dst_sel:DWORD dst_unused:UNUSED_PAD src0_sel:BYTE_0 src1_sel:DWORD
	v_or_b32_sdwa v186, v187, v186 dst_sel:WORD_1 dst_unused:UNUSED_PAD src0_sel:BYTE_0 src1_sel:DWORD
	s_nop 0
	v_or_b32_sdwa v187, v189, v186 dst_sel:DWORD dst_unused:UNUSED_PAD src0_sel:WORD_0 src1_sel:DWORD
	ds_read2_b32 v[188:189], v87 offset0:6 offset1:7
	s_waitcnt lgkmcnt(0)
	v_ashrrev_i32_e32 v87, s23, v188
	v_add_u32_e32 v188, 0x4218, v190
	ds_read2_b32 v[190:191], v188 offset1:1
	v_and_b32_e32 v186, 0x3030303, v87
	v_bfe_u32 v87, v87, 24, 2
	s_waitcnt lgkmcnt(0)
	v_ashrrev_i32_e32 v188, s19, v190
	v_lshlrev_b32_e32 v188, 2, v188
	v_and_b32_e32 v188, 0x4040404, v188
	v_sub_u16_e32 v190, v186, v188
	v_sub_u16_sdwa v192, v186, v188 dst_sel:BYTE_1 dst_unused:UNUSED_PAD src0_sel:BYTE_1 src1_sel:BYTE_1
	v_sub_u16_sdwa v87, v87, v188 dst_sel:BYTE_1 dst_unused:UNUSED_PAD src0_sel:DWORD src1_sel:BYTE_3
	v_sub_u16_sdwa v186, v186, v188 dst_sel:DWORD dst_unused:UNUSED_PAD src0_sel:WORD_1 src1_sel:WORD_1
	v_or_b32_sdwa v190, v190, v192 dst_sel:DWORD dst_unused:UNUSED_PAD src0_sel:BYTE_0 src1_sel:DWORD
	v_or_b32_sdwa v87, v186, v87 dst_sel:WORD_1 dst_unused:UNUSED_PAD src0_sel:BYTE_0 src1_sel:DWORD
	s_nop 0
	v_or_b32_sdwa v188, v190, v87 dst_sel:DWORD dst_unused:UNUSED_PAD src0_sel:WORD_0 src1_sel:DWORD
	v_ashrrev_i32_e32 v87, s23, v189
	v_ashrrev_i32_e32 v189, s19, v191
	v_lshlrev_b32_e32 v189, 2, v189
	v_and_b32_e32 v186, 0x3030303, v87
	v_bfe_u32 v87, v87, 24, 2
	v_and_b32_e32 v189, 0x4040404, v189
	v_sub_u16_e32 v190, v186, v189
	v_sub_u16_sdwa v191, v186, v189 dst_sel:BYTE_1 dst_unused:UNUSED_PAD src0_sel:BYTE_1 src1_sel:BYTE_1
	v_sub_u16_sdwa v87, v87, v189 dst_sel:BYTE_1 dst_unused:UNUSED_PAD src0_sel:DWORD src1_sel:BYTE_3
	v_sub_u16_sdwa v186, v186, v189 dst_sel:DWORD dst_unused:UNUSED_PAD src0_sel:WORD_1 src1_sel:WORD_1
	v_or_b32_sdwa v190, v190, v191 dst_sel:DWORD dst_unused:UNUSED_PAD src0_sel:BYTE_0 src1_sel:DWORD
	v_or_b32_sdwa v87, v186, v87 dst_sel:WORD_1 dst_unused:UNUSED_PAD src0_sel:BYTE_0 src1_sel:DWORD
	v_add_u32_e32 v186, s26, v134
	v_or_b32_sdwa v189, v190, v87 dst_sel:DWORD dst_unused:UNUSED_PAD src0_sel:WORD_0 src1_sel:DWORD
	v_add3_u32 v87, v147, s22, v86
	ds_read_b32 v186, v186
	ds_read_u16 v87, v87 offset:9218
	v_mov_b32_e32 v191, 0
	v_dot4c_i32_i8_e32 v191, v180, v4
	v_dot4c_i32_i8_e32 v191, v182, v5
	v_dot4c_i32_i8_e32 v191, v183, v6
	s_waitcnt lgkmcnt(0)
	v_lshrrev_b16_e32 v192, 8, v87
	v_bfe_i32 v190, v87, 0, 8
	v_mov_b32_e32 v87, 0
	v_dot4c_i32_i8_e32 v87, v185, v0
	v_dot4c_i32_i8_e32 v87, v187, v1
	;; [unrolled: 1-line block ×5, first 2 shown]
	v_bfe_i32 v192, v192, 0, 8
	v_mul_lo_u32 v194, v191, v190
	s_nop 0
	v_mad_u64_u32 v[194:195], s[28:29], v87, v192, v[194:195]
	v_cvt_f32_i32_e32 v191, v194
	v_mul_f32_e32 v87, v84, v186
	v_fmac_f32_e32 v116, v87, v191
	v_add_u32_e32 v87, s25, v136
	ds_read2_b32 v[194:195], v87 offset1:1
	s_waitcnt lgkmcnt(0)
	v_ashrrev_i32_e32 v191, s23, v194
	v_add_u32_e32 v194, 0x4200, v202
	ds_read2_b32 v[196:197], v194 offset1:1
	v_and_b32_e32 v193, 0x3030303, v191
	v_bfe_u32 v191, v191, 24, 2
	s_waitcnt lgkmcnt(0)
	v_ashrrev_i32_e32 v194, s19, v196
	v_lshlrev_b32_e32 v194, 2, v194
	v_and_b32_e32 v194, 0x4040404, v194
	v_sub_u16_e32 v196, v193, v194
	v_sub_u16_sdwa v198, v193, v194 dst_sel:BYTE_1 dst_unused:UNUSED_PAD src0_sel:BYTE_1 src1_sel:BYTE_1
	v_sub_u16_sdwa v191, v191, v194 dst_sel:BYTE_1 dst_unused:UNUSED_PAD src0_sel:DWORD src1_sel:BYTE_3
	v_sub_u16_sdwa v193, v193, v194 dst_sel:DWORD dst_unused:UNUSED_PAD src0_sel:WORD_1 src1_sel:WORD_1
	v_or_b32_sdwa v191, v193, v191 dst_sel:WORD_1 dst_unused:UNUSED_PAD src0_sel:BYTE_0 src1_sel:DWORD
	v_ashrrev_i32_e32 v193, s23, v195
	v_ashrrev_i32_e32 v195, s19, v197
	v_lshlrev_b32_e32 v195, 2, v195
	v_or_b32_sdwa v196, v196, v198 dst_sel:DWORD dst_unused:UNUSED_PAD src0_sel:BYTE_0 src1_sel:DWORD
	v_and_b32_e32 v194, 0x3030303, v193
	v_bfe_u32 v193, v193, 24, 2
	v_and_b32_e32 v195, 0x4040404, v195
	v_or_b32_sdwa v191, v196, v191 dst_sel:DWORD dst_unused:UNUSED_PAD src0_sel:WORD_0 src1_sel:DWORD
	v_sub_u16_e32 v196, v194, v195
	v_sub_u16_sdwa v197, v194, v195 dst_sel:BYTE_1 dst_unused:UNUSED_PAD src0_sel:BYTE_1 src1_sel:BYTE_1
	v_sub_u16_sdwa v193, v193, v195 dst_sel:BYTE_1 dst_unused:UNUSED_PAD src0_sel:DWORD src1_sel:BYTE_3
	v_sub_u16_sdwa v194, v194, v195 dst_sel:DWORD dst_unused:UNUSED_PAD src0_sel:WORD_1 src1_sel:WORD_1
	v_or_b32_sdwa v196, v196, v197 dst_sel:DWORD dst_unused:UNUSED_PAD src0_sel:BYTE_0 src1_sel:DWORD
	v_or_b32_sdwa v193, v194, v193 dst_sel:WORD_1 dst_unused:UNUSED_PAD src0_sel:BYTE_0 src1_sel:DWORD
	ds_read2_b32 v[194:195], v87 offset0:2 offset1:3
	v_or_b32_sdwa v193, v196, v193 dst_sel:DWORD dst_unused:UNUSED_PAD src0_sel:WORD_0 src1_sel:DWORD
	v_add_u32_e32 v196, 0x4208, v202
	ds_read2_b32 v[196:197], v196 offset1:1
	s_waitcnt lgkmcnt(1)
	v_ashrrev_i32_e32 v194, s23, v194
	v_and_b32_e32 v198, 0x3030303, v194
	v_bfe_u32 v194, v194, 24, 2
	s_waitcnt lgkmcnt(0)
	v_ashrrev_i32_e32 v196, s19, v196
	v_lshlrev_b32_e32 v196, 2, v196
	v_and_b32_e32 v196, 0x4040404, v196
	v_ashrrev_i32_e32 v197, s19, v197
	v_sub_u16_e32 v199, v198, v196
	v_sub_u16_sdwa v200, v198, v196 dst_sel:BYTE_1 dst_unused:UNUSED_PAD src0_sel:BYTE_1 src1_sel:BYTE_1
	v_sub_u16_sdwa v194, v194, v196 dst_sel:BYTE_1 dst_unused:UNUSED_PAD src0_sel:DWORD src1_sel:BYTE_3
	v_sub_u16_sdwa v196, v198, v196 dst_sel:DWORD dst_unused:UNUSED_PAD src0_sel:WORD_1 src1_sel:WORD_1
	v_ashrrev_i32_e32 v195, s23, v195
	v_lshlrev_b32_e32 v197, 2, v197
	v_or_b32_sdwa v199, v199, v200 dst_sel:DWORD dst_unused:UNUSED_PAD src0_sel:BYTE_0 src1_sel:DWORD
	v_or_b32_sdwa v194, v196, v194 dst_sel:WORD_1 dst_unused:UNUSED_PAD src0_sel:BYTE_0 src1_sel:DWORD
	v_and_b32_e32 v196, 0x3030303, v195
	v_bfe_u32 v195, v195, 24, 2
	v_and_b32_e32 v197, 0x4040404, v197
	v_or_b32_sdwa v194, v199, v194 dst_sel:DWORD dst_unused:UNUSED_PAD src0_sel:WORD_0 src1_sel:DWORD
	v_sub_u16_e32 v198, v196, v197
	v_sub_u16_sdwa v199, v196, v197 dst_sel:BYTE_1 dst_unused:UNUSED_PAD src0_sel:BYTE_1 src1_sel:BYTE_1
	v_sub_u16_sdwa v195, v195, v197 dst_sel:BYTE_1 dst_unused:UNUSED_PAD src0_sel:DWORD src1_sel:BYTE_3
	v_sub_u16_sdwa v196, v196, v197 dst_sel:DWORD dst_unused:UNUSED_PAD src0_sel:WORD_1 src1_sel:WORD_1
	v_or_b32_sdwa v198, v198, v199 dst_sel:DWORD dst_unused:UNUSED_PAD src0_sel:BYTE_0 src1_sel:DWORD
	v_or_b32_sdwa v195, v196, v195 dst_sel:WORD_1 dst_unused:UNUSED_PAD src0_sel:BYTE_0 src1_sel:DWORD
	ds_read2_b32 v[196:197], v87 offset0:4 offset1:5
	v_or_b32_sdwa v195, v198, v195 dst_sel:DWORD dst_unused:UNUSED_PAD src0_sel:WORD_0 src1_sel:DWORD
	v_add_u32_e32 v198, 0x4210, v202
	ds_read2_b32 v[198:199], v198 offset1:1
	s_waitcnt lgkmcnt(1)
	v_ashrrev_i32_e32 v196, s23, v196
	v_and_b32_e32 v200, 0x3030303, v196
	v_bfe_u32 v196, v196, 24, 2
	s_waitcnt lgkmcnt(0)
	v_ashrrev_i32_e32 v198, s19, v198
	v_lshlrev_b32_e32 v198, 2, v198
	v_and_b32_e32 v198, 0x4040404, v198
	v_ashrrev_i32_e32 v199, s19, v199
	v_sub_u16_e32 v201, v200, v198
	v_sub_u16_sdwa v203, v200, v198 dst_sel:BYTE_1 dst_unused:UNUSED_PAD src0_sel:BYTE_1 src1_sel:BYTE_1
	v_sub_u16_sdwa v196, v196, v198 dst_sel:BYTE_1 dst_unused:UNUSED_PAD src0_sel:DWORD src1_sel:BYTE_3
	v_sub_u16_sdwa v198, v200, v198 dst_sel:DWORD dst_unused:UNUSED_PAD src0_sel:WORD_1 src1_sel:WORD_1
	v_ashrrev_i32_e32 v197, s23, v197
	v_lshlrev_b32_e32 v199, 2, v199
	v_or_b32_sdwa v201, v201, v203 dst_sel:DWORD dst_unused:UNUSED_PAD src0_sel:BYTE_0 src1_sel:DWORD
	v_or_b32_sdwa v196, v198, v196 dst_sel:WORD_1 dst_unused:UNUSED_PAD src0_sel:BYTE_0 src1_sel:DWORD
	v_and_b32_e32 v198, 0x3030303, v197
	v_bfe_u32 v197, v197, 24, 2
	v_and_b32_e32 v199, 0x4040404, v199
	v_or_b32_sdwa v196, v201, v196 dst_sel:DWORD dst_unused:UNUSED_PAD src0_sel:WORD_0 src1_sel:DWORD
	v_sub_u16_e32 v200, v198, v199
	v_sub_u16_sdwa v201, v198, v199 dst_sel:BYTE_1 dst_unused:UNUSED_PAD src0_sel:BYTE_1 src1_sel:BYTE_1
	v_sub_u16_sdwa v197, v197, v199 dst_sel:BYTE_1 dst_unused:UNUSED_PAD src0_sel:DWORD src1_sel:BYTE_3
	v_sub_u16_sdwa v198, v198, v199 dst_sel:DWORD dst_unused:UNUSED_PAD src0_sel:WORD_1 src1_sel:WORD_1
	v_or_b32_sdwa v200, v200, v201 dst_sel:DWORD dst_unused:UNUSED_PAD src0_sel:BYTE_0 src1_sel:DWORD
	v_or_b32_sdwa v197, v198, v197 dst_sel:WORD_1 dst_unused:UNUSED_PAD src0_sel:BYTE_0 src1_sel:DWORD
	v_add_u32_e32 v199, 0x4218, v202
	v_or_b32_sdwa v198, v200, v197 dst_sel:DWORD dst_unused:UNUSED_PAD src0_sel:WORD_0 src1_sel:DWORD
	ds_read2_b32 v[200:201], v87 offset0:6 offset1:7
	ds_read2_b32 v[202:203], v199 offset1:1
	s_waitcnt lgkmcnt(1)
	v_ashrrev_i32_e32 v87, s23, v200
	s_waitcnt lgkmcnt(0)
	v_ashrrev_i32_e32 v199, s19, v202
	v_lshlrev_b32_e32 v199, 2, v199
	v_and_b32_e32 v197, 0x3030303, v87
	v_bfe_u32 v87, v87, 24, 2
	v_and_b32_e32 v199, 0x4040404, v199
	v_sub_u16_e32 v200, v197, v199
	v_sub_u16_sdwa v202, v197, v199 dst_sel:BYTE_1 dst_unused:UNUSED_PAD src0_sel:BYTE_1 src1_sel:BYTE_1
	v_sub_u16_sdwa v87, v87, v199 dst_sel:BYTE_1 dst_unused:UNUSED_PAD src0_sel:DWORD src1_sel:BYTE_3
	v_sub_u16_sdwa v197, v197, v199 dst_sel:DWORD dst_unused:UNUSED_PAD src0_sel:WORD_1 src1_sel:WORD_1
	v_or_b32_sdwa v200, v200, v202 dst_sel:DWORD dst_unused:UNUSED_PAD src0_sel:BYTE_0 src1_sel:DWORD
	v_or_b32_sdwa v87, v197, v87 dst_sel:WORD_1 dst_unused:UNUSED_PAD src0_sel:BYTE_0 src1_sel:DWORD
	s_nop 0
	v_or_b32_sdwa v199, v200, v87 dst_sel:DWORD dst_unused:UNUSED_PAD src0_sel:WORD_0 src1_sel:DWORD
	v_ashrrev_i32_e32 v200, s19, v203
	v_ashrrev_i32_e32 v87, s23, v201
	v_lshlrev_b32_e32 v200, 2, v200
	v_and_b32_e32 v197, 0x3030303, v87
	v_bfe_u32 v87, v87, 24, 2
	v_and_b32_e32 v200, 0x4040404, v200
	v_sub_u16_e32 v201, v197, v200
	v_sub_u16_sdwa v202, v197, v200 dst_sel:BYTE_1 dst_unused:UNUSED_PAD src0_sel:BYTE_1 src1_sel:BYTE_1
	v_sub_u16_sdwa v87, v87, v200 dst_sel:BYTE_1 dst_unused:UNUSED_PAD src0_sel:DWORD src1_sel:BYTE_3
	v_sub_u16_sdwa v197, v197, v200 dst_sel:DWORD dst_unused:UNUSED_PAD src0_sel:WORD_1 src1_sel:WORD_1
	v_or_b32_sdwa v201, v201, v202 dst_sel:DWORD dst_unused:UNUSED_PAD src0_sel:BYTE_0 src1_sel:DWORD
	v_or_b32_sdwa v87, v197, v87 dst_sel:WORD_1 dst_unused:UNUSED_PAD src0_sel:BYTE_0 src1_sel:DWORD
	v_add_u32_e32 v197, s26, v137
	v_or_b32_sdwa v200, v201, v87 dst_sel:DWORD dst_unused:UNUSED_PAD src0_sel:WORD_0 src1_sel:DWORD
	v_add3_u32 v87, v149, s22, v86
	ds_read_b32 v197, v197
	ds_read_u16 v87, v87 offset:10242
	v_mov_b32_e32 v202, 0
	v_dot4c_i32_i8_e32 v202, v191, v4
	v_dot4c_i32_i8_e32 v202, v193, v5
	;; [unrolled: 1-line block ×3, first 2 shown]
	s_waitcnt lgkmcnt(0)
	v_lshrrev_b16_e32 v203, 8, v87
	v_bfe_i32 v201, v87, 0, 8
	v_mov_b32_e32 v87, 0
	v_dot4c_i32_i8_e32 v87, v196, v0
	v_dot4c_i32_i8_e32 v87, v198, v1
	;; [unrolled: 1-line block ×5, first 2 shown]
	v_bfe_i32 v203, v203, 0, 8
	v_mul_lo_u32 v202, v202, v201
	v_add3_u32 v86, v151, s22, v86
	v_mad_u64_u32 v[204:205], s[28:29], v87, v203, v[202:203]
	v_cvt_f32_i32_e32 v202, v204
	v_mul_f32_e32 v87, v84, v197
	v_fmac_f32_e32 v108, v87, v202
	v_add_u32_e32 v87, s25, v139
	ds_read2_b32 v[204:205], v87 offset1:1
	s_waitcnt lgkmcnt(0)
	v_ashrrev_i32_e32 v202, s23, v204
	v_and_b32_e32 v204, 0x3030303, v202
	v_bfe_u32 v202, v202, 24, 2
	v_sub_u16_e32 v208, v204, v206
	v_sub_u16_sdwa v209, v204, v206 dst_sel:BYTE_1 dst_unused:UNUSED_PAD src0_sel:BYTE_1 src1_sel:BYTE_1
	v_sub_u16_sdwa v202, v202, v206 dst_sel:BYTE_1 dst_unused:UNUSED_PAD src0_sel:DWORD src1_sel:BYTE_3
	v_sub_u16_sdwa v204, v204, v206 dst_sel:DWORD dst_unused:UNUSED_PAD src0_sel:WORD_1 src1_sel:WORD_1
	v_ashrrev_i32_e32 v206, s19, v207
	v_or_b32_sdwa v202, v204, v202 dst_sel:WORD_1 dst_unused:UNUSED_PAD src0_sel:BYTE_0 src1_sel:DWORD
	v_ashrrev_i32_e32 v204, s23, v205
	v_lshlrev_b32_e32 v206, 2, v206
	v_or_b32_sdwa v208, v208, v209 dst_sel:DWORD dst_unused:UNUSED_PAD src0_sel:BYTE_0 src1_sel:DWORD
	v_and_b32_e32 v205, 0x3030303, v204
	v_bfe_u32 v204, v204, 24, 2
	v_and_b32_e32 v206, 0x4040404, v206
	v_or_b32_sdwa v202, v208, v202 dst_sel:DWORD dst_unused:UNUSED_PAD src0_sel:WORD_0 src1_sel:DWORD
	v_sub_u16_e32 v207, v205, v206
	v_sub_u16_sdwa v208, v205, v206 dst_sel:BYTE_1 dst_unused:UNUSED_PAD src0_sel:BYTE_1 src1_sel:BYTE_1
	v_sub_u16_sdwa v204, v204, v206 dst_sel:BYTE_1 dst_unused:UNUSED_PAD src0_sel:DWORD src1_sel:BYTE_3
	v_sub_u16_sdwa v205, v205, v206 dst_sel:DWORD dst_unused:UNUSED_PAD src0_sel:WORD_1 src1_sel:WORD_1
	v_or_b32_sdwa v207, v207, v208 dst_sel:DWORD dst_unused:UNUSED_PAD src0_sel:BYTE_0 src1_sel:DWORD
	v_or_b32_sdwa v204, v205, v204 dst_sel:WORD_1 dst_unused:UNUSED_PAD src0_sel:BYTE_0 src1_sel:DWORD
	v_add_u32_e32 v208, 0x4208, v212
	v_or_b32_sdwa v204, v207, v204 dst_sel:DWORD dst_unused:UNUSED_PAD src0_sel:WORD_0 src1_sel:DWORD
	ds_read2_b32 v[206:207], v87 offset0:2 offset1:3
	ds_read2_b32 v[208:209], v208 offset1:1
	s_waitcnt lgkmcnt(1)
	v_ashrrev_i32_e32 v205, s23, v206
	s_waitcnt lgkmcnt(0)
	v_ashrrev_i32_e32 v208, s19, v208
	v_lshlrev_b32_e32 v208, 2, v208
	v_and_b32_e32 v206, 0x3030303, v205
	v_bfe_u32 v205, v205, 24, 2
	v_and_b32_e32 v208, 0x4040404, v208
	v_sub_u16_e32 v210, v206, v208
	v_sub_u16_sdwa v211, v206, v208 dst_sel:BYTE_1 dst_unused:UNUSED_PAD src0_sel:BYTE_1 src1_sel:BYTE_1
	v_sub_u16_sdwa v205, v205, v208 dst_sel:BYTE_1 dst_unused:UNUSED_PAD src0_sel:DWORD src1_sel:BYTE_3
	v_sub_u16_sdwa v206, v206, v208 dst_sel:DWORD dst_unused:UNUSED_PAD src0_sel:WORD_1 src1_sel:WORD_1
	v_ashrrev_i32_e32 v208, s19, v209
	v_or_b32_sdwa v205, v206, v205 dst_sel:WORD_1 dst_unused:UNUSED_PAD src0_sel:BYTE_0 src1_sel:DWORD
	v_ashrrev_i32_e32 v206, s23, v207
	v_lshlrev_b32_e32 v208, 2, v208
	v_or_b32_sdwa v210, v210, v211 dst_sel:DWORD dst_unused:UNUSED_PAD src0_sel:BYTE_0 src1_sel:DWORD
	v_and_b32_e32 v207, 0x3030303, v206
	v_bfe_u32 v206, v206, 24, 2
	v_and_b32_e32 v208, 0x4040404, v208
	v_or_b32_sdwa v205, v210, v205 dst_sel:DWORD dst_unused:UNUSED_PAD src0_sel:WORD_0 src1_sel:DWORD
	v_sub_u16_e32 v209, v207, v208
	v_sub_u16_sdwa v210, v207, v208 dst_sel:BYTE_1 dst_unused:UNUSED_PAD src0_sel:BYTE_1 src1_sel:BYTE_1
	v_sub_u16_sdwa v206, v206, v208 dst_sel:BYTE_1 dst_unused:UNUSED_PAD src0_sel:DWORD src1_sel:BYTE_3
	v_sub_u16_sdwa v207, v207, v208 dst_sel:DWORD dst_unused:UNUSED_PAD src0_sel:WORD_1 src1_sel:WORD_1
	v_or_b32_sdwa v209, v209, v210 dst_sel:DWORD dst_unused:UNUSED_PAD src0_sel:BYTE_0 src1_sel:DWORD
	v_or_b32_sdwa v206, v207, v206 dst_sel:WORD_1 dst_unused:UNUSED_PAD src0_sel:BYTE_0 src1_sel:DWORD
	v_add_u32_e32 v210, 0x4210, v212
	v_or_b32_sdwa v206, v209, v206 dst_sel:DWORD dst_unused:UNUSED_PAD src0_sel:WORD_0 src1_sel:DWORD
	ds_read2_b32 v[208:209], v87 offset0:4 offset1:5
	ds_read2_b32 v[210:211], v210 offset1:1
	s_waitcnt lgkmcnt(1)
	v_ashrrev_i32_e32 v207, s23, v208
	s_waitcnt lgkmcnt(0)
	v_ashrrev_i32_e32 v210, s19, v210
	v_lshlrev_b32_e32 v210, 2, v210
	v_and_b32_e32 v208, 0x3030303, v207
	v_bfe_u32 v207, v207, 24, 2
	v_and_b32_e32 v210, 0x4040404, v210
	v_sub_u16_e32 v213, v208, v210
	v_sub_u16_sdwa v214, v208, v210 dst_sel:BYTE_1 dst_unused:UNUSED_PAD src0_sel:BYTE_1 src1_sel:BYTE_1
	v_sub_u16_sdwa v207, v207, v210 dst_sel:BYTE_1 dst_unused:UNUSED_PAD src0_sel:DWORD src1_sel:BYTE_3
	v_sub_u16_sdwa v208, v208, v210 dst_sel:DWORD dst_unused:UNUSED_PAD src0_sel:WORD_1 src1_sel:WORD_1
	v_ashrrev_i32_e32 v210, s19, v211
	v_or_b32_sdwa v207, v208, v207 dst_sel:WORD_1 dst_unused:UNUSED_PAD src0_sel:BYTE_0 src1_sel:DWORD
	v_ashrrev_i32_e32 v208, s23, v209
	v_lshlrev_b32_e32 v210, 2, v210
	v_or_b32_sdwa v213, v213, v214 dst_sel:DWORD dst_unused:UNUSED_PAD src0_sel:BYTE_0 src1_sel:DWORD
	v_and_b32_e32 v209, 0x3030303, v208
	v_bfe_u32 v208, v208, 24, 2
	v_and_b32_e32 v210, 0x4040404, v210
	v_or_b32_sdwa v207, v213, v207 dst_sel:DWORD dst_unused:UNUSED_PAD src0_sel:WORD_0 src1_sel:DWORD
	v_sub_u16_e32 v211, v209, v210
	v_sub_u16_sdwa v213, v209, v210 dst_sel:BYTE_1 dst_unused:UNUSED_PAD src0_sel:BYTE_1 src1_sel:BYTE_1
	v_sub_u16_sdwa v208, v208, v210 dst_sel:BYTE_1 dst_unused:UNUSED_PAD src0_sel:DWORD src1_sel:BYTE_3
	v_sub_u16_sdwa v209, v209, v210 dst_sel:DWORD dst_unused:UNUSED_PAD src0_sel:WORD_1 src1_sel:WORD_1
	v_or_b32_sdwa v211, v211, v213 dst_sel:DWORD dst_unused:UNUSED_PAD src0_sel:BYTE_0 src1_sel:DWORD
	v_or_b32_sdwa v208, v209, v208 dst_sel:WORD_1 dst_unused:UNUSED_PAD src0_sel:BYTE_0 src1_sel:DWORD
	s_nop 0
	v_or_b32_sdwa v209, v211, v208 dst_sel:DWORD dst_unused:UNUSED_PAD src0_sel:WORD_0 src1_sel:DWORD
	ds_read2_b32 v[210:211], v87 offset0:6 offset1:7
	s_waitcnt lgkmcnt(0)
	v_ashrrev_i32_e32 v87, s23, v210
	v_add_u32_e32 v210, 0x4218, v212
	ds_read2_b32 v[212:213], v210 offset1:1
	v_and_b32_e32 v208, 0x3030303, v87
	v_bfe_u32 v87, v87, 24, 2
	s_waitcnt lgkmcnt(0)
	v_ashrrev_i32_e32 v210, s19, v212
	v_lshlrev_b32_e32 v210, 2, v210
	v_and_b32_e32 v210, 0x4040404, v210
	v_sub_u16_e32 v212, v208, v210
	v_sub_u16_sdwa v214, v208, v210 dst_sel:BYTE_1 dst_unused:UNUSED_PAD src0_sel:BYTE_1 src1_sel:BYTE_1
	v_sub_u16_sdwa v87, v87, v210 dst_sel:BYTE_1 dst_unused:UNUSED_PAD src0_sel:DWORD src1_sel:BYTE_3
	v_sub_u16_sdwa v208, v208, v210 dst_sel:DWORD dst_unused:UNUSED_PAD src0_sel:WORD_1 src1_sel:WORD_1
	v_or_b32_sdwa v212, v212, v214 dst_sel:DWORD dst_unused:UNUSED_PAD src0_sel:BYTE_0 src1_sel:DWORD
	v_or_b32_sdwa v87, v208, v87 dst_sel:WORD_1 dst_unused:UNUSED_PAD src0_sel:BYTE_0 src1_sel:DWORD
	s_nop 0
	v_or_b32_sdwa v210, v212, v87 dst_sel:DWORD dst_unused:UNUSED_PAD src0_sel:WORD_0 src1_sel:DWORD
	v_ashrrev_i32_e32 v87, s23, v211
	v_ashrrev_i32_e32 v211, s19, v213
	v_lshlrev_b32_e32 v211, 2, v211
	v_and_b32_e32 v208, 0x3030303, v87
	v_bfe_u32 v87, v87, 24, 2
	v_and_b32_e32 v211, 0x4040404, v211
	v_sub_u16_e32 v212, v208, v211
	v_sub_u16_sdwa v213, v208, v211 dst_sel:BYTE_1 dst_unused:UNUSED_PAD src0_sel:BYTE_1 src1_sel:BYTE_1
	v_sub_u16_sdwa v87, v87, v211 dst_sel:BYTE_1 dst_unused:UNUSED_PAD src0_sel:DWORD src1_sel:BYTE_3
	v_sub_u16_sdwa v208, v208, v211 dst_sel:DWORD dst_unused:UNUSED_PAD src0_sel:WORD_1 src1_sel:WORD_1
	v_or_b32_sdwa v212, v212, v213 dst_sel:DWORD dst_unused:UNUSED_PAD src0_sel:BYTE_0 src1_sel:DWORD
	v_or_b32_sdwa v87, v208, v87 dst_sel:WORD_1 dst_unused:UNUSED_PAD src0_sel:BYTE_0 src1_sel:DWORD
	s_add_i32 s19, s19, 1
	v_or_b32_sdwa v211, v212, v87 dst_sel:DWORD dst_unused:UNUSED_PAD src0_sel:WORD_0 src1_sel:DWORD
	v_add_u32_e32 v87, s26, v140
	ds_read_b32 v208, v87
	v_mov_b32_e32 v87, 0
	v_dot4c_i32_i8_e32 v87, v202, v4
	ds_read_u16 v4, v86 offset:11266
	v_dot4c_i32_i8_e32 v87, v204, v5
	v_dot4c_i32_i8_e32 v87, v205, v6
	v_mov_b32_e32 v6, 0
	v_dot4c_i32_i8_e32 v6, v207, v0
	v_dot4c_i32_i8_e32 v6, v209, v1
	;; [unrolled: 1-line block ×3, first 2 shown]
	s_waitcnt lgkmcnt(0)
	v_lshrrev_b16_e32 v5, 8, v4
	v_bfe_i32 v212, v4, 0, 8
	v_dot4c_i32_i8_e32 v6, v210, v2
	v_mul_lo_u32 v4, v87, v212
	v_dot4c_i32_i8_e32 v6, v211, v3
	v_bfe_i32 v213, v5, 0, 8
	v_mov_b32_e32 v86, 0
	s_cmp_lt_u32 s21, 14
	v_mad_u64_u32 v[0:1], s[22:23], v6, v213, v[4:5]
	v_cvt_f32_i32_e32 v0, v0
	v_mul_f32_e32 v1, v84, v208
	v_mov_b32_e32 v84, 0
	v_fmac_f32_e32 v106, v1, v0
	ds_read_b128 v[0:3], v168 offset:26368
	ds_read_b128 v[4:7], v168 offset:26384
	s_waitcnt lgkmcnt(1)
	v_dot4c_i32_i8_e32 v84, v170, v0
	v_dot4c_i32_i8_e32 v84, v171, v1
	s_waitcnt lgkmcnt(0)
	v_dot4c_i32_i8_e32 v86, v175, v4
	v_dot4c_i32_i8_e32 v84, v172, v2
	;; [unrolled: 1-line block ×6, first 2 shown]
	s_nop 0
	v_mul_lo_u32 v84, v84, v179
	s_nop 0
	v_mad_u64_u32 v[86:87], s[22:23], v86, v181, v[84:85]
	v_cvt_f32_i32_e32 v86, v86
	v_mul_f32_e32 v84, v174, v85
	v_fmac_f32_e32 v105, v84, v86
	v_mov_b32_e32 v84, 0
	v_dot4c_i32_i8_e32 v84, v180, v0
	v_mov_b32_e32 v86, 0
	v_dot4c_i32_i8_e32 v84, v182, v1
	v_dot4c_i32_i8_e32 v86, v185, v4
	;; [unrolled: 1-line block ×7, first 2 shown]
	s_nop 0
	v_mul_lo_u32 v84, v84, v190
	s_nop 0
	v_mad_u64_u32 v[86:87], s[22:23], v86, v192, v[84:85]
	v_cvt_f32_i32_e32 v86, v86
	v_mul_f32_e32 v84, v186, v85
	v_fmac_f32_e32 v101, v84, v86
	v_mov_b32_e32 v84, 0
	v_dot4c_i32_i8_e32 v84, v191, v0
	v_mov_b32_e32 v86, 0
	v_dot4c_i32_i8_e32 v84, v193, v1
	v_dot4c_i32_i8_e32 v86, v196, v4
	;; [unrolled: 1-line block ×7, first 2 shown]
	s_nop 0
	v_mul_lo_u32 v84, v84, v201
	s_nop 0
	v_mad_u64_u32 v[86:87], s[22:23], v86, v203, v[84:85]
	v_cvt_f32_i32_e32 v86, v86
	v_mul_f32_e32 v84, v197, v85
	v_fmac_f32_e32 v100, v84, v86
	v_mov_b32_e32 v84, 0
	v_dot4c_i32_i8_e32 v84, v202, v0
	v_dot4c_i32_i8_e32 v84, v204, v1
	v_mov_b32_e32 v1, 0
	v_dot4c_i32_i8_e32 v1, v207, v4
	v_dot4c_i32_i8_e32 v84, v205, v2
	;; [unrolled: 1-line block ×6, first 2 shown]
	s_nop 0
	v_mul_lo_u32 v0, v84, v212
	s_nop 0
	v_mad_u64_u32 v[0:1], s[22:23], v1, v213, v[0:1]
	v_cvt_f32_i32_e32 v0, v0
	v_mul_f32_e32 v1, v208, v85
	v_fmac_f32_e32 v99, v1, v0
	v_add_u32_e32 v0, 0x9800, v169
	ds_read2_b32 v[6:7], v0 offset0:40 offset1:72
	ds_read_b128 v[2:5], v168 offset:27392
	ds_read_b128 v[84:87], v168 offset:27408
	v_mov_b32_e32 v1, 0
	v_add_u32_e32 v169, 4, v169
	s_waitcnt lgkmcnt(1)
	v_dot4c_i32_i8_e32 v1, v170, v2
	v_dot4c_i32_i8_e32 v1, v171, v3
	;; [unrolled: 1-line block ×4, first 2 shown]
	s_nop 2
	v_mul_lo_u32 v214, v1, v179
	v_mov_b32_e32 v1, 0
	s_waitcnt lgkmcnt(0)
	v_dot4c_i32_i8_e32 v1, v175, v84
	v_dot4c_i32_i8_e32 v1, v176, v85
	;; [unrolled: 1-line block ×4, first 2 shown]
	s_nop 2
	v_mad_u64_u32 v[214:215], s[22:23], v1, v181, v[214:215]
	v_cvt_f32_i32_e32 v214, v214
	v_mul_f32_e32 v1, v174, v6
                                        ; kill: def $vgpr215 killed $sgpr0 killed $exec
	v_fmac_f32_e32 v98, v1, v214
	v_mov_b32_e32 v1, 0
	v_dot4c_i32_i8_e32 v1, v180, v2
	v_dot4c_i32_i8_e32 v1, v182, v3
	;; [unrolled: 1-line block ×4, first 2 shown]
	s_nop 2
	v_mul_lo_u32 v214, v1, v190
	v_mov_b32_e32 v1, 0
	v_dot4c_i32_i8_e32 v1, v185, v84
	v_dot4c_i32_i8_e32 v1, v187, v85
	;; [unrolled: 1-line block ×4, first 2 shown]
	s_nop 2
	v_mad_u64_u32 v[214:215], s[22:23], v1, v192, v[214:215]
	v_cvt_f32_i32_e32 v214, v214
	v_mul_f32_e32 v1, v186, v6
                                        ; kill: def $vgpr215 killed $sgpr0 killed $exec
	v_fmac_f32_e32 v83, v1, v214
	v_mov_b32_e32 v1, 0
	v_dot4c_i32_i8_e32 v1, v191, v2
	v_dot4c_i32_i8_e32 v1, v193, v3
	;; [unrolled: 1-line block ×4, first 2 shown]
	s_nop 2
	v_mul_lo_u32 v214, v1, v201
	v_mov_b32_e32 v1, 0
	v_dot4c_i32_i8_e32 v1, v196, v84
	v_dot4c_i32_i8_e32 v1, v198, v85
	v_dot4c_i32_i8_e32 v1, v199, v86
	v_dot4c_i32_i8_e32 v1, v200, v87
	s_nop 2
	v_mad_u64_u32 v[214:215], s[22:23], v1, v203, v[214:215]
	v_cvt_f32_i32_e32 v214, v214
	v_mul_f32_e32 v1, v197, v6
	v_fmac_f32_e32 v79, v1, v214
	v_mov_b32_e32 v1, 0
	v_dot4c_i32_i8_e32 v1, v202, v2
	v_dot4c_i32_i8_e32 v1, v204, v3
	;; [unrolled: 1-line block ×4, first 2 shown]
                                        ; kill: def $vgpr3 killed $sgpr0 killed $exec
	s_nop 2
	v_mul_lo_u32 v2, v1, v212
	v_mov_b32_e32 v1, 0
	v_dot4c_i32_i8_e32 v1, v207, v84
	v_dot4c_i32_i8_e32 v1, v209, v85
	;; [unrolled: 1-line block ×4, first 2 shown]
	s_nop 2
	v_mad_u64_u32 v[2:3], s[22:23], v1, v213, v[2:3]
	v_cvt_f32_i32_e32 v2, v2
	v_mul_f32_e32 v1, v208, v6
	v_fmac_f32_e32 v63, v1, v2
	ds_read_b128 v[2:5], v168 offset:28416
	ds_read_b128 v[84:87], v168 offset:28432
	v_mov_b32_e32 v1, 0
	s_waitcnt lgkmcnt(1)
	v_dot4c_i32_i8_e32 v1, v170, v2
	v_dot4c_i32_i8_e32 v1, v171, v3
	;; [unrolled: 1-line block ×4, first 2 shown]
	s_nop 2
	v_mul_lo_u32 v6, v1, v179
	v_mov_b32_e32 v1, 0
	s_waitcnt lgkmcnt(0)
	v_dot4c_i32_i8_e32 v1, v175, v84
	v_dot4c_i32_i8_e32 v1, v176, v85
	;; [unrolled: 1-line block ×4, first 2 shown]
	s_nop 2
	v_mad_u64_u32 v[214:215], s[22:23], v1, v181, v[6:7]
	v_cvt_f32_i32_e32 v6, v214
	v_mul_f32_e32 v1, v174, v7
	v_fmac_f32_e32 v55, v1, v6
	v_mov_b32_e32 v1, 0
	v_dot4c_i32_i8_e32 v1, v180, v2
	v_dot4c_i32_i8_e32 v1, v182, v3
	;; [unrolled: 1-line block ×4, first 2 shown]
	s_nop 2
	v_mul_lo_u32 v6, v1, v190
	v_mov_b32_e32 v1, 0
	v_dot4c_i32_i8_e32 v1, v185, v84
	v_dot4c_i32_i8_e32 v1, v187, v85
	;; [unrolled: 1-line block ×4, first 2 shown]
	s_nop 2
	v_mad_u64_u32 v[214:215], s[22:23], v1, v192, v[6:7]
	v_cvt_f32_i32_e32 v6, v214
	v_mul_f32_e32 v1, v186, v7
	v_fmac_f32_e32 v53, v1, v6
	v_mov_b32_e32 v1, 0
	v_dot4c_i32_i8_e32 v1, v191, v2
	v_dot4c_i32_i8_e32 v1, v193, v3
	;; [unrolled: 1-line block ×4, first 2 shown]
	s_nop 2
	v_mul_lo_u32 v6, v1, v201
	v_mov_b32_e32 v1, 0
	v_dot4c_i32_i8_e32 v1, v196, v84
	v_dot4c_i32_i8_e32 v1, v198, v85
	;; [unrolled: 1-line block ×4, first 2 shown]
	s_nop 2
	v_mad_u64_u32 v[214:215], s[22:23], v1, v203, v[6:7]
	v_cvt_f32_i32_e32 v6, v214
	v_mul_f32_e32 v1, v197, v7
                                        ; kill: def $vgpr215 killed $sgpr0 killed $exec
	v_fmac_f32_e32 v49, v1, v6
	v_mov_b32_e32 v1, 0
	v_dot4c_i32_i8_e32 v1, v202, v2
	v_dot4c_i32_i8_e32 v1, v204, v3
	;; [unrolled: 1-line block ×4, first 2 shown]
                                        ; kill: def $vgpr3 killed $sgpr0 killed $exec
	s_nop 2
	v_mul_lo_u32 v2, v1, v212
	v_mov_b32_e32 v1, 0
	v_dot4c_i32_i8_e32 v1, v207, v84
	v_dot4c_i32_i8_e32 v1, v209, v85
	;; [unrolled: 1-line block ×4, first 2 shown]
	s_nop 2
	v_mad_u64_u32 v[2:3], s[22:23], v1, v213, v[2:3]
	v_cvt_f32_i32_e32 v2, v2
	v_mul_f32_e32 v1, v208, v7
	v_fmac_f32_e32 v47, v1, v2
	ds_read2_b32 v[6:7], v0 offset0:104 offset1:136
	ds_read_b128 v[2:5], v168 offset:29440
	ds_read_b128 v[84:87], v168 offset:29456
	v_mov_b32_e32 v1, 0
	s_waitcnt lgkmcnt(1)
	v_dot4c_i32_i8_e32 v1, v170, v2
	v_dot4c_i32_i8_e32 v1, v171, v3
	;; [unrolled: 1-line block ×4, first 2 shown]
	s_nop 2
	v_mul_lo_u32 v214, v1, v179
	v_mov_b32_e32 v1, 0
	s_waitcnt lgkmcnt(0)
	v_dot4c_i32_i8_e32 v1, v175, v84
	v_dot4c_i32_i8_e32 v1, v176, v85
	;; [unrolled: 1-line block ×4, first 2 shown]
	s_nop 2
	v_mad_u64_u32 v[214:215], s[22:23], v1, v181, v[214:215]
	v_cvt_f32_i32_e32 v214, v214
	v_mul_f32_e32 v1, v174, v6
                                        ; kill: def $vgpr215 killed $sgpr0 killed $exec
	v_fmac_f32_e32 v45, v1, v214
	v_mov_b32_e32 v1, 0
	v_dot4c_i32_i8_e32 v1, v180, v2
	v_dot4c_i32_i8_e32 v1, v182, v3
	;; [unrolled: 1-line block ×4, first 2 shown]
	s_nop 2
	v_mul_lo_u32 v214, v1, v190
	v_mov_b32_e32 v1, 0
	v_dot4c_i32_i8_e32 v1, v185, v84
	v_dot4c_i32_i8_e32 v1, v187, v85
	v_dot4c_i32_i8_e32 v1, v188, v86
	v_dot4c_i32_i8_e32 v1, v189, v87
	s_nop 2
	v_mad_u64_u32 v[214:215], s[22:23], v1, v192, v[214:215]
	v_cvt_f32_i32_e32 v214, v214
	v_mul_f32_e32 v1, v186, v6
                                        ; kill: def $vgpr215 killed $sgpr0 killed $exec
	v_fmac_f32_e32 v43, v1, v214
	v_mov_b32_e32 v1, 0
	v_dot4c_i32_i8_e32 v1, v191, v2
	v_dot4c_i32_i8_e32 v1, v193, v3
	;; [unrolled: 1-line block ×4, first 2 shown]
	s_nop 2
	v_mul_lo_u32 v214, v1, v201
	v_mov_b32_e32 v1, 0
	v_dot4c_i32_i8_e32 v1, v196, v84
	v_dot4c_i32_i8_e32 v1, v198, v85
	;; [unrolled: 1-line block ×4, first 2 shown]
	s_nop 2
	v_mad_u64_u32 v[214:215], s[22:23], v1, v203, v[214:215]
	v_cvt_f32_i32_e32 v214, v214
	v_mul_f32_e32 v1, v197, v6
	v_fmac_f32_e32 v39, v1, v214
	v_mov_b32_e32 v1, 0
	v_dot4c_i32_i8_e32 v1, v202, v2
	v_dot4c_i32_i8_e32 v1, v204, v3
	;; [unrolled: 1-line block ×4, first 2 shown]
                                        ; kill: def $vgpr3 killed $sgpr0 killed $exec
	s_nop 2
	v_mul_lo_u32 v2, v1, v212
	v_mov_b32_e32 v1, 0
	v_dot4c_i32_i8_e32 v1, v207, v84
	v_dot4c_i32_i8_e32 v1, v209, v85
	;; [unrolled: 1-line block ×4, first 2 shown]
	s_nop 2
	v_mad_u64_u32 v[2:3], s[22:23], v1, v213, v[2:3]
	v_cvt_f32_i32_e32 v2, v2
	v_mul_f32_e32 v1, v208, v6
	v_fmac_f32_e32 v37, v1, v2
	ds_read_b128 v[2:5], v168 offset:30464
	ds_read_b128 v[84:87], v168 offset:30480
	v_mov_b32_e32 v1, 0
	s_waitcnt lgkmcnt(1)
	v_dot4c_i32_i8_e32 v1, v170, v2
	v_dot4c_i32_i8_e32 v1, v171, v3
	;; [unrolled: 1-line block ×4, first 2 shown]
	s_nop 2
	v_mul_lo_u32 v6, v1, v179
	v_mov_b32_e32 v1, 0
	s_waitcnt lgkmcnt(0)
	v_dot4c_i32_i8_e32 v1, v175, v84
	v_dot4c_i32_i8_e32 v1, v176, v85
	;; [unrolled: 1-line block ×4, first 2 shown]
	s_nop 2
	v_mad_u64_u32 v[214:215], s[22:23], v1, v181, v[6:7]
	v_cvt_f32_i32_e32 v6, v214
	v_mul_f32_e32 v1, v174, v7
	v_fmac_f32_e32 v33, v1, v6
	v_mov_b32_e32 v1, 0
	v_dot4c_i32_i8_e32 v1, v180, v2
	v_dot4c_i32_i8_e32 v1, v182, v3
	v_dot4c_i32_i8_e32 v1, v183, v4
	v_dot4c_i32_i8_e32 v1, v184, v5
	s_nop 2
	v_mul_lo_u32 v6, v1, v190
	v_mov_b32_e32 v1, 0
	v_dot4c_i32_i8_e32 v1, v185, v84
	v_dot4c_i32_i8_e32 v1, v187, v85
	v_dot4c_i32_i8_e32 v1, v188, v86
	v_dot4c_i32_i8_e32 v1, v189, v87
	s_nop 2
	v_mad_u64_u32 v[214:215], s[22:23], v1, v192, v[6:7]
	v_cvt_f32_i32_e32 v6, v214
	v_mul_f32_e32 v1, v186, v7
	v_fmac_f32_e32 v31, v1, v6
	v_mov_b32_e32 v1, 0
	v_dot4c_i32_i8_e32 v1, v191, v2
	v_dot4c_i32_i8_e32 v1, v193, v3
	;; [unrolled: 1-line block ×4, first 2 shown]
	s_nop 2
	v_mul_lo_u32 v6, v1, v201
	v_mov_b32_e32 v1, 0
	v_dot4c_i32_i8_e32 v1, v196, v84
	v_dot4c_i32_i8_e32 v1, v198, v85
	;; [unrolled: 1-line block ×4, first 2 shown]
	s_nop 2
	v_mad_u64_u32 v[214:215], s[22:23], v1, v203, v[6:7]
	v_cvt_f32_i32_e32 v6, v214
	v_mul_f32_e32 v1, v197, v7
	v_fmac_f32_e32 v29, v1, v6
	v_mov_b32_e32 v1, 0
	v_dot4c_i32_i8_e32 v1, v202, v2
	v_dot4c_i32_i8_e32 v1, v204, v3
	v_dot4c_i32_i8_e32 v1, v205, v4
	v_dot4c_i32_i8_e32 v1, v206, v5
                                        ; kill: def $vgpr3 killed $sgpr0 killed $exec
	s_nop 2
	v_mul_lo_u32 v2, v1, v212
	v_mov_b32_e32 v1, 0
	v_dot4c_i32_i8_e32 v1, v207, v84
	v_dot4c_i32_i8_e32 v1, v209, v85
	;; [unrolled: 1-line block ×4, first 2 shown]
	v_mov_b32_e32 v86, 0
	v_mov_b32_e32 v87, 0
	s_nop 0
	v_mad_u64_u32 v[2:3], s[22:23], v1, v213, v[2:3]
	v_cvt_f32_i32_e32 v2, v2
	v_mul_f32_e32 v1, v208, v7
	v_fmac_f32_e32 v27, v1, v2
	ds_read2_b32 v[84:85], v0 offset0:168 offset1:200
	ds_read_b128 v[4:7], v168 offset:31488
	ds_read_b128 v[0:3], v168 offset:31504
	s_waitcnt lgkmcnt(1)
	v_dot4c_i32_i8_e32 v86, v170, v4
	v_dot4c_i32_i8_e32 v86, v171, v5
	s_waitcnt lgkmcnt(0)
	v_dot4c_i32_i8_e32 v87, v175, v0
	v_dot4c_i32_i8_e32 v86, v172, v6
	;; [unrolled: 1-line block ×6, first 2 shown]
	s_nop 0
	v_mul_lo_u32 v86, v86, v179
	s_nop 0
	v_mad_u64_u32 v[86:87], s[22:23], v87, v181, v[86:87]
	v_cvt_f32_i32_e32 v86, v86
	v_mul_f32_e32 v87, v174, v84
	v_fmac_f32_e32 v25, v87, v86
	v_mov_b32_e32 v86, 0
	v_dot4c_i32_i8_e32 v86, v180, v4
	v_mov_b32_e32 v87, 0
	v_dot4c_i32_i8_e32 v86, v182, v5
	v_dot4c_i32_i8_e32 v87, v185, v0
	;; [unrolled: 1-line block ×7, first 2 shown]
	s_nop 0
	v_mul_lo_u32 v86, v86, v190
	s_nop 0
	v_mad_u64_u32 v[86:87], s[22:23], v87, v192, v[86:87]
	v_cvt_f32_i32_e32 v86, v86
	v_mul_f32_e32 v87, v186, v84
	v_fmac_f32_e32 v23, v87, v86
	v_mov_b32_e32 v86, 0
	v_dot4c_i32_i8_e32 v86, v191, v4
	v_mov_b32_e32 v87, 0
	v_dot4c_i32_i8_e32 v86, v193, v5
	v_dot4c_i32_i8_e32 v87, v196, v0
	;; [unrolled: 1-line block ×7, first 2 shown]
	s_nop 0
	v_mul_lo_u32 v86, v86, v201
	s_nop 0
	v_mad_u64_u32 v[86:87], s[22:23], v87, v203, v[86:87]
	v_cvt_f32_i32_e32 v86, v86
	v_mul_f32_e32 v87, v197, v84
	v_fmac_f32_e32 v21, v87, v86
	v_mov_b32_e32 v86, 0
	v_dot4c_i32_i8_e32 v86, v202, v4
	v_dot4c_i32_i8_e32 v86, v204, v5
	v_mov_b32_e32 v5, 0
	v_dot4c_i32_i8_e32 v5, v207, v0
	v_dot4c_i32_i8_e32 v86, v205, v6
	;; [unrolled: 1-line block ×6, first 2 shown]
	s_nop 0
	v_mul_lo_u32 v4, v86, v212
	v_mov_b32_e32 v86, 0
	v_mad_u64_u32 v[0:1], s[22:23], v5, v213, v[4:5]
	v_cvt_f32_i32_e32 v0, v0
	v_mul_f32_e32 v1, v208, v84
	v_mov_b32_e32 v84, 0
	v_fmac_f32_e32 v19, v1, v0
	ds_read_b128 v[0:3], v168 offset:32512
	ds_read_b128 v[4:7], v168 offset:32528
	v_add_u32_e32 v168, 32, v168
	s_waitcnt lgkmcnt(1)
	v_dot4c_i32_i8_e32 v84, v170, v0
	v_dot4c_i32_i8_e32 v84, v171, v1
	s_waitcnt lgkmcnt(0)
	v_dot4c_i32_i8_e32 v86, v175, v4
	v_dot4c_i32_i8_e32 v84, v172, v2
	;; [unrolled: 1-line block ×6, first 2 shown]
	s_nop 0
	v_mul_lo_u32 v84, v84, v179
	s_nop 0
	v_mad_u64_u32 v[86:87], s[22:23], v86, v181, v[84:85]
	v_cvt_f32_i32_e32 v86, v86
	v_mul_f32_e32 v84, v174, v85
	v_fmac_f32_e32 v17, v84, v86
	v_mov_b32_e32 v84, 0
	v_dot4c_i32_i8_e32 v84, v180, v0
	v_mov_b32_e32 v86, 0
	v_dot4c_i32_i8_e32 v84, v182, v1
	v_dot4c_i32_i8_e32 v86, v185, v4
	;; [unrolled: 1-line block ×7, first 2 shown]
	s_nop 0
	v_mul_lo_u32 v84, v84, v190
	s_nop 0
	v_mad_u64_u32 v[86:87], s[22:23], v86, v192, v[84:85]
	v_cvt_f32_i32_e32 v86, v86
	v_mul_f32_e32 v84, v186, v85
	v_fmac_f32_e32 v15, v84, v86
	v_mov_b32_e32 v84, 0
	v_dot4c_i32_i8_e32 v84, v191, v0
	v_mov_b32_e32 v86, 0
	v_dot4c_i32_i8_e32 v84, v193, v1
	v_dot4c_i32_i8_e32 v86, v196, v4
	;; [unrolled: 1-line block ×7, first 2 shown]
	s_nop 0
	v_mul_lo_u32 v84, v84, v201
	s_nop 0
	v_mad_u64_u32 v[86:87], s[22:23], v86, v203, v[84:85]
	v_cvt_f32_i32_e32 v86, v86
	v_mul_f32_e32 v84, v197, v85
	v_fmac_f32_e32 v13, v84, v86
	v_mov_b32_e32 v84, 0
	v_dot4c_i32_i8_e32 v84, v202, v0
	v_dot4c_i32_i8_e32 v84, v204, v1
	v_mov_b32_e32 v1, 0
	v_dot4c_i32_i8_e32 v1, v207, v4
	v_dot4c_i32_i8_e32 v84, v205, v2
	;; [unrolled: 1-line block ×6, first 2 shown]
	s_nop 0
	v_mul_lo_u32 v0, v84, v212
	s_nop 0
	v_mad_u64_u32 v[0:1], s[22:23], v1, v213, v[0:1]
	v_cvt_f32_i32_e32 v0, v0
	v_mul_f32_e32 v1, v208, v85
	s_mov_b32 s22, s21
	v_fmac_f32_e32 v9, v1, v0
	s_cbranch_scc1 .LBB149_9
; %bb.10:                               ;   in Loop: Header=BB149_6 Depth=1
	s_or_b32 s19, s14, 1
	s_cmp_ge_i32 s19, s4
	s_barrier
	s_cbranch_scc1 .LBB149_5
; %bb.11:                               ;   in Loop: Header=BB149_6 Depth=1
	v_add_u32_e32 v170, s18, v142
	v_add_u32_e32 v0, v170, v109
	;; [unrolled: 1-line block ×6, first 2 shown]
	v_mad_i64_i32 v[0:1], s[20:21], v0, 36, v[80:81]
	v_mad_i64_i32 v[2:3], s[20:21], v2, 36, v[80:81]
	;; [unrolled: 1-line block ×4, first 2 shown]
	v_add_u32_e32 v84, v170, v119
	v_add_u32_e32 v86, v170, v121
	;; [unrolled: 1-line block ×4, first 2 shown]
	v_mad_u64_u32 v[172:173], s[20:21], v172, 36, s[2:3]
	v_mad_i64_i32 v[84:85], s[20:21], v84, 36, v[80:81]
	v_mad_i64_i32 v[86:87], s[20:21], v86, 36, v[80:81]
	;; [unrolled: 1-line block ×4, first 2 shown]
	global_load_dword v172, v[172:173], off
	s_nop 0
	global_load_dword v0, v[0:1], off offset:4
	s_nop 0
	global_load_dword v1, v[2:3], off offset:4
	;; [unrolled: 2-line block ×3, first 2 shown]
	global_load_dword v3, v[6:7], off offset:4
	s_nop 0
	global_load_dword v4, v[84:85], off offset:4
	global_load_dword v5, v[86:87], off offset:4
	;; [unrolled: 1-line block ×4, first 2 shown]
	s_mov_b32 s19, 16
	s_mov_b32 s22, 14
	;; [unrolled: 1-line block ×3, first 2 shown]
	v_mov_b32_e32 v168, v153
	v_mov_b32_e32 v169, v152
	s_waitcnt vmcnt(8)
	v_cvt_f32_f16_e32 v84, v172
	s_waitcnt vmcnt(7)
	ds_write_b32 v111, v0
	s_waitcnt vmcnt(6)
	ds_write_b32 v113, v1
	s_waitcnt vmcnt(5)
	ds_write_b32 v115, v2
	s_waitcnt vmcnt(4)
	ds_write_b32 v118, v3
	s_waitcnt vmcnt(3)
	ds_write_b32 v120, v4
	s_waitcnt vmcnt(2)
	ds_write_b32 v122, v5
	s_waitcnt vmcnt(1)
	ds_write_b32 v124, v6
	s_waitcnt vmcnt(0)
	ds_write_b32 v127, v7
	ds_write_b32 v107, v84
	s_waitcnt lgkmcnt(0)
	s_barrier
.LBB149_12:                             ;   Parent Loop BB149_6 Depth=1
                                        ; =>  This Inner Loop Header: Depth=2
	s_add_i32 s21, s22, 2
	s_lshr_b32 s26, s21, 4
	s_and_b32 s25, s21, 0x3ffffff8
	s_lshl_b32 s24, s26, 3
	s_lshl_b32 s25, s25, 2
	v_add_lshl_u32 v180, v129, s24, 2
	v_add_u32_e32 v87, s25, v130
	v_add_u32_e32 v172, 0x4200, v180
	ds_read2_b32 v[84:85], v169 offset1:32
	ds_read_b128 v[4:7], v168
	ds_read_b128 v[0:3], v168 offset:16
	ds_read2_b32 v[170:171], v87 offset1:1
	ds_read2_b32 v[172:173], v172 offset1:1
	s_and_b32 s23, s19, -16
	v_add_u32_e32 v86, s23, v128
	s_add_i32 s23, s22, -14
	s_waitcnt lgkmcnt(1)
	v_ashrrev_i32_e32 v170, s23, v170
	s_waitcnt lgkmcnt(0)
	v_ashrrev_i32_e32 v172, s20, v172
	v_lshlrev_b32_e32 v172, 2, v172
	v_and_b32_e32 v174, 0x3030303, v170
	v_bfe_u32 v170, v170, 24, 2
	v_and_b32_e32 v172, 0x4040404, v172
	v_ashrrev_i32_e32 v173, s20, v173
	v_sub_u16_e32 v175, v174, v172
	v_sub_u16_sdwa v176, v174, v172 dst_sel:BYTE_1 dst_unused:UNUSED_PAD src0_sel:BYTE_1 src1_sel:BYTE_1
	v_sub_u16_sdwa v170, v170, v172 dst_sel:BYTE_1 dst_unused:UNUSED_PAD src0_sel:DWORD src1_sel:BYTE_3
	v_sub_u16_sdwa v172, v174, v172 dst_sel:DWORD dst_unused:UNUSED_PAD src0_sel:WORD_1 src1_sel:WORD_1
	v_ashrrev_i32_e32 v171, s23, v171
	v_lshlrev_b32_e32 v173, 2, v173
	v_or_b32_sdwa v175, v175, v176 dst_sel:DWORD dst_unused:UNUSED_PAD src0_sel:BYTE_0 src1_sel:DWORD
	v_or_b32_sdwa v170, v172, v170 dst_sel:WORD_1 dst_unused:UNUSED_PAD src0_sel:BYTE_0 src1_sel:DWORD
	v_and_b32_e32 v172, 0x3030303, v171
	v_bfe_u32 v171, v171, 24, 2
	v_and_b32_e32 v173, 0x4040404, v173
	v_or_b32_sdwa v170, v175, v170 dst_sel:DWORD dst_unused:UNUSED_PAD src0_sel:WORD_0 src1_sel:DWORD
	v_sub_u16_e32 v174, v172, v173
	v_sub_u16_sdwa v175, v172, v173 dst_sel:BYTE_1 dst_unused:UNUSED_PAD src0_sel:BYTE_1 src1_sel:BYTE_1
	v_sub_u16_sdwa v171, v171, v173 dst_sel:BYTE_1 dst_unused:UNUSED_PAD src0_sel:DWORD src1_sel:BYTE_3
	v_sub_u16_sdwa v172, v172, v173 dst_sel:DWORD dst_unused:UNUSED_PAD src0_sel:WORD_1 src1_sel:WORD_1
	v_or_b32_sdwa v174, v174, v175 dst_sel:DWORD dst_unused:UNUSED_PAD src0_sel:BYTE_0 src1_sel:DWORD
	v_or_b32_sdwa v171, v172, v171 dst_sel:WORD_1 dst_unused:UNUSED_PAD src0_sel:BYTE_0 src1_sel:DWORD
	ds_read2_b32 v[172:173], v87 offset0:2 offset1:3
	v_or_b32_sdwa v171, v174, v171 dst_sel:DWORD dst_unused:UNUSED_PAD src0_sel:WORD_0 src1_sel:DWORD
	v_add_u32_e32 v174, 0x4208, v180
	ds_read2_b32 v[174:175], v174 offset1:1
	s_lshl_b32 s26, s26, 2
	s_waitcnt lgkmcnt(1)
	v_ashrrev_i32_e32 v172, s23, v172
	v_and_b32_e32 v176, 0x3030303, v172
	v_bfe_u32 v172, v172, 24, 2
	s_waitcnt lgkmcnt(0)
	v_ashrrev_i32_e32 v174, s20, v174
	v_lshlrev_b32_e32 v174, 2, v174
	v_and_b32_e32 v174, 0x4040404, v174
	v_ashrrev_i32_e32 v175, s20, v175
	v_sub_u16_e32 v177, v176, v174
	v_sub_u16_sdwa v178, v176, v174 dst_sel:BYTE_1 dst_unused:UNUSED_PAD src0_sel:BYTE_1 src1_sel:BYTE_1
	v_sub_u16_sdwa v172, v172, v174 dst_sel:BYTE_1 dst_unused:UNUSED_PAD src0_sel:DWORD src1_sel:BYTE_3
	v_sub_u16_sdwa v174, v176, v174 dst_sel:DWORD dst_unused:UNUSED_PAD src0_sel:WORD_1 src1_sel:WORD_1
	v_ashrrev_i32_e32 v173, s23, v173
	v_lshlrev_b32_e32 v175, 2, v175
	v_or_b32_sdwa v177, v177, v178 dst_sel:DWORD dst_unused:UNUSED_PAD src0_sel:BYTE_0 src1_sel:DWORD
	v_or_b32_sdwa v172, v174, v172 dst_sel:WORD_1 dst_unused:UNUSED_PAD src0_sel:BYTE_0 src1_sel:DWORD
	v_and_b32_e32 v174, 0x3030303, v173
	v_bfe_u32 v173, v173, 24, 2
	v_and_b32_e32 v175, 0x4040404, v175
	v_or_b32_sdwa v172, v177, v172 dst_sel:DWORD dst_unused:UNUSED_PAD src0_sel:WORD_0 src1_sel:DWORD
	v_sub_u16_e32 v176, v174, v175
	v_sub_u16_sdwa v177, v174, v175 dst_sel:BYTE_1 dst_unused:UNUSED_PAD src0_sel:BYTE_1 src1_sel:BYTE_1
	v_sub_u16_sdwa v173, v173, v175 dst_sel:BYTE_1 dst_unused:UNUSED_PAD src0_sel:DWORD src1_sel:BYTE_3
	v_sub_u16_sdwa v174, v174, v175 dst_sel:DWORD dst_unused:UNUSED_PAD src0_sel:WORD_1 src1_sel:WORD_1
	v_or_b32_sdwa v176, v176, v177 dst_sel:DWORD dst_unused:UNUSED_PAD src0_sel:BYTE_0 src1_sel:DWORD
	v_or_b32_sdwa v173, v174, v173 dst_sel:WORD_1 dst_unused:UNUSED_PAD src0_sel:BYTE_0 src1_sel:DWORD
	v_add_lshl_u32 v190, v132, s24, 2
	v_or_b32_sdwa v173, v176, v173 dst_sel:DWORD dst_unused:UNUSED_PAD src0_sel:WORD_0 src1_sel:DWORD
	ds_read2_b32 v[176:177], v87 offset0:4 offset1:5
	v_add_u32_e32 v184, 0x4200, v190
	v_add_lshl_u32 v212, v138, s24, 2
	v_add_lshl_u32 v202, v135, s24, 2
	v_add_u32_e32 v206, 0x4200, v212
	s_waitcnt lgkmcnt(0)
	v_ashrrev_i32_e32 v174, s23, v176
	v_add_u32_e32 v176, 0x4210, v180
	ds_read2_b32 v[178:179], v176 offset1:1
	v_and_b32_e32 v175, 0x3030303, v174
	v_bfe_u32 v174, v174, 24, 2
	s_add_i32 s19, s19, 2
	ds_read2_b32 v[184:185], v184 offset1:1
	s_waitcnt lgkmcnt(1)
	v_ashrrev_i32_e32 v176, s20, v178
	v_lshlrev_b32_e32 v176, 2, v176
	v_and_b32_e32 v176, 0x4040404, v176
	v_sub_u16_e32 v178, v175, v176
	v_sub_u16_sdwa v181, v175, v176 dst_sel:BYTE_1 dst_unused:UNUSED_PAD src0_sel:BYTE_1 src1_sel:BYTE_1
	v_sub_u16_sdwa v174, v174, v176 dst_sel:BYTE_1 dst_unused:UNUSED_PAD src0_sel:DWORD src1_sel:BYTE_3
	v_sub_u16_sdwa v175, v175, v176 dst_sel:DWORD dst_unused:UNUSED_PAD src0_sel:WORD_1 src1_sel:WORD_1
	v_or_b32_sdwa v178, v178, v181 dst_sel:DWORD dst_unused:UNUSED_PAD src0_sel:BYTE_0 src1_sel:DWORD
	v_or_b32_sdwa v174, v175, v174 dst_sel:WORD_1 dst_unused:UNUSED_PAD src0_sel:BYTE_0 src1_sel:DWORD
	s_waitcnt lgkmcnt(0)
	v_ashrrev_i32_e32 v184, s20, v184
	v_or_b32_sdwa v175, v178, v174 dst_sel:DWORD dst_unused:UNUSED_PAD src0_sel:WORD_0 src1_sel:DWORD
	v_ashrrev_i32_e32 v174, s23, v177
	v_ashrrev_i32_e32 v177, s20, v179
	v_lshlrev_b32_e32 v177, 2, v177
	v_and_b32_e32 v176, 0x3030303, v174
	v_bfe_u32 v174, v174, 24, 2
	v_and_b32_e32 v177, 0x4040404, v177
	v_sub_u16_e32 v178, v176, v177
	v_sub_u16_sdwa v179, v176, v177 dst_sel:BYTE_1 dst_unused:UNUSED_PAD src0_sel:BYTE_1 src1_sel:BYTE_1
	v_sub_u16_sdwa v174, v174, v177 dst_sel:BYTE_1 dst_unused:UNUSED_PAD src0_sel:DWORD src1_sel:BYTE_3
	v_sub_u16_sdwa v176, v176, v177 dst_sel:DWORD dst_unused:UNUSED_PAD src0_sel:WORD_1 src1_sel:WORD_1
	v_or_b32_sdwa v178, v178, v179 dst_sel:DWORD dst_unused:UNUSED_PAD src0_sel:BYTE_0 src1_sel:DWORD
	v_or_b32_sdwa v174, v176, v174 dst_sel:WORD_1 dst_unused:UNUSED_PAD src0_sel:BYTE_0 src1_sel:DWORD
	v_add_u32_e32 v177, 0x4218, v180
	v_or_b32_sdwa v176, v178, v174 dst_sel:DWORD dst_unused:UNUSED_PAD src0_sel:WORD_0 src1_sel:DWORD
	ds_read2_b32 v[178:179], v87 offset0:6 offset1:7
	ds_read2_b32 v[180:181], v177 offset1:1
	v_lshlrev_b32_e32 v184, 2, v184
	v_and_b32_e32 v184, 0x4040404, v184
	ds_read2_b32 v[206:207], v206 offset1:1
	s_waitcnt lgkmcnt(2)
	v_ashrrev_i32_e32 v87, s23, v178
	s_waitcnt lgkmcnt(1)
	v_ashrrev_i32_e32 v177, s20, v180
	v_lshlrev_b32_e32 v177, 2, v177
	v_and_b32_e32 v174, 0x3030303, v87
	v_bfe_u32 v87, v87, 24, 2
	v_and_b32_e32 v177, 0x4040404, v177
	v_sub_u16_e32 v178, v174, v177
	v_sub_u16_sdwa v180, v174, v177 dst_sel:BYTE_1 dst_unused:UNUSED_PAD src0_sel:BYTE_1 src1_sel:BYTE_1
	v_sub_u16_sdwa v87, v87, v177 dst_sel:BYTE_1 dst_unused:UNUSED_PAD src0_sel:DWORD src1_sel:BYTE_3
	v_sub_u16_sdwa v174, v174, v177 dst_sel:DWORD dst_unused:UNUSED_PAD src0_sel:WORD_1 src1_sel:WORD_1
	v_or_b32_sdwa v178, v178, v180 dst_sel:DWORD dst_unused:UNUSED_PAD src0_sel:BYTE_0 src1_sel:DWORD
	v_or_b32_sdwa v87, v174, v87 dst_sel:WORD_1 dst_unused:UNUSED_PAD src0_sel:BYTE_0 src1_sel:DWORD
	s_waitcnt lgkmcnt(0)
	v_ashrrev_i32_e32 v206, s20, v206
	v_or_b32_sdwa v177, v178, v87 dst_sel:DWORD dst_unused:UNUSED_PAD src0_sel:WORD_0 src1_sel:DWORD
	v_ashrrev_i32_e32 v178, s20, v181
	v_ashrrev_i32_e32 v87, s23, v179
	v_lshlrev_b32_e32 v178, 2, v178
	v_and_b32_e32 v174, 0x3030303, v87
	v_bfe_u32 v87, v87, 24, 2
	v_and_b32_e32 v178, 0x4040404, v178
	v_sub_u16_e32 v179, v174, v178
	v_sub_u16_sdwa v180, v174, v178 dst_sel:BYTE_1 dst_unused:UNUSED_PAD src0_sel:BYTE_1 src1_sel:BYTE_1
	v_sub_u16_sdwa v87, v87, v178 dst_sel:BYTE_1 dst_unused:UNUSED_PAD src0_sel:DWORD src1_sel:BYTE_3
	v_sub_u16_sdwa v174, v174, v178 dst_sel:DWORD dst_unused:UNUSED_PAD src0_sel:WORD_1 src1_sel:WORD_1
	v_or_b32_sdwa v179, v179, v180 dst_sel:DWORD dst_unused:UNUSED_PAD src0_sel:BYTE_0 src1_sel:DWORD
	v_or_b32_sdwa v87, v174, v87 dst_sel:WORD_1 dst_unused:UNUSED_PAD src0_sel:BYTE_0 src1_sel:DWORD
	v_add_u32_e32 v174, s26, v131
	v_or_b32_sdwa v178, v179, v87 dst_sel:DWORD dst_unused:UNUSED_PAD src0_sel:WORD_0 src1_sel:DWORD
	v_add3_u32 v87, v144, s22, v86
	ds_read_b32 v174, v174
	ds_read_u16 v87, v87 offset:33522
	v_mov_b32_e32 v180, 0
	v_dot4c_i32_i8_e32 v180, v170, v4
	v_dot4c_i32_i8_e32 v180, v171, v5
	;; [unrolled: 1-line block ×3, first 2 shown]
	s_waitcnt lgkmcnt(0)
	v_lshrrev_b16_e32 v181, 8, v87
	v_bfe_i32 v179, v87, 0, 8
	v_mov_b32_e32 v87, 0
	v_dot4c_i32_i8_e32 v87, v175, v0
	v_dot4c_i32_i8_e32 v87, v176, v1
	;; [unrolled: 1-line block ×5, first 2 shown]
	v_bfe_i32 v181, v181, 0, 8
	v_mul_lo_u32 v180, v180, v179
	v_lshlrev_b32_e32 v206, 2, v206
	v_mad_u64_u32 v[182:183], s[28:29], v87, v181, v[180:181]
	v_cvt_f32_i32_e32 v180, v182
	v_mul_f32_e32 v87, v84, v174
	v_and_b32_e32 v206, 0x4040404, v206
	v_fmac_f32_e32 v125, v87, v180
	v_add_u32_e32 v87, s25, v133
	ds_read2_b32 v[182:183], v87 offset1:1
	s_waitcnt lgkmcnt(0)
	v_ashrrev_i32_e32 v180, s23, v182
	v_and_b32_e32 v182, 0x3030303, v180
	v_bfe_u32 v180, v180, 24, 2
	v_sub_u16_e32 v186, v182, v184
	v_sub_u16_sdwa v187, v182, v184 dst_sel:BYTE_1 dst_unused:UNUSED_PAD src0_sel:BYTE_1 src1_sel:BYTE_1
	v_sub_u16_sdwa v180, v180, v184 dst_sel:BYTE_1 dst_unused:UNUSED_PAD src0_sel:DWORD src1_sel:BYTE_3
	v_sub_u16_sdwa v182, v182, v184 dst_sel:DWORD dst_unused:UNUSED_PAD src0_sel:WORD_1 src1_sel:WORD_1
	v_ashrrev_i32_e32 v184, s20, v185
	v_or_b32_sdwa v180, v182, v180 dst_sel:WORD_1 dst_unused:UNUSED_PAD src0_sel:BYTE_0 src1_sel:DWORD
	v_ashrrev_i32_e32 v182, s23, v183
	v_lshlrev_b32_e32 v184, 2, v184
	v_or_b32_sdwa v186, v186, v187 dst_sel:DWORD dst_unused:UNUSED_PAD src0_sel:BYTE_0 src1_sel:DWORD
	v_and_b32_e32 v183, 0x3030303, v182
	v_bfe_u32 v182, v182, 24, 2
	v_and_b32_e32 v184, 0x4040404, v184
	v_or_b32_sdwa v180, v186, v180 dst_sel:DWORD dst_unused:UNUSED_PAD src0_sel:WORD_0 src1_sel:DWORD
	v_sub_u16_e32 v185, v183, v184
	v_sub_u16_sdwa v186, v183, v184 dst_sel:BYTE_1 dst_unused:UNUSED_PAD src0_sel:BYTE_1 src1_sel:BYTE_1
	v_sub_u16_sdwa v182, v182, v184 dst_sel:BYTE_1 dst_unused:UNUSED_PAD src0_sel:DWORD src1_sel:BYTE_3
	v_sub_u16_sdwa v183, v183, v184 dst_sel:DWORD dst_unused:UNUSED_PAD src0_sel:WORD_1 src1_sel:WORD_1
	v_or_b32_sdwa v185, v185, v186 dst_sel:DWORD dst_unused:UNUSED_PAD src0_sel:BYTE_0 src1_sel:DWORD
	v_or_b32_sdwa v182, v183, v182 dst_sel:WORD_1 dst_unused:UNUSED_PAD src0_sel:BYTE_0 src1_sel:DWORD
	v_add_u32_e32 v186, 0x4208, v190
	v_or_b32_sdwa v182, v185, v182 dst_sel:DWORD dst_unused:UNUSED_PAD src0_sel:WORD_0 src1_sel:DWORD
	ds_read2_b32 v[184:185], v87 offset0:2 offset1:3
	ds_read2_b32 v[186:187], v186 offset1:1
	s_waitcnt lgkmcnt(1)
	v_ashrrev_i32_e32 v183, s23, v184
	s_waitcnt lgkmcnt(0)
	v_ashrrev_i32_e32 v186, s20, v186
	v_lshlrev_b32_e32 v186, 2, v186
	v_and_b32_e32 v184, 0x3030303, v183
	v_bfe_u32 v183, v183, 24, 2
	v_and_b32_e32 v186, 0x4040404, v186
	v_sub_u16_e32 v188, v184, v186
	v_sub_u16_sdwa v189, v184, v186 dst_sel:BYTE_1 dst_unused:UNUSED_PAD src0_sel:BYTE_1 src1_sel:BYTE_1
	v_sub_u16_sdwa v183, v183, v186 dst_sel:BYTE_1 dst_unused:UNUSED_PAD src0_sel:DWORD src1_sel:BYTE_3
	v_sub_u16_sdwa v184, v184, v186 dst_sel:DWORD dst_unused:UNUSED_PAD src0_sel:WORD_1 src1_sel:WORD_1
	v_ashrrev_i32_e32 v186, s20, v187
	v_or_b32_sdwa v183, v184, v183 dst_sel:WORD_1 dst_unused:UNUSED_PAD src0_sel:BYTE_0 src1_sel:DWORD
	v_ashrrev_i32_e32 v184, s23, v185
	v_lshlrev_b32_e32 v186, 2, v186
	v_or_b32_sdwa v188, v188, v189 dst_sel:DWORD dst_unused:UNUSED_PAD src0_sel:BYTE_0 src1_sel:DWORD
	v_and_b32_e32 v185, 0x3030303, v184
	v_bfe_u32 v184, v184, 24, 2
	v_and_b32_e32 v186, 0x4040404, v186
	v_or_b32_sdwa v183, v188, v183 dst_sel:DWORD dst_unused:UNUSED_PAD src0_sel:WORD_0 src1_sel:DWORD
	v_sub_u16_e32 v187, v185, v186
	v_sub_u16_sdwa v188, v185, v186 dst_sel:BYTE_1 dst_unused:UNUSED_PAD src0_sel:BYTE_1 src1_sel:BYTE_1
	v_sub_u16_sdwa v184, v184, v186 dst_sel:BYTE_1 dst_unused:UNUSED_PAD src0_sel:DWORD src1_sel:BYTE_3
	v_sub_u16_sdwa v185, v185, v186 dst_sel:DWORD dst_unused:UNUSED_PAD src0_sel:WORD_1 src1_sel:WORD_1
	v_or_b32_sdwa v187, v187, v188 dst_sel:DWORD dst_unused:UNUSED_PAD src0_sel:BYTE_0 src1_sel:DWORD
	v_or_b32_sdwa v184, v185, v184 dst_sel:WORD_1 dst_unused:UNUSED_PAD src0_sel:BYTE_0 src1_sel:DWORD
	v_add_u32_e32 v188, 0x4210, v190
	v_or_b32_sdwa v184, v187, v184 dst_sel:DWORD dst_unused:UNUSED_PAD src0_sel:WORD_0 src1_sel:DWORD
	ds_read2_b32 v[186:187], v87 offset0:4 offset1:5
	ds_read2_b32 v[188:189], v188 offset1:1
	s_waitcnt lgkmcnt(1)
	v_ashrrev_i32_e32 v185, s23, v186
	s_waitcnt lgkmcnt(0)
	v_ashrrev_i32_e32 v188, s20, v188
	v_lshlrev_b32_e32 v188, 2, v188
	v_and_b32_e32 v186, 0x3030303, v185
	v_bfe_u32 v185, v185, 24, 2
	v_and_b32_e32 v188, 0x4040404, v188
	v_sub_u16_e32 v191, v186, v188
	v_sub_u16_sdwa v192, v186, v188 dst_sel:BYTE_1 dst_unused:UNUSED_PAD src0_sel:BYTE_1 src1_sel:BYTE_1
	v_sub_u16_sdwa v185, v185, v188 dst_sel:BYTE_1 dst_unused:UNUSED_PAD src0_sel:DWORD src1_sel:BYTE_3
	v_sub_u16_sdwa v186, v186, v188 dst_sel:DWORD dst_unused:UNUSED_PAD src0_sel:WORD_1 src1_sel:WORD_1
	v_ashrrev_i32_e32 v188, s20, v189
	v_or_b32_sdwa v185, v186, v185 dst_sel:WORD_1 dst_unused:UNUSED_PAD src0_sel:BYTE_0 src1_sel:DWORD
	v_ashrrev_i32_e32 v186, s23, v187
	v_lshlrev_b32_e32 v188, 2, v188
	v_or_b32_sdwa v191, v191, v192 dst_sel:DWORD dst_unused:UNUSED_PAD src0_sel:BYTE_0 src1_sel:DWORD
	v_and_b32_e32 v187, 0x3030303, v186
	v_bfe_u32 v186, v186, 24, 2
	v_and_b32_e32 v188, 0x4040404, v188
	v_or_b32_sdwa v185, v191, v185 dst_sel:DWORD dst_unused:UNUSED_PAD src0_sel:WORD_0 src1_sel:DWORD
	v_sub_u16_e32 v189, v187, v188
	v_sub_u16_sdwa v191, v187, v188 dst_sel:BYTE_1 dst_unused:UNUSED_PAD src0_sel:BYTE_1 src1_sel:BYTE_1
	v_sub_u16_sdwa v186, v186, v188 dst_sel:BYTE_1 dst_unused:UNUSED_PAD src0_sel:DWORD src1_sel:BYTE_3
	v_sub_u16_sdwa v187, v187, v188 dst_sel:DWORD dst_unused:UNUSED_PAD src0_sel:WORD_1 src1_sel:WORD_1
	v_or_b32_sdwa v189, v189, v191 dst_sel:DWORD dst_unused:UNUSED_PAD src0_sel:BYTE_0 src1_sel:DWORD
	v_or_b32_sdwa v186, v187, v186 dst_sel:WORD_1 dst_unused:UNUSED_PAD src0_sel:BYTE_0 src1_sel:DWORD
	s_nop 0
	v_or_b32_sdwa v187, v189, v186 dst_sel:DWORD dst_unused:UNUSED_PAD src0_sel:WORD_0 src1_sel:DWORD
	ds_read2_b32 v[188:189], v87 offset0:6 offset1:7
	s_waitcnt lgkmcnt(0)
	v_ashrrev_i32_e32 v87, s23, v188
	v_add_u32_e32 v188, 0x4218, v190
	ds_read2_b32 v[190:191], v188 offset1:1
	v_and_b32_e32 v186, 0x3030303, v87
	v_bfe_u32 v87, v87, 24, 2
	s_waitcnt lgkmcnt(0)
	v_ashrrev_i32_e32 v188, s20, v190
	v_lshlrev_b32_e32 v188, 2, v188
	v_and_b32_e32 v188, 0x4040404, v188
	v_sub_u16_e32 v190, v186, v188
	v_sub_u16_sdwa v192, v186, v188 dst_sel:BYTE_1 dst_unused:UNUSED_PAD src0_sel:BYTE_1 src1_sel:BYTE_1
	v_sub_u16_sdwa v87, v87, v188 dst_sel:BYTE_1 dst_unused:UNUSED_PAD src0_sel:DWORD src1_sel:BYTE_3
	v_sub_u16_sdwa v186, v186, v188 dst_sel:DWORD dst_unused:UNUSED_PAD src0_sel:WORD_1 src1_sel:WORD_1
	v_or_b32_sdwa v190, v190, v192 dst_sel:DWORD dst_unused:UNUSED_PAD src0_sel:BYTE_0 src1_sel:DWORD
	v_or_b32_sdwa v87, v186, v87 dst_sel:WORD_1 dst_unused:UNUSED_PAD src0_sel:BYTE_0 src1_sel:DWORD
	s_nop 0
	v_or_b32_sdwa v188, v190, v87 dst_sel:DWORD dst_unused:UNUSED_PAD src0_sel:WORD_0 src1_sel:DWORD
	v_ashrrev_i32_e32 v87, s23, v189
	v_ashrrev_i32_e32 v189, s20, v191
	v_lshlrev_b32_e32 v189, 2, v189
	v_and_b32_e32 v186, 0x3030303, v87
	v_bfe_u32 v87, v87, 24, 2
	v_and_b32_e32 v189, 0x4040404, v189
	v_sub_u16_e32 v190, v186, v189
	v_sub_u16_sdwa v191, v186, v189 dst_sel:BYTE_1 dst_unused:UNUSED_PAD src0_sel:BYTE_1 src1_sel:BYTE_1
	v_sub_u16_sdwa v87, v87, v189 dst_sel:BYTE_1 dst_unused:UNUSED_PAD src0_sel:DWORD src1_sel:BYTE_3
	v_sub_u16_sdwa v186, v186, v189 dst_sel:DWORD dst_unused:UNUSED_PAD src0_sel:WORD_1 src1_sel:WORD_1
	v_or_b32_sdwa v190, v190, v191 dst_sel:DWORD dst_unused:UNUSED_PAD src0_sel:BYTE_0 src1_sel:DWORD
	v_or_b32_sdwa v87, v186, v87 dst_sel:WORD_1 dst_unused:UNUSED_PAD src0_sel:BYTE_0 src1_sel:DWORD
	v_add_u32_e32 v186, s26, v134
	v_or_b32_sdwa v189, v190, v87 dst_sel:DWORD dst_unused:UNUSED_PAD src0_sel:WORD_0 src1_sel:DWORD
	v_add3_u32 v87, v146, s22, v86
	ds_read_b32 v186, v186
	ds_read_u16 v87, v87 offset:34546
	v_mov_b32_e32 v191, 0
	v_dot4c_i32_i8_e32 v191, v180, v4
	v_dot4c_i32_i8_e32 v191, v182, v5
	;; [unrolled: 1-line block ×3, first 2 shown]
	s_waitcnt lgkmcnt(0)
	v_lshrrev_b16_e32 v192, 8, v87
	v_bfe_i32 v190, v87, 0, 8
	v_mov_b32_e32 v87, 0
	v_dot4c_i32_i8_e32 v87, v185, v0
	v_dot4c_i32_i8_e32 v87, v187, v1
	;; [unrolled: 1-line block ×5, first 2 shown]
	v_bfe_i32 v192, v192, 0, 8
	v_mul_lo_u32 v194, v191, v190
	s_nop 0
	v_mad_u64_u32 v[194:195], s[28:29], v87, v192, v[194:195]
	v_cvt_f32_i32_e32 v191, v194
	v_mul_f32_e32 v87, v84, v186
	v_fmac_f32_e32 v116, v87, v191
	v_add_u32_e32 v87, s25, v136
	ds_read2_b32 v[194:195], v87 offset1:1
	s_waitcnt lgkmcnt(0)
	v_ashrrev_i32_e32 v191, s23, v194
	v_add_u32_e32 v194, 0x4200, v202
	ds_read2_b32 v[196:197], v194 offset1:1
	v_and_b32_e32 v193, 0x3030303, v191
	v_bfe_u32 v191, v191, 24, 2
	s_waitcnt lgkmcnt(0)
	v_ashrrev_i32_e32 v194, s20, v196
	v_lshlrev_b32_e32 v194, 2, v194
	v_and_b32_e32 v194, 0x4040404, v194
	v_sub_u16_e32 v196, v193, v194
	v_sub_u16_sdwa v198, v193, v194 dst_sel:BYTE_1 dst_unused:UNUSED_PAD src0_sel:BYTE_1 src1_sel:BYTE_1
	v_sub_u16_sdwa v191, v191, v194 dst_sel:BYTE_1 dst_unused:UNUSED_PAD src0_sel:DWORD src1_sel:BYTE_3
	v_sub_u16_sdwa v193, v193, v194 dst_sel:DWORD dst_unused:UNUSED_PAD src0_sel:WORD_1 src1_sel:WORD_1
	v_or_b32_sdwa v191, v193, v191 dst_sel:WORD_1 dst_unused:UNUSED_PAD src0_sel:BYTE_0 src1_sel:DWORD
	v_ashrrev_i32_e32 v193, s23, v195
	v_ashrrev_i32_e32 v195, s20, v197
	v_lshlrev_b32_e32 v195, 2, v195
	v_or_b32_sdwa v196, v196, v198 dst_sel:DWORD dst_unused:UNUSED_PAD src0_sel:BYTE_0 src1_sel:DWORD
	v_and_b32_e32 v194, 0x3030303, v193
	v_bfe_u32 v193, v193, 24, 2
	v_and_b32_e32 v195, 0x4040404, v195
	v_or_b32_sdwa v191, v196, v191 dst_sel:DWORD dst_unused:UNUSED_PAD src0_sel:WORD_0 src1_sel:DWORD
	v_sub_u16_e32 v196, v194, v195
	v_sub_u16_sdwa v197, v194, v195 dst_sel:BYTE_1 dst_unused:UNUSED_PAD src0_sel:BYTE_1 src1_sel:BYTE_1
	v_sub_u16_sdwa v193, v193, v195 dst_sel:BYTE_1 dst_unused:UNUSED_PAD src0_sel:DWORD src1_sel:BYTE_3
	v_sub_u16_sdwa v194, v194, v195 dst_sel:DWORD dst_unused:UNUSED_PAD src0_sel:WORD_1 src1_sel:WORD_1
	v_or_b32_sdwa v196, v196, v197 dst_sel:DWORD dst_unused:UNUSED_PAD src0_sel:BYTE_0 src1_sel:DWORD
	v_or_b32_sdwa v193, v194, v193 dst_sel:WORD_1 dst_unused:UNUSED_PAD src0_sel:BYTE_0 src1_sel:DWORD
	ds_read2_b32 v[194:195], v87 offset0:2 offset1:3
	v_or_b32_sdwa v193, v196, v193 dst_sel:DWORD dst_unused:UNUSED_PAD src0_sel:WORD_0 src1_sel:DWORD
	v_add_u32_e32 v196, 0x4208, v202
	ds_read2_b32 v[196:197], v196 offset1:1
	s_waitcnt lgkmcnt(1)
	v_ashrrev_i32_e32 v194, s23, v194
	v_and_b32_e32 v198, 0x3030303, v194
	v_bfe_u32 v194, v194, 24, 2
	s_waitcnt lgkmcnt(0)
	v_ashrrev_i32_e32 v196, s20, v196
	v_lshlrev_b32_e32 v196, 2, v196
	v_and_b32_e32 v196, 0x4040404, v196
	v_ashrrev_i32_e32 v197, s20, v197
	v_sub_u16_e32 v199, v198, v196
	v_sub_u16_sdwa v200, v198, v196 dst_sel:BYTE_1 dst_unused:UNUSED_PAD src0_sel:BYTE_1 src1_sel:BYTE_1
	v_sub_u16_sdwa v194, v194, v196 dst_sel:BYTE_1 dst_unused:UNUSED_PAD src0_sel:DWORD src1_sel:BYTE_3
	v_sub_u16_sdwa v196, v198, v196 dst_sel:DWORD dst_unused:UNUSED_PAD src0_sel:WORD_1 src1_sel:WORD_1
	v_ashrrev_i32_e32 v195, s23, v195
	v_lshlrev_b32_e32 v197, 2, v197
	v_or_b32_sdwa v199, v199, v200 dst_sel:DWORD dst_unused:UNUSED_PAD src0_sel:BYTE_0 src1_sel:DWORD
	v_or_b32_sdwa v194, v196, v194 dst_sel:WORD_1 dst_unused:UNUSED_PAD src0_sel:BYTE_0 src1_sel:DWORD
	v_and_b32_e32 v196, 0x3030303, v195
	v_bfe_u32 v195, v195, 24, 2
	v_and_b32_e32 v197, 0x4040404, v197
	v_or_b32_sdwa v194, v199, v194 dst_sel:DWORD dst_unused:UNUSED_PAD src0_sel:WORD_0 src1_sel:DWORD
	v_sub_u16_e32 v198, v196, v197
	v_sub_u16_sdwa v199, v196, v197 dst_sel:BYTE_1 dst_unused:UNUSED_PAD src0_sel:BYTE_1 src1_sel:BYTE_1
	v_sub_u16_sdwa v195, v195, v197 dst_sel:BYTE_1 dst_unused:UNUSED_PAD src0_sel:DWORD src1_sel:BYTE_3
	v_sub_u16_sdwa v196, v196, v197 dst_sel:DWORD dst_unused:UNUSED_PAD src0_sel:WORD_1 src1_sel:WORD_1
	v_or_b32_sdwa v198, v198, v199 dst_sel:DWORD dst_unused:UNUSED_PAD src0_sel:BYTE_0 src1_sel:DWORD
	v_or_b32_sdwa v195, v196, v195 dst_sel:WORD_1 dst_unused:UNUSED_PAD src0_sel:BYTE_0 src1_sel:DWORD
	ds_read2_b32 v[196:197], v87 offset0:4 offset1:5
	v_or_b32_sdwa v195, v198, v195 dst_sel:DWORD dst_unused:UNUSED_PAD src0_sel:WORD_0 src1_sel:DWORD
	v_add_u32_e32 v198, 0x4210, v202
	ds_read2_b32 v[198:199], v198 offset1:1
	s_waitcnt lgkmcnt(1)
	v_ashrrev_i32_e32 v196, s23, v196
	v_and_b32_e32 v200, 0x3030303, v196
	v_bfe_u32 v196, v196, 24, 2
	s_waitcnt lgkmcnt(0)
	v_ashrrev_i32_e32 v198, s20, v198
	v_lshlrev_b32_e32 v198, 2, v198
	v_and_b32_e32 v198, 0x4040404, v198
	v_ashrrev_i32_e32 v199, s20, v199
	v_sub_u16_e32 v201, v200, v198
	v_sub_u16_sdwa v203, v200, v198 dst_sel:BYTE_1 dst_unused:UNUSED_PAD src0_sel:BYTE_1 src1_sel:BYTE_1
	v_sub_u16_sdwa v196, v196, v198 dst_sel:BYTE_1 dst_unused:UNUSED_PAD src0_sel:DWORD src1_sel:BYTE_3
	v_sub_u16_sdwa v198, v200, v198 dst_sel:DWORD dst_unused:UNUSED_PAD src0_sel:WORD_1 src1_sel:WORD_1
	v_ashrrev_i32_e32 v197, s23, v197
	v_lshlrev_b32_e32 v199, 2, v199
	v_or_b32_sdwa v201, v201, v203 dst_sel:DWORD dst_unused:UNUSED_PAD src0_sel:BYTE_0 src1_sel:DWORD
	v_or_b32_sdwa v196, v198, v196 dst_sel:WORD_1 dst_unused:UNUSED_PAD src0_sel:BYTE_0 src1_sel:DWORD
	v_and_b32_e32 v198, 0x3030303, v197
	v_bfe_u32 v197, v197, 24, 2
	v_and_b32_e32 v199, 0x4040404, v199
	v_or_b32_sdwa v196, v201, v196 dst_sel:DWORD dst_unused:UNUSED_PAD src0_sel:WORD_0 src1_sel:DWORD
	v_sub_u16_e32 v200, v198, v199
	v_sub_u16_sdwa v201, v198, v199 dst_sel:BYTE_1 dst_unused:UNUSED_PAD src0_sel:BYTE_1 src1_sel:BYTE_1
	v_sub_u16_sdwa v197, v197, v199 dst_sel:BYTE_1 dst_unused:UNUSED_PAD src0_sel:DWORD src1_sel:BYTE_3
	v_sub_u16_sdwa v198, v198, v199 dst_sel:DWORD dst_unused:UNUSED_PAD src0_sel:WORD_1 src1_sel:WORD_1
	v_or_b32_sdwa v200, v200, v201 dst_sel:DWORD dst_unused:UNUSED_PAD src0_sel:BYTE_0 src1_sel:DWORD
	v_or_b32_sdwa v197, v198, v197 dst_sel:WORD_1 dst_unused:UNUSED_PAD src0_sel:BYTE_0 src1_sel:DWORD
	v_add_u32_e32 v199, 0x4218, v202
	v_or_b32_sdwa v198, v200, v197 dst_sel:DWORD dst_unused:UNUSED_PAD src0_sel:WORD_0 src1_sel:DWORD
	ds_read2_b32 v[200:201], v87 offset0:6 offset1:7
	ds_read2_b32 v[202:203], v199 offset1:1
	s_waitcnt lgkmcnt(1)
	v_ashrrev_i32_e32 v87, s23, v200
	s_waitcnt lgkmcnt(0)
	v_ashrrev_i32_e32 v199, s20, v202
	v_lshlrev_b32_e32 v199, 2, v199
	v_and_b32_e32 v197, 0x3030303, v87
	v_bfe_u32 v87, v87, 24, 2
	v_and_b32_e32 v199, 0x4040404, v199
	v_sub_u16_e32 v200, v197, v199
	v_sub_u16_sdwa v202, v197, v199 dst_sel:BYTE_1 dst_unused:UNUSED_PAD src0_sel:BYTE_1 src1_sel:BYTE_1
	v_sub_u16_sdwa v87, v87, v199 dst_sel:BYTE_1 dst_unused:UNUSED_PAD src0_sel:DWORD src1_sel:BYTE_3
	v_sub_u16_sdwa v197, v197, v199 dst_sel:DWORD dst_unused:UNUSED_PAD src0_sel:WORD_1 src1_sel:WORD_1
	v_or_b32_sdwa v200, v200, v202 dst_sel:DWORD dst_unused:UNUSED_PAD src0_sel:BYTE_0 src1_sel:DWORD
	v_or_b32_sdwa v87, v197, v87 dst_sel:WORD_1 dst_unused:UNUSED_PAD src0_sel:BYTE_0 src1_sel:DWORD
	s_nop 0
	v_or_b32_sdwa v199, v200, v87 dst_sel:DWORD dst_unused:UNUSED_PAD src0_sel:WORD_0 src1_sel:DWORD
	v_ashrrev_i32_e32 v200, s20, v203
	v_ashrrev_i32_e32 v87, s23, v201
	v_lshlrev_b32_e32 v200, 2, v200
	v_and_b32_e32 v197, 0x3030303, v87
	v_bfe_u32 v87, v87, 24, 2
	v_and_b32_e32 v200, 0x4040404, v200
	v_sub_u16_e32 v201, v197, v200
	v_sub_u16_sdwa v202, v197, v200 dst_sel:BYTE_1 dst_unused:UNUSED_PAD src0_sel:BYTE_1 src1_sel:BYTE_1
	v_sub_u16_sdwa v87, v87, v200 dst_sel:BYTE_1 dst_unused:UNUSED_PAD src0_sel:DWORD src1_sel:BYTE_3
	v_sub_u16_sdwa v197, v197, v200 dst_sel:DWORD dst_unused:UNUSED_PAD src0_sel:WORD_1 src1_sel:WORD_1
	v_or_b32_sdwa v201, v201, v202 dst_sel:DWORD dst_unused:UNUSED_PAD src0_sel:BYTE_0 src1_sel:DWORD
	v_or_b32_sdwa v87, v197, v87 dst_sel:WORD_1 dst_unused:UNUSED_PAD src0_sel:BYTE_0 src1_sel:DWORD
	v_add_u32_e32 v197, s26, v137
	v_or_b32_sdwa v200, v201, v87 dst_sel:DWORD dst_unused:UNUSED_PAD src0_sel:WORD_0 src1_sel:DWORD
	v_add3_u32 v87, v148, s22, v86
	ds_read_b32 v197, v197
	ds_read_u16 v87, v87 offset:35570
	v_mov_b32_e32 v202, 0
	v_dot4c_i32_i8_e32 v202, v191, v4
	v_dot4c_i32_i8_e32 v202, v193, v5
	;; [unrolled: 1-line block ×3, first 2 shown]
	s_waitcnt lgkmcnt(0)
	v_lshrrev_b16_e32 v203, 8, v87
	v_bfe_i32 v201, v87, 0, 8
	v_mov_b32_e32 v87, 0
	v_dot4c_i32_i8_e32 v87, v196, v0
	v_dot4c_i32_i8_e32 v87, v198, v1
	;; [unrolled: 1-line block ×5, first 2 shown]
	v_bfe_i32 v203, v203, 0, 8
	v_mul_lo_u32 v202, v202, v201
	v_add3_u32 v86, v150, s22, v86
	v_mad_u64_u32 v[204:205], s[28:29], v87, v203, v[202:203]
	v_cvt_f32_i32_e32 v202, v204
	v_mul_f32_e32 v87, v84, v197
	v_fmac_f32_e32 v108, v87, v202
	v_add_u32_e32 v87, s25, v139
	ds_read2_b32 v[204:205], v87 offset1:1
	s_waitcnt lgkmcnt(0)
	v_ashrrev_i32_e32 v202, s23, v204
	v_and_b32_e32 v204, 0x3030303, v202
	v_bfe_u32 v202, v202, 24, 2
	v_sub_u16_e32 v208, v204, v206
	v_sub_u16_sdwa v209, v204, v206 dst_sel:BYTE_1 dst_unused:UNUSED_PAD src0_sel:BYTE_1 src1_sel:BYTE_1
	v_sub_u16_sdwa v202, v202, v206 dst_sel:BYTE_1 dst_unused:UNUSED_PAD src0_sel:DWORD src1_sel:BYTE_3
	v_sub_u16_sdwa v204, v204, v206 dst_sel:DWORD dst_unused:UNUSED_PAD src0_sel:WORD_1 src1_sel:WORD_1
	v_ashrrev_i32_e32 v206, s20, v207
	v_or_b32_sdwa v202, v204, v202 dst_sel:WORD_1 dst_unused:UNUSED_PAD src0_sel:BYTE_0 src1_sel:DWORD
	v_ashrrev_i32_e32 v204, s23, v205
	v_lshlrev_b32_e32 v206, 2, v206
	v_or_b32_sdwa v208, v208, v209 dst_sel:DWORD dst_unused:UNUSED_PAD src0_sel:BYTE_0 src1_sel:DWORD
	v_and_b32_e32 v205, 0x3030303, v204
	v_bfe_u32 v204, v204, 24, 2
	v_and_b32_e32 v206, 0x4040404, v206
	v_or_b32_sdwa v202, v208, v202 dst_sel:DWORD dst_unused:UNUSED_PAD src0_sel:WORD_0 src1_sel:DWORD
	v_sub_u16_e32 v207, v205, v206
	v_sub_u16_sdwa v208, v205, v206 dst_sel:BYTE_1 dst_unused:UNUSED_PAD src0_sel:BYTE_1 src1_sel:BYTE_1
	v_sub_u16_sdwa v204, v204, v206 dst_sel:BYTE_1 dst_unused:UNUSED_PAD src0_sel:DWORD src1_sel:BYTE_3
	v_sub_u16_sdwa v205, v205, v206 dst_sel:DWORD dst_unused:UNUSED_PAD src0_sel:WORD_1 src1_sel:WORD_1
	v_or_b32_sdwa v207, v207, v208 dst_sel:DWORD dst_unused:UNUSED_PAD src0_sel:BYTE_0 src1_sel:DWORD
	v_or_b32_sdwa v204, v205, v204 dst_sel:WORD_1 dst_unused:UNUSED_PAD src0_sel:BYTE_0 src1_sel:DWORD
	v_add_u32_e32 v208, 0x4208, v212
	v_or_b32_sdwa v204, v207, v204 dst_sel:DWORD dst_unused:UNUSED_PAD src0_sel:WORD_0 src1_sel:DWORD
	ds_read2_b32 v[206:207], v87 offset0:2 offset1:3
	ds_read2_b32 v[208:209], v208 offset1:1
	s_waitcnt lgkmcnt(1)
	v_ashrrev_i32_e32 v205, s23, v206
	s_waitcnt lgkmcnt(0)
	v_ashrrev_i32_e32 v208, s20, v208
	v_lshlrev_b32_e32 v208, 2, v208
	v_and_b32_e32 v206, 0x3030303, v205
	v_bfe_u32 v205, v205, 24, 2
	v_and_b32_e32 v208, 0x4040404, v208
	v_sub_u16_e32 v210, v206, v208
	v_sub_u16_sdwa v211, v206, v208 dst_sel:BYTE_1 dst_unused:UNUSED_PAD src0_sel:BYTE_1 src1_sel:BYTE_1
	v_sub_u16_sdwa v205, v205, v208 dst_sel:BYTE_1 dst_unused:UNUSED_PAD src0_sel:DWORD src1_sel:BYTE_3
	v_sub_u16_sdwa v206, v206, v208 dst_sel:DWORD dst_unused:UNUSED_PAD src0_sel:WORD_1 src1_sel:WORD_1
	v_ashrrev_i32_e32 v208, s20, v209
	v_or_b32_sdwa v205, v206, v205 dst_sel:WORD_1 dst_unused:UNUSED_PAD src0_sel:BYTE_0 src1_sel:DWORD
	v_ashrrev_i32_e32 v206, s23, v207
	v_lshlrev_b32_e32 v208, 2, v208
	v_or_b32_sdwa v210, v210, v211 dst_sel:DWORD dst_unused:UNUSED_PAD src0_sel:BYTE_0 src1_sel:DWORD
	v_and_b32_e32 v207, 0x3030303, v206
	v_bfe_u32 v206, v206, 24, 2
	v_and_b32_e32 v208, 0x4040404, v208
	v_or_b32_sdwa v205, v210, v205 dst_sel:DWORD dst_unused:UNUSED_PAD src0_sel:WORD_0 src1_sel:DWORD
	v_sub_u16_e32 v209, v207, v208
	v_sub_u16_sdwa v210, v207, v208 dst_sel:BYTE_1 dst_unused:UNUSED_PAD src0_sel:BYTE_1 src1_sel:BYTE_1
	v_sub_u16_sdwa v206, v206, v208 dst_sel:BYTE_1 dst_unused:UNUSED_PAD src0_sel:DWORD src1_sel:BYTE_3
	v_sub_u16_sdwa v207, v207, v208 dst_sel:DWORD dst_unused:UNUSED_PAD src0_sel:WORD_1 src1_sel:WORD_1
	v_or_b32_sdwa v209, v209, v210 dst_sel:DWORD dst_unused:UNUSED_PAD src0_sel:BYTE_0 src1_sel:DWORD
	v_or_b32_sdwa v206, v207, v206 dst_sel:WORD_1 dst_unused:UNUSED_PAD src0_sel:BYTE_0 src1_sel:DWORD
	v_add_u32_e32 v210, 0x4210, v212
	v_or_b32_sdwa v206, v209, v206 dst_sel:DWORD dst_unused:UNUSED_PAD src0_sel:WORD_0 src1_sel:DWORD
	ds_read2_b32 v[208:209], v87 offset0:4 offset1:5
	ds_read2_b32 v[210:211], v210 offset1:1
	s_waitcnt lgkmcnt(1)
	v_ashrrev_i32_e32 v207, s23, v208
	s_waitcnt lgkmcnt(0)
	v_ashrrev_i32_e32 v210, s20, v210
	v_lshlrev_b32_e32 v210, 2, v210
	v_and_b32_e32 v208, 0x3030303, v207
	v_bfe_u32 v207, v207, 24, 2
	v_and_b32_e32 v210, 0x4040404, v210
	v_sub_u16_e32 v213, v208, v210
	v_sub_u16_sdwa v214, v208, v210 dst_sel:BYTE_1 dst_unused:UNUSED_PAD src0_sel:BYTE_1 src1_sel:BYTE_1
	v_sub_u16_sdwa v207, v207, v210 dst_sel:BYTE_1 dst_unused:UNUSED_PAD src0_sel:DWORD src1_sel:BYTE_3
	v_sub_u16_sdwa v208, v208, v210 dst_sel:DWORD dst_unused:UNUSED_PAD src0_sel:WORD_1 src1_sel:WORD_1
	v_ashrrev_i32_e32 v210, s20, v211
	v_or_b32_sdwa v207, v208, v207 dst_sel:WORD_1 dst_unused:UNUSED_PAD src0_sel:BYTE_0 src1_sel:DWORD
	v_ashrrev_i32_e32 v208, s23, v209
	v_lshlrev_b32_e32 v210, 2, v210
	v_or_b32_sdwa v213, v213, v214 dst_sel:DWORD dst_unused:UNUSED_PAD src0_sel:BYTE_0 src1_sel:DWORD
	v_and_b32_e32 v209, 0x3030303, v208
	v_bfe_u32 v208, v208, 24, 2
	v_and_b32_e32 v210, 0x4040404, v210
	v_or_b32_sdwa v207, v213, v207 dst_sel:DWORD dst_unused:UNUSED_PAD src0_sel:WORD_0 src1_sel:DWORD
	v_sub_u16_e32 v211, v209, v210
	v_sub_u16_sdwa v213, v209, v210 dst_sel:BYTE_1 dst_unused:UNUSED_PAD src0_sel:BYTE_1 src1_sel:BYTE_1
	v_sub_u16_sdwa v208, v208, v210 dst_sel:BYTE_1 dst_unused:UNUSED_PAD src0_sel:DWORD src1_sel:BYTE_3
	v_sub_u16_sdwa v209, v209, v210 dst_sel:DWORD dst_unused:UNUSED_PAD src0_sel:WORD_1 src1_sel:WORD_1
	v_or_b32_sdwa v211, v211, v213 dst_sel:DWORD dst_unused:UNUSED_PAD src0_sel:BYTE_0 src1_sel:DWORD
	v_or_b32_sdwa v208, v209, v208 dst_sel:WORD_1 dst_unused:UNUSED_PAD src0_sel:BYTE_0 src1_sel:DWORD
	s_nop 0
	v_or_b32_sdwa v209, v211, v208 dst_sel:DWORD dst_unused:UNUSED_PAD src0_sel:WORD_0 src1_sel:DWORD
	ds_read2_b32 v[210:211], v87 offset0:6 offset1:7
	s_waitcnt lgkmcnt(0)
	v_ashrrev_i32_e32 v87, s23, v210
	v_add_u32_e32 v210, 0x4218, v212
	ds_read2_b32 v[212:213], v210 offset1:1
	v_and_b32_e32 v208, 0x3030303, v87
	v_bfe_u32 v87, v87, 24, 2
	s_waitcnt lgkmcnt(0)
	v_ashrrev_i32_e32 v210, s20, v212
	v_lshlrev_b32_e32 v210, 2, v210
	v_and_b32_e32 v210, 0x4040404, v210
	v_sub_u16_e32 v212, v208, v210
	v_sub_u16_sdwa v214, v208, v210 dst_sel:BYTE_1 dst_unused:UNUSED_PAD src0_sel:BYTE_1 src1_sel:BYTE_1
	v_sub_u16_sdwa v87, v87, v210 dst_sel:BYTE_1 dst_unused:UNUSED_PAD src0_sel:DWORD src1_sel:BYTE_3
	v_sub_u16_sdwa v208, v208, v210 dst_sel:DWORD dst_unused:UNUSED_PAD src0_sel:WORD_1 src1_sel:WORD_1
	v_or_b32_sdwa v212, v212, v214 dst_sel:DWORD dst_unused:UNUSED_PAD src0_sel:BYTE_0 src1_sel:DWORD
	v_or_b32_sdwa v87, v208, v87 dst_sel:WORD_1 dst_unused:UNUSED_PAD src0_sel:BYTE_0 src1_sel:DWORD
	s_nop 0
	v_or_b32_sdwa v210, v212, v87 dst_sel:DWORD dst_unused:UNUSED_PAD src0_sel:WORD_0 src1_sel:DWORD
	v_ashrrev_i32_e32 v87, s23, v211
	v_ashrrev_i32_e32 v211, s20, v213
	v_lshlrev_b32_e32 v211, 2, v211
	v_and_b32_e32 v208, 0x3030303, v87
	v_bfe_u32 v87, v87, 24, 2
	v_and_b32_e32 v211, 0x4040404, v211
	v_sub_u16_e32 v212, v208, v211
	v_sub_u16_sdwa v213, v208, v211 dst_sel:BYTE_1 dst_unused:UNUSED_PAD src0_sel:BYTE_1 src1_sel:BYTE_1
	v_sub_u16_sdwa v87, v87, v211 dst_sel:BYTE_1 dst_unused:UNUSED_PAD src0_sel:DWORD src1_sel:BYTE_3
	v_sub_u16_sdwa v208, v208, v211 dst_sel:DWORD dst_unused:UNUSED_PAD src0_sel:WORD_1 src1_sel:WORD_1
	v_or_b32_sdwa v212, v212, v213 dst_sel:DWORD dst_unused:UNUSED_PAD src0_sel:BYTE_0 src1_sel:DWORD
	v_or_b32_sdwa v87, v208, v87 dst_sel:WORD_1 dst_unused:UNUSED_PAD src0_sel:BYTE_0 src1_sel:DWORD
	s_add_i32 s20, s20, 1
	v_or_b32_sdwa v211, v212, v87 dst_sel:DWORD dst_unused:UNUSED_PAD src0_sel:WORD_0 src1_sel:DWORD
	v_add_u32_e32 v87, s26, v140
	ds_read_b32 v208, v87
	v_mov_b32_e32 v87, 0
	v_dot4c_i32_i8_e32 v87, v202, v4
	ds_read_u16 v4, v86 offset:36594
	v_dot4c_i32_i8_e32 v87, v204, v5
	v_dot4c_i32_i8_e32 v87, v205, v6
	v_mov_b32_e32 v6, 0
	v_dot4c_i32_i8_e32 v6, v207, v0
	v_dot4c_i32_i8_e32 v6, v209, v1
	;; [unrolled: 1-line block ×3, first 2 shown]
	s_waitcnt lgkmcnt(0)
	v_lshrrev_b16_e32 v5, 8, v4
	v_bfe_i32 v212, v4, 0, 8
	v_dot4c_i32_i8_e32 v6, v210, v2
	v_mul_lo_u32 v4, v87, v212
	v_dot4c_i32_i8_e32 v6, v211, v3
	v_bfe_i32 v213, v5, 0, 8
	v_mov_b32_e32 v86, 0
	s_cmp_lt_u32 s21, 22
	v_mad_u64_u32 v[0:1], s[22:23], v6, v213, v[4:5]
	v_cvt_f32_i32_e32 v0, v0
	v_mul_f32_e32 v1, v84, v208
	v_mov_b32_e32 v84, 0
	v_fmac_f32_e32 v106, v1, v0
	ds_read_b128 v[0:3], v168 offset:1024
	ds_read_b128 v[4:7], v168 offset:1040
	s_waitcnt lgkmcnt(1)
	v_dot4c_i32_i8_e32 v84, v170, v0
	v_dot4c_i32_i8_e32 v84, v171, v1
	s_waitcnt lgkmcnt(0)
	v_dot4c_i32_i8_e32 v86, v175, v4
	v_dot4c_i32_i8_e32 v84, v172, v2
	;; [unrolled: 1-line block ×6, first 2 shown]
	s_nop 0
	v_mul_lo_u32 v84, v84, v179
	s_nop 0
	v_mad_u64_u32 v[86:87], s[22:23], v86, v181, v[84:85]
	v_cvt_f32_i32_e32 v86, v86
	v_mul_f32_e32 v84, v174, v85
	v_fmac_f32_e32 v105, v84, v86
	v_mov_b32_e32 v84, 0
	v_dot4c_i32_i8_e32 v84, v180, v0
	v_mov_b32_e32 v86, 0
	v_dot4c_i32_i8_e32 v84, v182, v1
	v_dot4c_i32_i8_e32 v86, v185, v4
	;; [unrolled: 1-line block ×7, first 2 shown]
	s_nop 0
	v_mul_lo_u32 v84, v84, v190
	s_nop 0
	v_mad_u64_u32 v[86:87], s[22:23], v86, v192, v[84:85]
	v_cvt_f32_i32_e32 v86, v86
	v_mul_f32_e32 v84, v186, v85
	v_fmac_f32_e32 v101, v84, v86
	v_mov_b32_e32 v84, 0
	v_dot4c_i32_i8_e32 v84, v191, v0
	v_mov_b32_e32 v86, 0
	v_dot4c_i32_i8_e32 v84, v193, v1
	v_dot4c_i32_i8_e32 v86, v196, v4
	;; [unrolled: 1-line block ×7, first 2 shown]
	s_nop 0
	v_mul_lo_u32 v84, v84, v201
	s_nop 0
	v_mad_u64_u32 v[86:87], s[22:23], v86, v203, v[84:85]
	v_cvt_f32_i32_e32 v86, v86
	v_mul_f32_e32 v84, v197, v85
	v_mov_b32_e32 v87, 0
	v_fmac_f32_e32 v100, v84, v86
	v_mov_b32_e32 v84, 0
	v_dot4c_i32_i8_e32 v84, v202, v0
	v_dot4c_i32_i8_e32 v84, v204, v1
	v_mov_b32_e32 v1, 0
	v_dot4c_i32_i8_e32 v1, v207, v4
	v_dot4c_i32_i8_e32 v84, v205, v2
	v_dot4c_i32_i8_e32 v1, v209, v5
	v_dot4c_i32_i8_e32 v84, v206, v3
	v_dot4c_i32_i8_e32 v1, v210, v6
	v_dot4c_i32_i8_e32 v1, v211, v7
	v_mov_b32_e32 v86, 0
	v_mul_lo_u32 v0, v84, v212
	s_nop 0
	v_mad_u64_u32 v[0:1], s[22:23], v1, v213, v[0:1]
	v_cvt_f32_i32_e32 v0, v0
	v_mul_f32_e32 v1, v208, v85
	v_fmac_f32_e32 v99, v1, v0
	ds_read2_b32 v[84:85], v169 offset0:64 offset1:96
	ds_read_b128 v[0:3], v168 offset:2048
	ds_read_b128 v[4:7], v168 offset:2064
	s_waitcnt lgkmcnt(1)
	v_dot4c_i32_i8_e32 v86, v170, v0
	v_dot4c_i32_i8_e32 v86, v171, v1
	s_waitcnt lgkmcnt(0)
	v_dot4c_i32_i8_e32 v87, v175, v4
	v_dot4c_i32_i8_e32 v86, v172, v2
	;; [unrolled: 1-line block ×6, first 2 shown]
	s_nop 0
	v_mul_lo_u32 v86, v86, v179
	s_nop 0
	v_mad_u64_u32 v[86:87], s[22:23], v87, v181, v[86:87]
	v_cvt_f32_i32_e32 v86, v86
	v_mul_f32_e32 v87, v174, v84
	v_fmac_f32_e32 v98, v87, v86
	v_mov_b32_e32 v86, 0
	v_dot4c_i32_i8_e32 v86, v180, v0
	v_mov_b32_e32 v87, 0
	v_dot4c_i32_i8_e32 v86, v182, v1
	v_dot4c_i32_i8_e32 v87, v185, v4
	;; [unrolled: 1-line block ×7, first 2 shown]
	s_nop 0
	v_mul_lo_u32 v86, v86, v190
	s_nop 0
	v_mad_u64_u32 v[86:87], s[22:23], v87, v192, v[86:87]
	v_cvt_f32_i32_e32 v86, v86
	v_mul_f32_e32 v87, v186, v84
	v_fmac_f32_e32 v83, v87, v86
	v_mov_b32_e32 v86, 0
	v_dot4c_i32_i8_e32 v86, v191, v0
	v_mov_b32_e32 v87, 0
	v_dot4c_i32_i8_e32 v86, v193, v1
	v_dot4c_i32_i8_e32 v87, v196, v4
	;; [unrolled: 1-line block ×7, first 2 shown]
	s_nop 0
	v_mul_lo_u32 v86, v86, v201
	s_nop 0
	v_mad_u64_u32 v[86:87], s[22:23], v87, v203, v[86:87]
	v_cvt_f32_i32_e32 v86, v86
	v_mul_f32_e32 v87, v197, v84
	v_fmac_f32_e32 v79, v87, v86
	v_mov_b32_e32 v86, 0
	v_dot4c_i32_i8_e32 v86, v202, v0
	v_dot4c_i32_i8_e32 v86, v204, v1
	v_mov_b32_e32 v1, 0
	v_dot4c_i32_i8_e32 v1, v207, v4
	v_dot4c_i32_i8_e32 v86, v205, v2
	;; [unrolled: 1-line block ×6, first 2 shown]
	s_nop 0
	v_mul_lo_u32 v0, v86, v212
	v_mov_b32_e32 v86, 0
	v_mad_u64_u32 v[0:1], s[22:23], v1, v213, v[0:1]
	v_cvt_f32_i32_e32 v0, v0
	v_mul_f32_e32 v1, v208, v84
	v_mov_b32_e32 v84, 0
	v_fmac_f32_e32 v63, v1, v0
	ds_read_b128 v[0:3], v168 offset:3072
	ds_read_b128 v[4:7], v168 offset:3088
	s_waitcnt lgkmcnt(1)
	v_dot4c_i32_i8_e32 v84, v170, v0
	v_dot4c_i32_i8_e32 v84, v171, v1
	s_waitcnt lgkmcnt(0)
	v_dot4c_i32_i8_e32 v86, v175, v4
	v_dot4c_i32_i8_e32 v84, v172, v2
	;; [unrolled: 1-line block ×6, first 2 shown]
	s_nop 0
	v_mul_lo_u32 v84, v84, v179
	s_nop 0
	v_mad_u64_u32 v[86:87], s[22:23], v86, v181, v[84:85]
	v_cvt_f32_i32_e32 v86, v86
	v_mul_f32_e32 v84, v174, v85
	v_fmac_f32_e32 v55, v84, v86
	v_mov_b32_e32 v84, 0
	v_dot4c_i32_i8_e32 v84, v180, v0
	v_mov_b32_e32 v86, 0
	v_dot4c_i32_i8_e32 v84, v182, v1
	v_dot4c_i32_i8_e32 v86, v185, v4
	;; [unrolled: 1-line block ×7, first 2 shown]
	s_nop 0
	v_mul_lo_u32 v84, v84, v190
	s_nop 0
	v_mad_u64_u32 v[86:87], s[22:23], v86, v192, v[84:85]
	v_cvt_f32_i32_e32 v86, v86
	v_mul_f32_e32 v84, v186, v85
	v_fmac_f32_e32 v53, v84, v86
	v_mov_b32_e32 v84, 0
	v_dot4c_i32_i8_e32 v84, v191, v0
	v_mov_b32_e32 v86, 0
	v_dot4c_i32_i8_e32 v84, v193, v1
	v_dot4c_i32_i8_e32 v86, v196, v4
	;; [unrolled: 1-line block ×7, first 2 shown]
	s_nop 0
	v_mul_lo_u32 v84, v84, v201
	s_nop 0
	v_mad_u64_u32 v[86:87], s[22:23], v86, v203, v[84:85]
	v_cvt_f32_i32_e32 v86, v86
	v_mul_f32_e32 v84, v197, v85
	v_mov_b32_e32 v87, 0
	v_fmac_f32_e32 v49, v84, v86
	v_mov_b32_e32 v84, 0
	v_dot4c_i32_i8_e32 v84, v202, v0
	v_dot4c_i32_i8_e32 v84, v204, v1
	v_mov_b32_e32 v1, 0
	v_dot4c_i32_i8_e32 v1, v207, v4
	v_dot4c_i32_i8_e32 v84, v205, v2
	;; [unrolled: 1-line block ×6, first 2 shown]
	v_mov_b32_e32 v86, 0
	v_mul_lo_u32 v0, v84, v212
	s_nop 0
	v_mad_u64_u32 v[0:1], s[22:23], v1, v213, v[0:1]
	v_cvt_f32_i32_e32 v0, v0
	v_mul_f32_e32 v1, v208, v85
	v_fmac_f32_e32 v47, v1, v0
	ds_read2_b32 v[84:85], v169 offset0:128 offset1:160
	ds_read_b128 v[0:3], v168 offset:4096
	ds_read_b128 v[4:7], v168 offset:4112
	s_waitcnt lgkmcnt(1)
	v_dot4c_i32_i8_e32 v86, v170, v0
	v_dot4c_i32_i8_e32 v86, v171, v1
	s_waitcnt lgkmcnt(0)
	v_dot4c_i32_i8_e32 v87, v175, v4
	v_dot4c_i32_i8_e32 v86, v172, v2
	;; [unrolled: 1-line block ×6, first 2 shown]
	s_nop 0
	v_mul_lo_u32 v86, v86, v179
	s_nop 0
	v_mad_u64_u32 v[86:87], s[22:23], v87, v181, v[86:87]
	v_cvt_f32_i32_e32 v86, v86
	v_mul_f32_e32 v87, v174, v84
	v_fmac_f32_e32 v45, v87, v86
	v_mov_b32_e32 v86, 0
	v_dot4c_i32_i8_e32 v86, v180, v0
	v_mov_b32_e32 v87, 0
	v_dot4c_i32_i8_e32 v86, v182, v1
	v_dot4c_i32_i8_e32 v87, v185, v4
	;; [unrolled: 1-line block ×7, first 2 shown]
	s_nop 0
	v_mul_lo_u32 v86, v86, v190
	s_nop 0
	v_mad_u64_u32 v[86:87], s[22:23], v87, v192, v[86:87]
	v_cvt_f32_i32_e32 v86, v86
	v_mul_f32_e32 v87, v186, v84
	v_fmac_f32_e32 v43, v87, v86
	v_mov_b32_e32 v86, 0
	v_dot4c_i32_i8_e32 v86, v191, v0
	v_mov_b32_e32 v87, 0
	v_dot4c_i32_i8_e32 v86, v193, v1
	v_dot4c_i32_i8_e32 v87, v196, v4
	v_dot4c_i32_i8_e32 v86, v194, v2
	v_dot4c_i32_i8_e32 v87, v198, v5
	v_dot4c_i32_i8_e32 v86, v195, v3
	v_dot4c_i32_i8_e32 v87, v199, v6
	v_dot4c_i32_i8_e32 v87, v200, v7
	s_nop 0
	v_mul_lo_u32 v86, v86, v201
	s_nop 0
	v_mad_u64_u32 v[86:87], s[22:23], v87, v203, v[86:87]
	v_cvt_f32_i32_e32 v86, v86
	v_mul_f32_e32 v87, v197, v84
	v_fmac_f32_e32 v39, v87, v86
	v_mov_b32_e32 v86, 0
	v_dot4c_i32_i8_e32 v86, v202, v0
	v_dot4c_i32_i8_e32 v86, v204, v1
	v_mov_b32_e32 v1, 0
	v_dot4c_i32_i8_e32 v1, v207, v4
	v_dot4c_i32_i8_e32 v86, v205, v2
	;; [unrolled: 1-line block ×6, first 2 shown]
	s_nop 0
	v_mul_lo_u32 v0, v86, v212
	v_mov_b32_e32 v86, 0
	v_mad_u64_u32 v[0:1], s[22:23], v1, v213, v[0:1]
	v_cvt_f32_i32_e32 v0, v0
	v_mul_f32_e32 v1, v208, v84
	v_mov_b32_e32 v84, 0
	v_fmac_f32_e32 v37, v1, v0
	ds_read_b128 v[0:3], v168 offset:5120
	ds_read_b128 v[4:7], v168 offset:5136
	s_waitcnt lgkmcnt(1)
	v_dot4c_i32_i8_e32 v84, v170, v0
	v_dot4c_i32_i8_e32 v84, v171, v1
	s_waitcnt lgkmcnt(0)
	v_dot4c_i32_i8_e32 v86, v175, v4
	v_dot4c_i32_i8_e32 v84, v172, v2
	;; [unrolled: 1-line block ×6, first 2 shown]
	s_nop 0
	v_mul_lo_u32 v84, v84, v179
	s_nop 0
	v_mad_u64_u32 v[86:87], s[22:23], v86, v181, v[84:85]
	v_cvt_f32_i32_e32 v86, v86
	v_mul_f32_e32 v84, v174, v85
	v_fmac_f32_e32 v33, v84, v86
	v_mov_b32_e32 v84, 0
	v_dot4c_i32_i8_e32 v84, v180, v0
	v_mov_b32_e32 v86, 0
	v_dot4c_i32_i8_e32 v84, v182, v1
	v_dot4c_i32_i8_e32 v86, v185, v4
	;; [unrolled: 1-line block ×7, first 2 shown]
	s_nop 0
	v_mul_lo_u32 v84, v84, v190
	s_nop 0
	v_mad_u64_u32 v[86:87], s[22:23], v86, v192, v[84:85]
	v_cvt_f32_i32_e32 v86, v86
	v_mul_f32_e32 v84, v186, v85
	v_fmac_f32_e32 v31, v84, v86
	v_mov_b32_e32 v84, 0
	v_dot4c_i32_i8_e32 v84, v191, v0
	v_mov_b32_e32 v86, 0
	v_dot4c_i32_i8_e32 v84, v193, v1
	v_dot4c_i32_i8_e32 v86, v196, v4
	;; [unrolled: 1-line block ×7, first 2 shown]
	s_nop 0
	v_mul_lo_u32 v84, v84, v201
	s_nop 0
	v_mad_u64_u32 v[86:87], s[22:23], v86, v203, v[84:85]
	v_cvt_f32_i32_e32 v86, v86
	v_mul_f32_e32 v84, v197, v85
	v_mov_b32_e32 v87, 0
	v_fmac_f32_e32 v29, v84, v86
	v_mov_b32_e32 v84, 0
	v_dot4c_i32_i8_e32 v84, v202, v0
	v_dot4c_i32_i8_e32 v84, v204, v1
	v_mov_b32_e32 v1, 0
	v_dot4c_i32_i8_e32 v1, v207, v4
	v_dot4c_i32_i8_e32 v84, v205, v2
	;; [unrolled: 1-line block ×6, first 2 shown]
	v_mov_b32_e32 v86, 0
	v_mul_lo_u32 v0, v84, v212
	s_nop 0
	v_mad_u64_u32 v[0:1], s[22:23], v1, v213, v[0:1]
	v_cvt_f32_i32_e32 v0, v0
	v_mul_f32_e32 v1, v208, v85
	v_fmac_f32_e32 v27, v1, v0
	ds_read2_b32 v[84:85], v169 offset0:192 offset1:224
	ds_read_b128 v[4:7], v168 offset:6144
	ds_read_b128 v[0:3], v168 offset:6160
	v_add_u32_e32 v169, 4, v169
	s_waitcnt lgkmcnt(1)
	v_dot4c_i32_i8_e32 v86, v170, v4
	v_dot4c_i32_i8_e32 v86, v171, v5
	s_waitcnt lgkmcnt(0)
	v_dot4c_i32_i8_e32 v87, v175, v0
	v_dot4c_i32_i8_e32 v86, v172, v6
	;; [unrolled: 1-line block ×6, first 2 shown]
	s_nop 0
	v_mul_lo_u32 v86, v86, v179
	s_nop 0
	v_mad_u64_u32 v[86:87], s[22:23], v87, v181, v[86:87]
	v_cvt_f32_i32_e32 v86, v86
	v_mul_f32_e32 v87, v174, v84
	v_fmac_f32_e32 v25, v87, v86
	v_mov_b32_e32 v86, 0
	v_dot4c_i32_i8_e32 v86, v180, v4
	v_mov_b32_e32 v87, 0
	v_dot4c_i32_i8_e32 v86, v182, v5
	v_dot4c_i32_i8_e32 v87, v185, v0
	;; [unrolled: 1-line block ×7, first 2 shown]
	s_nop 0
	v_mul_lo_u32 v86, v86, v190
	s_nop 0
	v_mad_u64_u32 v[86:87], s[22:23], v87, v192, v[86:87]
	v_cvt_f32_i32_e32 v86, v86
	v_mul_f32_e32 v87, v186, v84
	v_fmac_f32_e32 v23, v87, v86
	v_mov_b32_e32 v86, 0
	v_dot4c_i32_i8_e32 v86, v191, v4
	v_mov_b32_e32 v87, 0
	v_dot4c_i32_i8_e32 v86, v193, v5
	v_dot4c_i32_i8_e32 v87, v196, v0
	;; [unrolled: 1-line block ×7, first 2 shown]
	s_nop 0
	v_mul_lo_u32 v86, v86, v201
	s_nop 0
	v_mad_u64_u32 v[86:87], s[22:23], v87, v203, v[86:87]
	v_cvt_f32_i32_e32 v86, v86
	v_mul_f32_e32 v87, v197, v84
	v_fmac_f32_e32 v21, v87, v86
	v_mov_b32_e32 v86, 0
	v_dot4c_i32_i8_e32 v86, v202, v4
	v_dot4c_i32_i8_e32 v86, v204, v5
	v_mov_b32_e32 v5, 0
	v_dot4c_i32_i8_e32 v5, v207, v0
	v_dot4c_i32_i8_e32 v86, v205, v6
	;; [unrolled: 1-line block ×6, first 2 shown]
	s_nop 0
	v_mul_lo_u32 v4, v86, v212
	v_mov_b32_e32 v86, 0
	v_mad_u64_u32 v[0:1], s[22:23], v5, v213, v[4:5]
	v_cvt_f32_i32_e32 v0, v0
	v_mul_f32_e32 v1, v208, v84
	v_mov_b32_e32 v84, 0
	v_fmac_f32_e32 v19, v1, v0
	ds_read_b128 v[0:3], v168 offset:7168
	ds_read_b128 v[4:7], v168 offset:7184
	v_add_u32_e32 v168, 32, v168
	s_waitcnt lgkmcnt(1)
	v_dot4c_i32_i8_e32 v84, v170, v0
	v_dot4c_i32_i8_e32 v84, v171, v1
	s_waitcnt lgkmcnt(0)
	v_dot4c_i32_i8_e32 v86, v175, v4
	v_dot4c_i32_i8_e32 v84, v172, v2
	;; [unrolled: 1-line block ×6, first 2 shown]
	s_nop 0
	v_mul_lo_u32 v84, v84, v179
	s_nop 0
	v_mad_u64_u32 v[86:87], s[22:23], v86, v181, v[84:85]
	v_cvt_f32_i32_e32 v86, v86
	v_mul_f32_e32 v84, v174, v85
	v_fmac_f32_e32 v17, v84, v86
	v_mov_b32_e32 v84, 0
	v_dot4c_i32_i8_e32 v84, v180, v0
	v_mov_b32_e32 v86, 0
	v_dot4c_i32_i8_e32 v84, v182, v1
	v_dot4c_i32_i8_e32 v86, v185, v4
	;; [unrolled: 1-line block ×7, first 2 shown]
	s_nop 0
	v_mul_lo_u32 v84, v84, v190
	s_nop 0
	v_mad_u64_u32 v[86:87], s[22:23], v86, v192, v[84:85]
	v_cvt_f32_i32_e32 v86, v86
	v_mul_f32_e32 v84, v186, v85
	v_fmac_f32_e32 v15, v84, v86
	v_mov_b32_e32 v84, 0
	v_dot4c_i32_i8_e32 v84, v191, v0
	v_mov_b32_e32 v86, 0
	v_dot4c_i32_i8_e32 v84, v193, v1
	v_dot4c_i32_i8_e32 v86, v196, v4
	;; [unrolled: 1-line block ×7, first 2 shown]
	s_nop 0
	v_mul_lo_u32 v84, v84, v201
	s_nop 0
	v_mad_u64_u32 v[86:87], s[22:23], v86, v203, v[84:85]
	v_cvt_f32_i32_e32 v86, v86
	v_mul_f32_e32 v84, v197, v85
	v_fmac_f32_e32 v13, v84, v86
	v_mov_b32_e32 v84, 0
	v_dot4c_i32_i8_e32 v84, v202, v0
	v_dot4c_i32_i8_e32 v84, v204, v1
	v_mov_b32_e32 v1, 0
	v_dot4c_i32_i8_e32 v1, v207, v4
	v_dot4c_i32_i8_e32 v84, v205, v2
	;; [unrolled: 1-line block ×6, first 2 shown]
	s_nop 0
	v_mul_lo_u32 v0, v84, v212
	s_nop 0
	v_mad_u64_u32 v[0:1], s[22:23], v1, v213, v[0:1]
	v_cvt_f32_i32_e32 v0, v0
	v_mul_f32_e32 v1, v208, v85
	s_mov_b32 s22, s21
	v_fmac_f32_e32 v9, v1, v0
	s_cbranch_scc1 .LBB149_12
; %bb.13:                               ;   in Loop: Header=BB149_6 Depth=1
	v_add_u32_e32 v170, s18, v143
	v_add_u32_e32 v0, v170, v109
	;; [unrolled: 1-line block ×6, first 2 shown]
	v_mad_i64_i32 v[0:1], s[18:19], v0, 36, v[80:81]
	v_mad_i64_i32 v[2:3], s[18:19], v2, 36, v[80:81]
	;; [unrolled: 1-line block ×4, first 2 shown]
	v_add_u32_e32 v84, v170, v119
	v_add_u32_e32 v86, v170, v121
	;; [unrolled: 1-line block ×4, first 2 shown]
	v_mad_u64_u32 v[172:173], s[18:19], v167, 36, s[2:3]
	s_barrier
	v_mad_i64_i32 v[84:85], s[18:19], v84, 36, v[80:81]
	v_mad_i64_i32 v[86:87], s[18:19], v86, 36, v[80:81]
	;; [unrolled: 1-line block ×4, first 2 shown]
	global_load_dword v172, v[172:173], off
	s_nop 0
	global_load_dword v0, v[0:1], off offset:4
	s_nop 0
	global_load_dword v1, v[2:3], off offset:4
	;; [unrolled: 2-line block ×3, first 2 shown]
	global_load_dword v3, v[6:7], off offset:4
	s_nop 0
	global_load_dword v4, v[84:85], off offset:4
	global_load_dword v5, v[86:87], off offset:4
	;; [unrolled: 1-line block ×4, first 2 shown]
	s_mov_b32 s18, 24
	s_mov_b32 s21, 22
	;; [unrolled: 1-line block ×3, first 2 shown]
	v_mov_b32_e32 v167, v153
	v_mov_b32_e32 v168, v152
	s_waitcnt vmcnt(8)
	v_cvt_f32_f16_e32 v84, v172
	s_waitcnt vmcnt(7)
	ds_write_b32 v111, v0
	s_waitcnt vmcnt(6)
	ds_write_b32 v113, v1
	;; [unrolled: 2-line block ×8, first 2 shown]
	ds_write_b32 v107, v84
	s_waitcnt lgkmcnt(0)
	s_barrier
.LBB149_14:                             ;   Parent Loop BB149_6 Depth=1
                                        ; =>  This Inner Loop Header: Depth=2
	s_add_i32 s20, s21, 2
	s_lshr_b32 s25, s20, 4
	s_and_b32 s24, s20, 0x3ffffff8
	s_lshl_b32 s23, s25, 3
	s_lshl_b32 s24, s24, 2
	v_add_lshl_u32 v178, v129, s23, 2
	v_add_u32_e32 v87, s24, v130
	v_add_u32_e32 v172, 0x4200, v178
	ds_read2_b32 v[84:85], v168 offset1:32
	ds_read_b128 v[4:7], v167
	ds_read_b128 v[0:3], v167 offset:16
	ds_read2_b32 v[170:171], v87 offset1:1
	ds_read2_b32 v[172:173], v172 offset1:1
	s_and_b32 s22, s18, -16
	v_add_u32_e32 v86, s22, v128
	s_sub_i32 s22, s21, 22
	s_waitcnt lgkmcnt(1)
	v_ashrrev_i32_e32 v169, s22, v170
	s_waitcnt lgkmcnt(0)
	v_ashrrev_i32_e32 v172, s19, v172
	v_lshlrev_b32_e32 v172, 2, v172
	v_and_b32_e32 v170, 0x3030303, v169
	v_bfe_u32 v169, v169, 24, 2
	v_and_b32_e32 v172, 0x4040404, v172
	v_sub_u16_e32 v174, v170, v172
	v_sub_u16_sdwa v175, v170, v172 dst_sel:BYTE_1 dst_unused:UNUSED_PAD src0_sel:BYTE_1 src1_sel:BYTE_1
	v_sub_u16_sdwa v169, v169, v172 dst_sel:BYTE_1 dst_unused:UNUSED_PAD src0_sel:DWORD src1_sel:BYTE_3
	v_sub_u16_sdwa v170, v170, v172 dst_sel:DWORD dst_unused:UNUSED_PAD src0_sel:WORD_1 src1_sel:WORD_1
	v_ashrrev_i32_e32 v172, s19, v173
	v_or_b32_sdwa v169, v170, v169 dst_sel:WORD_1 dst_unused:UNUSED_PAD src0_sel:BYTE_0 src1_sel:DWORD
	v_ashrrev_i32_e32 v170, s22, v171
	v_lshlrev_b32_e32 v172, 2, v172
	v_or_b32_sdwa v174, v174, v175 dst_sel:DWORD dst_unused:UNUSED_PAD src0_sel:BYTE_0 src1_sel:DWORD
	v_and_b32_e32 v171, 0x3030303, v170
	v_bfe_u32 v170, v170, 24, 2
	v_and_b32_e32 v172, 0x4040404, v172
	v_or_b32_sdwa v169, v174, v169 dst_sel:DWORD dst_unused:UNUSED_PAD src0_sel:WORD_0 src1_sel:DWORD
	v_sub_u16_e32 v173, v171, v172
	v_sub_u16_sdwa v174, v171, v172 dst_sel:BYTE_1 dst_unused:UNUSED_PAD src0_sel:BYTE_1 src1_sel:BYTE_1
	v_sub_u16_sdwa v170, v170, v172 dst_sel:BYTE_1 dst_unused:UNUSED_PAD src0_sel:DWORD src1_sel:BYTE_3
	v_sub_u16_sdwa v171, v171, v172 dst_sel:DWORD dst_unused:UNUSED_PAD src0_sel:WORD_1 src1_sel:WORD_1
	v_or_b32_sdwa v173, v173, v174 dst_sel:DWORD dst_unused:UNUSED_PAD src0_sel:BYTE_0 src1_sel:DWORD
	v_or_b32_sdwa v170, v171, v170 dst_sel:WORD_1 dst_unused:UNUSED_PAD src0_sel:BYTE_0 src1_sel:DWORD
	v_add_u32_e32 v174, 0x4208, v178
	v_or_b32_sdwa v170, v173, v170 dst_sel:DWORD dst_unused:UNUSED_PAD src0_sel:WORD_0 src1_sel:DWORD
	ds_read2_b32 v[172:173], v87 offset0:2 offset1:3
	ds_read2_b32 v[174:175], v174 offset1:1
	s_lshl_b32 s25, s25, 2
	v_add_lshl_u32 v200, v135, s23, 2
	v_add_lshl_u32 v190, v132, s23, 2
	s_waitcnt lgkmcnt(1)
	v_ashrrev_i32_e32 v171, s22, v172
	s_waitcnt lgkmcnt(0)
	v_ashrrev_i32_e32 v174, s19, v174
	v_lshlrev_b32_e32 v174, 2, v174
	v_and_b32_e32 v172, 0x3030303, v171
	v_bfe_u32 v171, v171, 24, 2
	v_and_b32_e32 v174, 0x4040404, v174
	v_sub_u16_e32 v176, v172, v174
	v_sub_u16_sdwa v177, v172, v174 dst_sel:BYTE_1 dst_unused:UNUSED_PAD src0_sel:BYTE_1 src1_sel:BYTE_1
	v_sub_u16_sdwa v171, v171, v174 dst_sel:BYTE_1 dst_unused:UNUSED_PAD src0_sel:DWORD src1_sel:BYTE_3
	v_sub_u16_sdwa v172, v172, v174 dst_sel:DWORD dst_unused:UNUSED_PAD src0_sel:WORD_1 src1_sel:WORD_1
	v_ashrrev_i32_e32 v174, s19, v175
	v_or_b32_sdwa v171, v172, v171 dst_sel:WORD_1 dst_unused:UNUSED_PAD src0_sel:BYTE_0 src1_sel:DWORD
	v_ashrrev_i32_e32 v172, s22, v173
	v_lshlrev_b32_e32 v174, 2, v174
	v_or_b32_sdwa v176, v176, v177 dst_sel:DWORD dst_unused:UNUSED_PAD src0_sel:BYTE_0 src1_sel:DWORD
	v_and_b32_e32 v173, 0x3030303, v172
	v_bfe_u32 v172, v172, 24, 2
	v_and_b32_e32 v174, 0x4040404, v174
	v_or_b32_sdwa v171, v176, v171 dst_sel:DWORD dst_unused:UNUSED_PAD src0_sel:WORD_0 src1_sel:DWORD
	v_sub_u16_e32 v175, v173, v174
	v_sub_u16_sdwa v176, v173, v174 dst_sel:BYTE_1 dst_unused:UNUSED_PAD src0_sel:BYTE_1 src1_sel:BYTE_1
	v_sub_u16_sdwa v172, v172, v174 dst_sel:BYTE_1 dst_unused:UNUSED_PAD src0_sel:DWORD src1_sel:BYTE_3
	v_sub_u16_sdwa v173, v173, v174 dst_sel:DWORD dst_unused:UNUSED_PAD src0_sel:WORD_1 src1_sel:WORD_1
	v_or_b32_sdwa v175, v175, v176 dst_sel:DWORD dst_unused:UNUSED_PAD src0_sel:BYTE_0 src1_sel:DWORD
	v_or_b32_sdwa v172, v173, v172 dst_sel:WORD_1 dst_unused:UNUSED_PAD src0_sel:BYTE_0 src1_sel:DWORD
	v_add_u32_e32 v176, 0x4210, v178
	v_or_b32_sdwa v172, v175, v172 dst_sel:DWORD dst_unused:UNUSED_PAD src0_sel:WORD_0 src1_sel:DWORD
	ds_read2_b32 v[174:175], v87 offset0:4 offset1:5
	ds_read2_b32 v[176:177], v176 offset1:1
	v_add_u32_e32 v194, 0x4200, v200
	v_add_lshl_u32 v212, v138, s23, 2
	s_add_i32 s18, s18, 2
	s_waitcnt lgkmcnt(1)
	v_ashrrev_i32_e32 v173, s22, v174
	s_waitcnt lgkmcnt(0)
	v_ashrrev_i32_e32 v176, s19, v176
	v_lshlrev_b32_e32 v176, 2, v176
	v_and_b32_e32 v174, 0x3030303, v173
	v_bfe_u32 v173, v173, 24, 2
	v_and_b32_e32 v176, 0x4040404, v176
	v_sub_u16_e32 v179, v174, v176
	v_sub_u16_sdwa v180, v174, v176 dst_sel:BYTE_1 dst_unused:UNUSED_PAD src0_sel:BYTE_1 src1_sel:BYTE_1
	v_sub_u16_sdwa v173, v173, v176 dst_sel:BYTE_1 dst_unused:UNUSED_PAD src0_sel:DWORD src1_sel:BYTE_3
	v_sub_u16_sdwa v174, v174, v176 dst_sel:DWORD dst_unused:UNUSED_PAD src0_sel:WORD_1 src1_sel:WORD_1
	v_or_b32_sdwa v179, v179, v180 dst_sel:DWORD dst_unused:UNUSED_PAD src0_sel:BYTE_0 src1_sel:DWORD
	v_or_b32_sdwa v173, v174, v173 dst_sel:WORD_1 dst_unused:UNUSED_PAD src0_sel:BYTE_0 src1_sel:DWORD
	v_ashrrev_i32_e32 v176, s19, v177
	v_or_b32_sdwa v174, v179, v173 dst_sel:DWORD dst_unused:UNUSED_PAD src0_sel:WORD_0 src1_sel:DWORD
	v_ashrrev_i32_e32 v173, s22, v175
	v_lshlrev_b32_e32 v176, 2, v176
	v_and_b32_e32 v175, 0x3030303, v173
	v_bfe_u32 v173, v173, 24, 2
	v_and_b32_e32 v176, 0x4040404, v176
	v_sub_u16_e32 v177, v175, v176
	v_sub_u16_sdwa v179, v175, v176 dst_sel:BYTE_1 dst_unused:UNUSED_PAD src0_sel:BYTE_1 src1_sel:BYTE_1
	v_sub_u16_sdwa v173, v173, v176 dst_sel:BYTE_1 dst_unused:UNUSED_PAD src0_sel:DWORD src1_sel:BYTE_3
	v_sub_u16_sdwa v175, v175, v176 dst_sel:DWORD dst_unused:UNUSED_PAD src0_sel:WORD_1 src1_sel:WORD_1
	v_or_b32_sdwa v177, v177, v179 dst_sel:DWORD dst_unused:UNUSED_PAD src0_sel:BYTE_0 src1_sel:DWORD
	v_or_b32_sdwa v173, v175, v173 dst_sel:WORD_1 dst_unused:UNUSED_PAD src0_sel:BYTE_0 src1_sel:DWORD
	ds_read2_b32 v[194:195], v194 offset1:1
	v_or_b32_sdwa v175, v177, v173 dst_sel:DWORD dst_unused:UNUSED_PAD src0_sel:WORD_0 src1_sel:DWORD
	ds_read2_b32 v[176:177], v87 offset0:6 offset1:7
	s_waitcnt lgkmcnt(1)
	v_ashrrev_i32_e32 v194, s19, v194
	v_lshlrev_b32_e32 v194, 2, v194
	s_waitcnt lgkmcnt(0)
	v_ashrrev_i32_e32 v87, s22, v176
	v_add_u32_e32 v176, 0x4218, v178
	ds_read2_b32 v[178:179], v176 offset1:1
	v_and_b32_e32 v173, 0x3030303, v87
	v_bfe_u32 v87, v87, 24, 2
	v_and_b32_e32 v194, 0x4040404, v194
	s_waitcnt lgkmcnt(0)
	v_ashrrev_i32_e32 v176, s19, v178
	v_lshlrev_b32_e32 v176, 2, v176
	v_and_b32_e32 v176, 0x4040404, v176
	v_sub_u16_e32 v178, v173, v176
	v_sub_u16_sdwa v180, v173, v176 dst_sel:BYTE_1 dst_unused:UNUSED_PAD src0_sel:BYTE_1 src1_sel:BYTE_1
	v_sub_u16_sdwa v87, v87, v176 dst_sel:BYTE_1 dst_unused:UNUSED_PAD src0_sel:DWORD src1_sel:BYTE_3
	v_sub_u16_sdwa v173, v173, v176 dst_sel:DWORD dst_unused:UNUSED_PAD src0_sel:WORD_1 src1_sel:WORD_1
	v_or_b32_sdwa v178, v178, v180 dst_sel:DWORD dst_unused:UNUSED_PAD src0_sel:BYTE_0 src1_sel:DWORD
	v_or_b32_sdwa v87, v173, v87 dst_sel:WORD_1 dst_unused:UNUSED_PAD src0_sel:BYTE_0 src1_sel:DWORD
	s_nop 0
	v_or_b32_sdwa v176, v178, v87 dst_sel:DWORD dst_unused:UNUSED_PAD src0_sel:WORD_0 src1_sel:DWORD
	v_ashrrev_i32_e32 v87, s22, v177
	v_ashrrev_i32_e32 v177, s19, v179
	v_lshlrev_b32_e32 v177, 2, v177
	v_and_b32_e32 v173, 0x3030303, v87
	v_bfe_u32 v87, v87, 24, 2
	v_and_b32_e32 v177, 0x4040404, v177
	v_sub_u16_e32 v178, v173, v177
	v_sub_u16_sdwa v179, v173, v177 dst_sel:BYTE_1 dst_unused:UNUSED_PAD src0_sel:BYTE_1 src1_sel:BYTE_1
	v_sub_u16_sdwa v87, v87, v177 dst_sel:BYTE_1 dst_unused:UNUSED_PAD src0_sel:DWORD src1_sel:BYTE_3
	v_sub_u16_sdwa v173, v173, v177 dst_sel:DWORD dst_unused:UNUSED_PAD src0_sel:WORD_1 src1_sel:WORD_1
	v_or_b32_sdwa v178, v178, v179 dst_sel:DWORD dst_unused:UNUSED_PAD src0_sel:BYTE_0 src1_sel:DWORD
	v_or_b32_sdwa v87, v173, v87 dst_sel:WORD_1 dst_unused:UNUSED_PAD src0_sel:BYTE_0 src1_sel:DWORD
	v_add_u32_e32 v173, s25, v131
	v_or_b32_sdwa v177, v178, v87 dst_sel:DWORD dst_unused:UNUSED_PAD src0_sel:WORD_0 src1_sel:DWORD
	v_add3_u32 v87, v144, s21, v86
	ds_read_b32 v173, v173
	ds_read_u16 v87, v87 offset:33522
	v_mov_b32_e32 v179, 0
	v_dot4c_i32_i8_e32 v179, v169, v4
	v_dot4c_i32_i8_e32 v179, v170, v5
	v_dot4c_i32_i8_e32 v179, v171, v6
	s_waitcnt lgkmcnt(0)
	v_lshrrev_b16_e32 v180, 8, v87
	v_bfe_i32 v178, v87, 0, 8
	v_mov_b32_e32 v87, 0
	v_dot4c_i32_i8_e32 v87, v174, v0
	v_dot4c_i32_i8_e32 v87, v175, v1
	v_dot4c_i32_i8_e32 v179, v172, v7
	v_dot4c_i32_i8_e32 v87, v176, v2
	v_dot4c_i32_i8_e32 v87, v177, v3
	v_bfe_i32 v180, v180, 0, 8
	v_mul_lo_u32 v182, v179, v178
	s_nop 0
	v_mad_u64_u32 v[182:183], s[26:27], v87, v180, v[182:183]
	v_cvt_f32_i32_e32 v179, v182
	v_mul_f32_e32 v87, v84, v173
	v_fmac_f32_e32 v125, v87, v179
	v_add_u32_e32 v87, s24, v133
	ds_read2_b32 v[182:183], v87 offset1:1
	s_waitcnt lgkmcnt(0)
	v_ashrrev_i32_e32 v179, s22, v182
	v_add_u32_e32 v182, 0x4200, v190
	ds_read2_b32 v[184:185], v182 offset1:1
	v_and_b32_e32 v181, 0x3030303, v179
	v_bfe_u32 v179, v179, 24, 2
	s_waitcnt lgkmcnt(0)
	v_ashrrev_i32_e32 v182, s19, v184
	v_lshlrev_b32_e32 v182, 2, v182
	v_and_b32_e32 v182, 0x4040404, v182
	v_sub_u16_e32 v184, v181, v182
	v_sub_u16_sdwa v186, v181, v182 dst_sel:BYTE_1 dst_unused:UNUSED_PAD src0_sel:BYTE_1 src1_sel:BYTE_1
	v_sub_u16_sdwa v179, v179, v182 dst_sel:BYTE_1 dst_unused:UNUSED_PAD src0_sel:DWORD src1_sel:BYTE_3
	v_sub_u16_sdwa v181, v181, v182 dst_sel:DWORD dst_unused:UNUSED_PAD src0_sel:WORD_1 src1_sel:WORD_1
	v_or_b32_sdwa v179, v181, v179 dst_sel:WORD_1 dst_unused:UNUSED_PAD src0_sel:BYTE_0 src1_sel:DWORD
	v_ashrrev_i32_e32 v181, s22, v183
	v_ashrrev_i32_e32 v183, s19, v185
	v_lshlrev_b32_e32 v183, 2, v183
	v_or_b32_sdwa v184, v184, v186 dst_sel:DWORD dst_unused:UNUSED_PAD src0_sel:BYTE_0 src1_sel:DWORD
	v_and_b32_e32 v182, 0x3030303, v181
	v_bfe_u32 v181, v181, 24, 2
	v_and_b32_e32 v183, 0x4040404, v183
	v_or_b32_sdwa v179, v184, v179 dst_sel:DWORD dst_unused:UNUSED_PAD src0_sel:WORD_0 src1_sel:DWORD
	v_sub_u16_e32 v184, v182, v183
	v_sub_u16_sdwa v185, v182, v183 dst_sel:BYTE_1 dst_unused:UNUSED_PAD src0_sel:BYTE_1 src1_sel:BYTE_1
	v_sub_u16_sdwa v181, v181, v183 dst_sel:BYTE_1 dst_unused:UNUSED_PAD src0_sel:DWORD src1_sel:BYTE_3
	v_sub_u16_sdwa v182, v182, v183 dst_sel:DWORD dst_unused:UNUSED_PAD src0_sel:WORD_1 src1_sel:WORD_1
	v_or_b32_sdwa v184, v184, v185 dst_sel:DWORD dst_unused:UNUSED_PAD src0_sel:BYTE_0 src1_sel:DWORD
	v_or_b32_sdwa v181, v182, v181 dst_sel:WORD_1 dst_unused:UNUSED_PAD src0_sel:BYTE_0 src1_sel:DWORD
	ds_read2_b32 v[182:183], v87 offset0:2 offset1:3
	v_or_b32_sdwa v181, v184, v181 dst_sel:DWORD dst_unused:UNUSED_PAD src0_sel:WORD_0 src1_sel:DWORD
	v_add_u32_e32 v184, 0x4208, v190
	ds_read2_b32 v[184:185], v184 offset1:1
	s_waitcnt lgkmcnt(1)
	v_ashrrev_i32_e32 v182, s22, v182
	v_and_b32_e32 v186, 0x3030303, v182
	v_bfe_u32 v182, v182, 24, 2
	s_waitcnt lgkmcnt(0)
	v_ashrrev_i32_e32 v184, s19, v184
	v_lshlrev_b32_e32 v184, 2, v184
	v_and_b32_e32 v184, 0x4040404, v184
	v_ashrrev_i32_e32 v185, s19, v185
	v_sub_u16_e32 v187, v186, v184
	v_sub_u16_sdwa v188, v186, v184 dst_sel:BYTE_1 dst_unused:UNUSED_PAD src0_sel:BYTE_1 src1_sel:BYTE_1
	v_sub_u16_sdwa v182, v182, v184 dst_sel:BYTE_1 dst_unused:UNUSED_PAD src0_sel:DWORD src1_sel:BYTE_3
	v_sub_u16_sdwa v184, v186, v184 dst_sel:DWORD dst_unused:UNUSED_PAD src0_sel:WORD_1 src1_sel:WORD_1
	v_ashrrev_i32_e32 v183, s22, v183
	v_lshlrev_b32_e32 v185, 2, v185
	v_or_b32_sdwa v187, v187, v188 dst_sel:DWORD dst_unused:UNUSED_PAD src0_sel:BYTE_0 src1_sel:DWORD
	v_or_b32_sdwa v182, v184, v182 dst_sel:WORD_1 dst_unused:UNUSED_PAD src0_sel:BYTE_0 src1_sel:DWORD
	v_and_b32_e32 v184, 0x3030303, v183
	v_bfe_u32 v183, v183, 24, 2
	v_and_b32_e32 v185, 0x4040404, v185
	v_or_b32_sdwa v182, v187, v182 dst_sel:DWORD dst_unused:UNUSED_PAD src0_sel:WORD_0 src1_sel:DWORD
	v_sub_u16_e32 v186, v184, v185
	v_sub_u16_sdwa v187, v184, v185 dst_sel:BYTE_1 dst_unused:UNUSED_PAD src0_sel:BYTE_1 src1_sel:BYTE_1
	v_sub_u16_sdwa v183, v183, v185 dst_sel:BYTE_1 dst_unused:UNUSED_PAD src0_sel:DWORD src1_sel:BYTE_3
	v_sub_u16_sdwa v184, v184, v185 dst_sel:DWORD dst_unused:UNUSED_PAD src0_sel:WORD_1 src1_sel:WORD_1
	v_or_b32_sdwa v186, v186, v187 dst_sel:DWORD dst_unused:UNUSED_PAD src0_sel:BYTE_0 src1_sel:DWORD
	v_or_b32_sdwa v183, v184, v183 dst_sel:WORD_1 dst_unused:UNUSED_PAD src0_sel:BYTE_0 src1_sel:DWORD
	ds_read2_b32 v[184:185], v87 offset0:4 offset1:5
	v_or_b32_sdwa v183, v186, v183 dst_sel:DWORD dst_unused:UNUSED_PAD src0_sel:WORD_0 src1_sel:DWORD
	v_add_u32_e32 v186, 0x4210, v190
	ds_read2_b32 v[186:187], v186 offset1:1
	s_waitcnt lgkmcnt(1)
	v_ashrrev_i32_e32 v184, s22, v184
	v_and_b32_e32 v188, 0x3030303, v184
	v_bfe_u32 v184, v184, 24, 2
	s_waitcnt lgkmcnt(0)
	v_ashrrev_i32_e32 v186, s19, v186
	v_lshlrev_b32_e32 v186, 2, v186
	v_and_b32_e32 v186, 0x4040404, v186
	v_ashrrev_i32_e32 v187, s19, v187
	v_sub_u16_e32 v189, v188, v186
	v_sub_u16_sdwa v191, v188, v186 dst_sel:BYTE_1 dst_unused:UNUSED_PAD src0_sel:BYTE_1 src1_sel:BYTE_1
	v_sub_u16_sdwa v184, v184, v186 dst_sel:BYTE_1 dst_unused:UNUSED_PAD src0_sel:DWORD src1_sel:BYTE_3
	v_sub_u16_sdwa v186, v188, v186 dst_sel:DWORD dst_unused:UNUSED_PAD src0_sel:WORD_1 src1_sel:WORD_1
	v_ashrrev_i32_e32 v185, s22, v185
	v_lshlrev_b32_e32 v187, 2, v187
	v_or_b32_sdwa v189, v189, v191 dst_sel:DWORD dst_unused:UNUSED_PAD src0_sel:BYTE_0 src1_sel:DWORD
	v_or_b32_sdwa v184, v186, v184 dst_sel:WORD_1 dst_unused:UNUSED_PAD src0_sel:BYTE_0 src1_sel:DWORD
	v_and_b32_e32 v186, 0x3030303, v185
	v_bfe_u32 v185, v185, 24, 2
	v_and_b32_e32 v187, 0x4040404, v187
	v_or_b32_sdwa v184, v189, v184 dst_sel:DWORD dst_unused:UNUSED_PAD src0_sel:WORD_0 src1_sel:DWORD
	v_sub_u16_e32 v188, v186, v187
	v_sub_u16_sdwa v189, v186, v187 dst_sel:BYTE_1 dst_unused:UNUSED_PAD src0_sel:BYTE_1 src1_sel:BYTE_1
	v_sub_u16_sdwa v185, v185, v187 dst_sel:BYTE_1 dst_unused:UNUSED_PAD src0_sel:DWORD src1_sel:BYTE_3
	v_sub_u16_sdwa v186, v186, v187 dst_sel:DWORD dst_unused:UNUSED_PAD src0_sel:WORD_1 src1_sel:WORD_1
	v_or_b32_sdwa v188, v188, v189 dst_sel:DWORD dst_unused:UNUSED_PAD src0_sel:BYTE_0 src1_sel:DWORD
	v_or_b32_sdwa v185, v186, v185 dst_sel:WORD_1 dst_unused:UNUSED_PAD src0_sel:BYTE_0 src1_sel:DWORD
	v_add_u32_e32 v187, 0x4218, v190
	v_or_b32_sdwa v186, v188, v185 dst_sel:DWORD dst_unused:UNUSED_PAD src0_sel:WORD_0 src1_sel:DWORD
	ds_read2_b32 v[188:189], v87 offset0:6 offset1:7
	ds_read2_b32 v[190:191], v187 offset1:1
	s_waitcnt lgkmcnt(1)
	v_ashrrev_i32_e32 v87, s22, v188
	s_waitcnt lgkmcnt(0)
	v_ashrrev_i32_e32 v187, s19, v190
	v_lshlrev_b32_e32 v187, 2, v187
	v_and_b32_e32 v185, 0x3030303, v87
	v_bfe_u32 v87, v87, 24, 2
	v_and_b32_e32 v187, 0x4040404, v187
	v_sub_u16_e32 v188, v185, v187
	v_sub_u16_sdwa v190, v185, v187 dst_sel:BYTE_1 dst_unused:UNUSED_PAD src0_sel:BYTE_1 src1_sel:BYTE_1
	v_sub_u16_sdwa v87, v87, v187 dst_sel:BYTE_1 dst_unused:UNUSED_PAD src0_sel:DWORD src1_sel:BYTE_3
	v_sub_u16_sdwa v185, v185, v187 dst_sel:DWORD dst_unused:UNUSED_PAD src0_sel:WORD_1 src1_sel:WORD_1
	v_or_b32_sdwa v188, v188, v190 dst_sel:DWORD dst_unused:UNUSED_PAD src0_sel:BYTE_0 src1_sel:DWORD
	v_or_b32_sdwa v87, v185, v87 dst_sel:WORD_1 dst_unused:UNUSED_PAD src0_sel:BYTE_0 src1_sel:DWORD
	s_nop 0
	v_or_b32_sdwa v187, v188, v87 dst_sel:DWORD dst_unused:UNUSED_PAD src0_sel:WORD_0 src1_sel:DWORD
	v_ashrrev_i32_e32 v188, s19, v191
	v_ashrrev_i32_e32 v87, s22, v189
	v_lshlrev_b32_e32 v188, 2, v188
	v_and_b32_e32 v185, 0x3030303, v87
	v_bfe_u32 v87, v87, 24, 2
	v_and_b32_e32 v188, 0x4040404, v188
	v_sub_u16_e32 v189, v185, v188
	v_sub_u16_sdwa v190, v185, v188 dst_sel:BYTE_1 dst_unused:UNUSED_PAD src0_sel:BYTE_1 src1_sel:BYTE_1
	v_sub_u16_sdwa v87, v87, v188 dst_sel:BYTE_1 dst_unused:UNUSED_PAD src0_sel:DWORD src1_sel:BYTE_3
	v_sub_u16_sdwa v185, v185, v188 dst_sel:DWORD dst_unused:UNUSED_PAD src0_sel:WORD_1 src1_sel:WORD_1
	v_or_b32_sdwa v189, v189, v190 dst_sel:DWORD dst_unused:UNUSED_PAD src0_sel:BYTE_0 src1_sel:DWORD
	v_or_b32_sdwa v87, v185, v87 dst_sel:WORD_1 dst_unused:UNUSED_PAD src0_sel:BYTE_0 src1_sel:DWORD
	v_add_u32_e32 v185, s25, v134
	v_or_b32_sdwa v188, v189, v87 dst_sel:DWORD dst_unused:UNUSED_PAD src0_sel:WORD_0 src1_sel:DWORD
	v_add3_u32 v87, v146, s21, v86
	ds_read_b32 v185, v185
	ds_read_u16 v87, v87 offset:34546
	v_mov_b32_e32 v190, 0
	v_dot4c_i32_i8_e32 v190, v179, v4
	v_dot4c_i32_i8_e32 v190, v181, v5
	;; [unrolled: 1-line block ×3, first 2 shown]
	s_waitcnt lgkmcnt(0)
	v_lshrrev_b16_e32 v191, 8, v87
	v_bfe_i32 v189, v87, 0, 8
	v_mov_b32_e32 v87, 0
	v_dot4c_i32_i8_e32 v87, v184, v0
	v_dot4c_i32_i8_e32 v87, v186, v1
	;; [unrolled: 1-line block ×5, first 2 shown]
	v_bfe_i32 v191, v191, 0, 8
	v_mul_lo_u32 v190, v190, v189
	s_nop 0
	v_mad_u64_u32 v[192:193], s[26:27], v87, v191, v[190:191]
	v_cvt_f32_i32_e32 v190, v192
	v_mul_f32_e32 v87, v84, v185
	v_fmac_f32_e32 v116, v87, v190
	v_add_u32_e32 v87, s24, v136
	ds_read2_b32 v[192:193], v87 offset1:1
	s_waitcnt lgkmcnt(0)
	v_ashrrev_i32_e32 v190, s22, v192
	v_and_b32_e32 v192, 0x3030303, v190
	v_bfe_u32 v190, v190, 24, 2
	v_sub_u16_e32 v196, v192, v194
	v_sub_u16_sdwa v197, v192, v194 dst_sel:BYTE_1 dst_unused:UNUSED_PAD src0_sel:BYTE_1 src1_sel:BYTE_1
	v_sub_u16_sdwa v190, v190, v194 dst_sel:BYTE_1 dst_unused:UNUSED_PAD src0_sel:DWORD src1_sel:BYTE_3
	v_sub_u16_sdwa v192, v192, v194 dst_sel:DWORD dst_unused:UNUSED_PAD src0_sel:WORD_1 src1_sel:WORD_1
	v_ashrrev_i32_e32 v194, s19, v195
	v_or_b32_sdwa v190, v192, v190 dst_sel:WORD_1 dst_unused:UNUSED_PAD src0_sel:BYTE_0 src1_sel:DWORD
	v_ashrrev_i32_e32 v192, s22, v193
	v_lshlrev_b32_e32 v194, 2, v194
	v_or_b32_sdwa v196, v196, v197 dst_sel:DWORD dst_unused:UNUSED_PAD src0_sel:BYTE_0 src1_sel:DWORD
	v_and_b32_e32 v193, 0x3030303, v192
	v_bfe_u32 v192, v192, 24, 2
	v_and_b32_e32 v194, 0x4040404, v194
	v_or_b32_sdwa v190, v196, v190 dst_sel:DWORD dst_unused:UNUSED_PAD src0_sel:WORD_0 src1_sel:DWORD
	v_sub_u16_e32 v195, v193, v194
	v_sub_u16_sdwa v196, v193, v194 dst_sel:BYTE_1 dst_unused:UNUSED_PAD src0_sel:BYTE_1 src1_sel:BYTE_1
	v_sub_u16_sdwa v192, v192, v194 dst_sel:BYTE_1 dst_unused:UNUSED_PAD src0_sel:DWORD src1_sel:BYTE_3
	v_sub_u16_sdwa v193, v193, v194 dst_sel:DWORD dst_unused:UNUSED_PAD src0_sel:WORD_1 src1_sel:WORD_1
	v_or_b32_sdwa v195, v195, v196 dst_sel:DWORD dst_unused:UNUSED_PAD src0_sel:BYTE_0 src1_sel:DWORD
	v_or_b32_sdwa v192, v193, v192 dst_sel:WORD_1 dst_unused:UNUSED_PAD src0_sel:BYTE_0 src1_sel:DWORD
	v_add_u32_e32 v196, 0x4208, v200
	v_or_b32_sdwa v192, v195, v192 dst_sel:DWORD dst_unused:UNUSED_PAD src0_sel:WORD_0 src1_sel:DWORD
	ds_read2_b32 v[194:195], v87 offset0:2 offset1:3
	ds_read2_b32 v[196:197], v196 offset1:1
	s_waitcnt lgkmcnt(1)
	v_ashrrev_i32_e32 v193, s22, v194
	s_waitcnt lgkmcnt(0)
	v_ashrrev_i32_e32 v196, s19, v196
	v_lshlrev_b32_e32 v196, 2, v196
	v_and_b32_e32 v194, 0x3030303, v193
	v_bfe_u32 v193, v193, 24, 2
	v_and_b32_e32 v196, 0x4040404, v196
	v_sub_u16_e32 v198, v194, v196
	v_sub_u16_sdwa v199, v194, v196 dst_sel:BYTE_1 dst_unused:UNUSED_PAD src0_sel:BYTE_1 src1_sel:BYTE_1
	v_sub_u16_sdwa v193, v193, v196 dst_sel:BYTE_1 dst_unused:UNUSED_PAD src0_sel:DWORD src1_sel:BYTE_3
	v_sub_u16_sdwa v194, v194, v196 dst_sel:DWORD dst_unused:UNUSED_PAD src0_sel:WORD_1 src1_sel:WORD_1
	v_ashrrev_i32_e32 v196, s19, v197
	v_or_b32_sdwa v193, v194, v193 dst_sel:WORD_1 dst_unused:UNUSED_PAD src0_sel:BYTE_0 src1_sel:DWORD
	v_ashrrev_i32_e32 v194, s22, v195
	v_lshlrev_b32_e32 v196, 2, v196
	v_or_b32_sdwa v198, v198, v199 dst_sel:DWORD dst_unused:UNUSED_PAD src0_sel:BYTE_0 src1_sel:DWORD
	v_and_b32_e32 v195, 0x3030303, v194
	v_bfe_u32 v194, v194, 24, 2
	v_and_b32_e32 v196, 0x4040404, v196
	v_or_b32_sdwa v193, v198, v193 dst_sel:DWORD dst_unused:UNUSED_PAD src0_sel:WORD_0 src1_sel:DWORD
	v_sub_u16_e32 v197, v195, v196
	v_sub_u16_sdwa v198, v195, v196 dst_sel:BYTE_1 dst_unused:UNUSED_PAD src0_sel:BYTE_1 src1_sel:BYTE_1
	v_sub_u16_sdwa v194, v194, v196 dst_sel:BYTE_1 dst_unused:UNUSED_PAD src0_sel:DWORD src1_sel:BYTE_3
	v_sub_u16_sdwa v195, v195, v196 dst_sel:DWORD dst_unused:UNUSED_PAD src0_sel:WORD_1 src1_sel:WORD_1
	v_or_b32_sdwa v197, v197, v198 dst_sel:DWORD dst_unused:UNUSED_PAD src0_sel:BYTE_0 src1_sel:DWORD
	v_or_b32_sdwa v194, v195, v194 dst_sel:WORD_1 dst_unused:UNUSED_PAD src0_sel:BYTE_0 src1_sel:DWORD
	v_add_u32_e32 v198, 0x4210, v200
	v_or_b32_sdwa v194, v197, v194 dst_sel:DWORD dst_unused:UNUSED_PAD src0_sel:WORD_0 src1_sel:DWORD
	ds_read2_b32 v[196:197], v87 offset0:4 offset1:5
	ds_read2_b32 v[198:199], v198 offset1:1
	s_waitcnt lgkmcnt(1)
	v_ashrrev_i32_e32 v195, s22, v196
	s_waitcnt lgkmcnt(0)
	v_ashrrev_i32_e32 v198, s19, v198
	v_lshlrev_b32_e32 v198, 2, v198
	v_and_b32_e32 v196, 0x3030303, v195
	v_bfe_u32 v195, v195, 24, 2
	v_and_b32_e32 v198, 0x4040404, v198
	v_sub_u16_e32 v201, v196, v198
	v_sub_u16_sdwa v202, v196, v198 dst_sel:BYTE_1 dst_unused:UNUSED_PAD src0_sel:BYTE_1 src1_sel:BYTE_1
	v_sub_u16_sdwa v195, v195, v198 dst_sel:BYTE_1 dst_unused:UNUSED_PAD src0_sel:DWORD src1_sel:BYTE_3
	v_sub_u16_sdwa v196, v196, v198 dst_sel:DWORD dst_unused:UNUSED_PAD src0_sel:WORD_1 src1_sel:WORD_1
	v_ashrrev_i32_e32 v198, s19, v199
	v_or_b32_sdwa v195, v196, v195 dst_sel:WORD_1 dst_unused:UNUSED_PAD src0_sel:BYTE_0 src1_sel:DWORD
	v_ashrrev_i32_e32 v196, s22, v197
	v_lshlrev_b32_e32 v198, 2, v198
	v_or_b32_sdwa v201, v201, v202 dst_sel:DWORD dst_unused:UNUSED_PAD src0_sel:BYTE_0 src1_sel:DWORD
	v_and_b32_e32 v197, 0x3030303, v196
	v_bfe_u32 v196, v196, 24, 2
	v_and_b32_e32 v198, 0x4040404, v198
	v_or_b32_sdwa v195, v201, v195 dst_sel:DWORD dst_unused:UNUSED_PAD src0_sel:WORD_0 src1_sel:DWORD
	v_sub_u16_e32 v199, v197, v198
	v_sub_u16_sdwa v201, v197, v198 dst_sel:BYTE_1 dst_unused:UNUSED_PAD src0_sel:BYTE_1 src1_sel:BYTE_1
	v_sub_u16_sdwa v196, v196, v198 dst_sel:BYTE_1 dst_unused:UNUSED_PAD src0_sel:DWORD src1_sel:BYTE_3
	v_sub_u16_sdwa v197, v197, v198 dst_sel:DWORD dst_unused:UNUSED_PAD src0_sel:WORD_1 src1_sel:WORD_1
	v_or_b32_sdwa v199, v199, v201 dst_sel:DWORD dst_unused:UNUSED_PAD src0_sel:BYTE_0 src1_sel:DWORD
	v_or_b32_sdwa v196, v197, v196 dst_sel:WORD_1 dst_unused:UNUSED_PAD src0_sel:BYTE_0 src1_sel:DWORD
	s_nop 0
	v_or_b32_sdwa v197, v199, v196 dst_sel:DWORD dst_unused:UNUSED_PAD src0_sel:WORD_0 src1_sel:DWORD
	ds_read2_b32 v[198:199], v87 offset0:6 offset1:7
	s_waitcnt lgkmcnt(0)
	v_ashrrev_i32_e32 v87, s22, v198
	v_add_u32_e32 v198, 0x4218, v200
	ds_read2_b32 v[200:201], v198 offset1:1
	v_and_b32_e32 v196, 0x3030303, v87
	v_bfe_u32 v87, v87, 24, 2
	s_waitcnt lgkmcnt(0)
	v_ashrrev_i32_e32 v198, s19, v200
	v_lshlrev_b32_e32 v198, 2, v198
	v_and_b32_e32 v198, 0x4040404, v198
	v_sub_u16_e32 v200, v196, v198
	v_sub_u16_sdwa v202, v196, v198 dst_sel:BYTE_1 dst_unused:UNUSED_PAD src0_sel:BYTE_1 src1_sel:BYTE_1
	v_sub_u16_sdwa v87, v87, v198 dst_sel:BYTE_1 dst_unused:UNUSED_PAD src0_sel:DWORD src1_sel:BYTE_3
	v_sub_u16_sdwa v196, v196, v198 dst_sel:DWORD dst_unused:UNUSED_PAD src0_sel:WORD_1 src1_sel:WORD_1
	v_or_b32_sdwa v200, v200, v202 dst_sel:DWORD dst_unused:UNUSED_PAD src0_sel:BYTE_0 src1_sel:DWORD
	v_or_b32_sdwa v87, v196, v87 dst_sel:WORD_1 dst_unused:UNUSED_PAD src0_sel:BYTE_0 src1_sel:DWORD
	s_nop 0
	v_or_b32_sdwa v198, v200, v87 dst_sel:DWORD dst_unused:UNUSED_PAD src0_sel:WORD_0 src1_sel:DWORD
	v_ashrrev_i32_e32 v87, s22, v199
	v_ashrrev_i32_e32 v199, s19, v201
	v_lshlrev_b32_e32 v199, 2, v199
	v_and_b32_e32 v196, 0x3030303, v87
	v_bfe_u32 v87, v87, 24, 2
	v_and_b32_e32 v199, 0x4040404, v199
	v_sub_u16_e32 v200, v196, v199
	v_sub_u16_sdwa v201, v196, v199 dst_sel:BYTE_1 dst_unused:UNUSED_PAD src0_sel:BYTE_1 src1_sel:BYTE_1
	v_sub_u16_sdwa v87, v87, v199 dst_sel:BYTE_1 dst_unused:UNUSED_PAD src0_sel:DWORD src1_sel:BYTE_3
	v_sub_u16_sdwa v196, v196, v199 dst_sel:DWORD dst_unused:UNUSED_PAD src0_sel:WORD_1 src1_sel:WORD_1
	v_or_b32_sdwa v200, v200, v201 dst_sel:DWORD dst_unused:UNUSED_PAD src0_sel:BYTE_0 src1_sel:DWORD
	v_or_b32_sdwa v87, v196, v87 dst_sel:WORD_1 dst_unused:UNUSED_PAD src0_sel:BYTE_0 src1_sel:DWORD
	v_add_u32_e32 v196, s25, v137
	v_or_b32_sdwa v199, v200, v87 dst_sel:DWORD dst_unused:UNUSED_PAD src0_sel:WORD_0 src1_sel:DWORD
	v_add3_u32 v87, v148, s21, v86
	ds_read_b32 v196, v196
	ds_read_u16 v87, v87 offset:35570
	v_mov_b32_e32 v201, 0
	v_dot4c_i32_i8_e32 v201, v190, v4
	v_dot4c_i32_i8_e32 v201, v192, v5
	v_dot4c_i32_i8_e32 v201, v193, v6
	s_waitcnt lgkmcnt(0)
	v_lshrrev_b16_e32 v202, 8, v87
	v_bfe_i32 v200, v87, 0, 8
	v_mov_b32_e32 v87, 0
	v_dot4c_i32_i8_e32 v87, v195, v0
	v_dot4c_i32_i8_e32 v87, v197, v1
	;; [unrolled: 1-line block ×5, first 2 shown]
	v_bfe_i32 v202, v202, 0, 8
	v_mul_lo_u32 v204, v201, v200
	v_add3_u32 v86, v150, s21, v86
	v_mad_u64_u32 v[204:205], s[26:27], v87, v202, v[204:205]
	v_cvt_f32_i32_e32 v201, v204
	v_mul_f32_e32 v87, v84, v196
	s_mov_b32 s21, s20
	v_fmac_f32_e32 v108, v87, v201
	v_add_u32_e32 v87, s24, v139
	ds_read2_b32 v[204:205], v87 offset1:1
	s_waitcnt lgkmcnt(0)
	v_ashrrev_i32_e32 v201, s22, v204
	v_add_u32_e32 v204, 0x4200, v212
	ds_read2_b32 v[206:207], v204 offset1:1
	v_and_b32_e32 v203, 0x3030303, v201
	v_bfe_u32 v201, v201, 24, 2
	s_waitcnt lgkmcnt(0)
	v_ashrrev_i32_e32 v204, s19, v206
	v_lshlrev_b32_e32 v204, 2, v204
	v_and_b32_e32 v204, 0x4040404, v204
	v_sub_u16_e32 v206, v203, v204
	v_sub_u16_sdwa v208, v203, v204 dst_sel:BYTE_1 dst_unused:UNUSED_PAD src0_sel:BYTE_1 src1_sel:BYTE_1
	v_sub_u16_sdwa v201, v201, v204 dst_sel:BYTE_1 dst_unused:UNUSED_PAD src0_sel:DWORD src1_sel:BYTE_3
	v_sub_u16_sdwa v203, v203, v204 dst_sel:DWORD dst_unused:UNUSED_PAD src0_sel:WORD_1 src1_sel:WORD_1
	v_or_b32_sdwa v201, v203, v201 dst_sel:WORD_1 dst_unused:UNUSED_PAD src0_sel:BYTE_0 src1_sel:DWORD
	v_ashrrev_i32_e32 v203, s22, v205
	v_ashrrev_i32_e32 v205, s19, v207
	v_lshlrev_b32_e32 v205, 2, v205
	v_or_b32_sdwa v206, v206, v208 dst_sel:DWORD dst_unused:UNUSED_PAD src0_sel:BYTE_0 src1_sel:DWORD
	v_and_b32_e32 v204, 0x3030303, v203
	v_bfe_u32 v203, v203, 24, 2
	v_and_b32_e32 v205, 0x4040404, v205
	v_or_b32_sdwa v201, v206, v201 dst_sel:DWORD dst_unused:UNUSED_PAD src0_sel:WORD_0 src1_sel:DWORD
	v_sub_u16_e32 v206, v204, v205
	v_sub_u16_sdwa v207, v204, v205 dst_sel:BYTE_1 dst_unused:UNUSED_PAD src0_sel:BYTE_1 src1_sel:BYTE_1
	v_sub_u16_sdwa v203, v203, v205 dst_sel:BYTE_1 dst_unused:UNUSED_PAD src0_sel:DWORD src1_sel:BYTE_3
	v_sub_u16_sdwa v204, v204, v205 dst_sel:DWORD dst_unused:UNUSED_PAD src0_sel:WORD_1 src1_sel:WORD_1
	v_or_b32_sdwa v206, v206, v207 dst_sel:DWORD dst_unused:UNUSED_PAD src0_sel:BYTE_0 src1_sel:DWORD
	v_or_b32_sdwa v203, v204, v203 dst_sel:WORD_1 dst_unused:UNUSED_PAD src0_sel:BYTE_0 src1_sel:DWORD
	ds_read2_b32 v[204:205], v87 offset0:2 offset1:3
	v_or_b32_sdwa v203, v206, v203 dst_sel:DWORD dst_unused:UNUSED_PAD src0_sel:WORD_0 src1_sel:DWORD
	v_add_u32_e32 v206, 0x4208, v212
	ds_read2_b32 v[206:207], v206 offset1:1
	s_waitcnt lgkmcnt(1)
	v_ashrrev_i32_e32 v204, s22, v204
	v_and_b32_e32 v208, 0x3030303, v204
	v_bfe_u32 v204, v204, 24, 2
	s_waitcnt lgkmcnt(0)
	v_ashrrev_i32_e32 v206, s19, v206
	v_lshlrev_b32_e32 v206, 2, v206
	v_and_b32_e32 v206, 0x4040404, v206
	v_ashrrev_i32_e32 v207, s19, v207
	v_sub_u16_e32 v209, v208, v206
	v_sub_u16_sdwa v210, v208, v206 dst_sel:BYTE_1 dst_unused:UNUSED_PAD src0_sel:BYTE_1 src1_sel:BYTE_1
	v_sub_u16_sdwa v204, v204, v206 dst_sel:BYTE_1 dst_unused:UNUSED_PAD src0_sel:DWORD src1_sel:BYTE_3
	v_sub_u16_sdwa v206, v208, v206 dst_sel:DWORD dst_unused:UNUSED_PAD src0_sel:WORD_1 src1_sel:WORD_1
	v_ashrrev_i32_e32 v205, s22, v205
	v_lshlrev_b32_e32 v207, 2, v207
	v_or_b32_sdwa v209, v209, v210 dst_sel:DWORD dst_unused:UNUSED_PAD src0_sel:BYTE_0 src1_sel:DWORD
	v_or_b32_sdwa v204, v206, v204 dst_sel:WORD_1 dst_unused:UNUSED_PAD src0_sel:BYTE_0 src1_sel:DWORD
	v_and_b32_e32 v206, 0x3030303, v205
	v_bfe_u32 v205, v205, 24, 2
	v_and_b32_e32 v207, 0x4040404, v207
	v_or_b32_sdwa v204, v209, v204 dst_sel:DWORD dst_unused:UNUSED_PAD src0_sel:WORD_0 src1_sel:DWORD
	v_sub_u16_e32 v208, v206, v207
	v_sub_u16_sdwa v209, v206, v207 dst_sel:BYTE_1 dst_unused:UNUSED_PAD src0_sel:BYTE_1 src1_sel:BYTE_1
	v_sub_u16_sdwa v205, v205, v207 dst_sel:BYTE_1 dst_unused:UNUSED_PAD src0_sel:DWORD src1_sel:BYTE_3
	v_sub_u16_sdwa v206, v206, v207 dst_sel:DWORD dst_unused:UNUSED_PAD src0_sel:WORD_1 src1_sel:WORD_1
	v_or_b32_sdwa v208, v208, v209 dst_sel:DWORD dst_unused:UNUSED_PAD src0_sel:BYTE_0 src1_sel:DWORD
	v_or_b32_sdwa v205, v206, v205 dst_sel:WORD_1 dst_unused:UNUSED_PAD src0_sel:BYTE_0 src1_sel:DWORD
	ds_read2_b32 v[206:207], v87 offset0:4 offset1:5
	v_or_b32_sdwa v205, v208, v205 dst_sel:DWORD dst_unused:UNUSED_PAD src0_sel:WORD_0 src1_sel:DWORD
	v_add_u32_e32 v208, 0x4210, v212
	ds_read2_b32 v[208:209], v208 offset1:1
	s_waitcnt lgkmcnt(1)
	v_ashrrev_i32_e32 v206, s22, v206
	v_and_b32_e32 v210, 0x3030303, v206
	v_bfe_u32 v206, v206, 24, 2
	s_waitcnt lgkmcnt(0)
	v_ashrrev_i32_e32 v208, s19, v208
	v_lshlrev_b32_e32 v208, 2, v208
	v_and_b32_e32 v208, 0x4040404, v208
	v_ashrrev_i32_e32 v209, s19, v209
	v_sub_u16_e32 v211, v210, v208
	v_sub_u16_sdwa v213, v210, v208 dst_sel:BYTE_1 dst_unused:UNUSED_PAD src0_sel:BYTE_1 src1_sel:BYTE_1
	v_sub_u16_sdwa v206, v206, v208 dst_sel:BYTE_1 dst_unused:UNUSED_PAD src0_sel:DWORD src1_sel:BYTE_3
	v_sub_u16_sdwa v208, v210, v208 dst_sel:DWORD dst_unused:UNUSED_PAD src0_sel:WORD_1 src1_sel:WORD_1
	v_ashrrev_i32_e32 v207, s22, v207
	v_lshlrev_b32_e32 v209, 2, v209
	v_or_b32_sdwa v211, v211, v213 dst_sel:DWORD dst_unused:UNUSED_PAD src0_sel:BYTE_0 src1_sel:DWORD
	v_or_b32_sdwa v206, v208, v206 dst_sel:WORD_1 dst_unused:UNUSED_PAD src0_sel:BYTE_0 src1_sel:DWORD
	v_and_b32_e32 v208, 0x3030303, v207
	v_bfe_u32 v207, v207, 24, 2
	v_and_b32_e32 v209, 0x4040404, v209
	v_or_b32_sdwa v206, v211, v206 dst_sel:DWORD dst_unused:UNUSED_PAD src0_sel:WORD_0 src1_sel:DWORD
	v_sub_u16_e32 v210, v208, v209
	v_sub_u16_sdwa v211, v208, v209 dst_sel:BYTE_1 dst_unused:UNUSED_PAD src0_sel:BYTE_1 src1_sel:BYTE_1
	v_sub_u16_sdwa v207, v207, v209 dst_sel:BYTE_1 dst_unused:UNUSED_PAD src0_sel:DWORD src1_sel:BYTE_3
	v_sub_u16_sdwa v208, v208, v209 dst_sel:DWORD dst_unused:UNUSED_PAD src0_sel:WORD_1 src1_sel:WORD_1
	v_or_b32_sdwa v210, v210, v211 dst_sel:DWORD dst_unused:UNUSED_PAD src0_sel:BYTE_0 src1_sel:DWORD
	v_or_b32_sdwa v207, v208, v207 dst_sel:WORD_1 dst_unused:UNUSED_PAD src0_sel:BYTE_0 src1_sel:DWORD
	v_add_u32_e32 v209, 0x4218, v212
	v_or_b32_sdwa v208, v210, v207 dst_sel:DWORD dst_unused:UNUSED_PAD src0_sel:WORD_0 src1_sel:DWORD
	ds_read2_b32 v[210:211], v87 offset0:6 offset1:7
	ds_read2_b32 v[212:213], v209 offset1:1
	s_waitcnt lgkmcnt(1)
	v_ashrrev_i32_e32 v87, s22, v210
	s_waitcnt lgkmcnt(0)
	v_ashrrev_i32_e32 v209, s19, v212
	v_lshlrev_b32_e32 v209, 2, v209
	v_and_b32_e32 v207, 0x3030303, v87
	v_bfe_u32 v87, v87, 24, 2
	v_and_b32_e32 v209, 0x4040404, v209
	v_sub_u16_e32 v210, v207, v209
	v_sub_u16_sdwa v212, v207, v209 dst_sel:BYTE_1 dst_unused:UNUSED_PAD src0_sel:BYTE_1 src1_sel:BYTE_1
	v_sub_u16_sdwa v87, v87, v209 dst_sel:BYTE_1 dst_unused:UNUSED_PAD src0_sel:DWORD src1_sel:BYTE_3
	v_sub_u16_sdwa v207, v207, v209 dst_sel:DWORD dst_unused:UNUSED_PAD src0_sel:WORD_1 src1_sel:WORD_1
	v_or_b32_sdwa v210, v210, v212 dst_sel:DWORD dst_unused:UNUSED_PAD src0_sel:BYTE_0 src1_sel:DWORD
	v_or_b32_sdwa v87, v207, v87 dst_sel:WORD_1 dst_unused:UNUSED_PAD src0_sel:BYTE_0 src1_sel:DWORD
	s_nop 0
	v_or_b32_sdwa v209, v210, v87 dst_sel:DWORD dst_unused:UNUSED_PAD src0_sel:WORD_0 src1_sel:DWORD
	v_ashrrev_i32_e32 v210, s19, v213
	v_ashrrev_i32_e32 v87, s22, v211
	v_lshlrev_b32_e32 v210, 2, v210
	v_and_b32_e32 v207, 0x3030303, v87
	v_bfe_u32 v87, v87, 24, 2
	v_and_b32_e32 v210, 0x4040404, v210
	v_sub_u16_e32 v211, v207, v210
	v_sub_u16_sdwa v212, v207, v210 dst_sel:BYTE_1 dst_unused:UNUSED_PAD src0_sel:BYTE_1 src1_sel:BYTE_1
	v_sub_u16_sdwa v87, v87, v210 dst_sel:BYTE_1 dst_unused:UNUSED_PAD src0_sel:DWORD src1_sel:BYTE_3
	v_sub_u16_sdwa v207, v207, v210 dst_sel:DWORD dst_unused:UNUSED_PAD src0_sel:WORD_1 src1_sel:WORD_1
	v_or_b32_sdwa v211, v211, v212 dst_sel:DWORD dst_unused:UNUSED_PAD src0_sel:BYTE_0 src1_sel:DWORD
	v_or_b32_sdwa v87, v207, v87 dst_sel:WORD_1 dst_unused:UNUSED_PAD src0_sel:BYTE_0 src1_sel:DWORD
	s_add_i32 s19, s19, 1
	v_or_b32_sdwa v210, v211, v87 dst_sel:DWORD dst_unused:UNUSED_PAD src0_sel:WORD_0 src1_sel:DWORD
	v_add_u32_e32 v87, s25, v140
	ds_read_b32 v207, v87
	v_mov_b32_e32 v87, 0
	v_dot4c_i32_i8_e32 v87, v201, v4
	ds_read_u16 v4, v86 offset:36594
	v_dot4c_i32_i8_e32 v87, v203, v5
	v_dot4c_i32_i8_e32 v87, v204, v6
	v_mov_b32_e32 v6, 0
	v_dot4c_i32_i8_e32 v6, v206, v0
	v_dot4c_i32_i8_e32 v6, v208, v1
	;; [unrolled: 1-line block ×3, first 2 shown]
	s_waitcnt lgkmcnt(0)
	v_lshrrev_b16_e32 v5, 8, v4
	v_bfe_i32 v211, v4, 0, 8
	v_dot4c_i32_i8_e32 v6, v209, v2
	v_mul_lo_u32 v4, v87, v211
	v_dot4c_i32_i8_e32 v6, v210, v3
	v_bfe_i32 v212, v5, 0, 8
	v_mov_b32_e32 v86, 0
	s_cmp_lt_u32 s20, 30
	v_mad_u64_u32 v[0:1], s[22:23], v6, v212, v[4:5]
	v_cvt_f32_i32_e32 v0, v0
	v_mul_f32_e32 v1, v84, v207
	v_mov_b32_e32 v84, 0
	v_fmac_f32_e32 v106, v1, v0
	ds_read_b128 v[0:3], v167 offset:1024
	ds_read_b128 v[4:7], v167 offset:1040
	s_waitcnt lgkmcnt(1)
	v_dot4c_i32_i8_e32 v84, v169, v0
	v_dot4c_i32_i8_e32 v84, v170, v1
	s_waitcnt lgkmcnt(0)
	v_dot4c_i32_i8_e32 v86, v174, v4
	v_dot4c_i32_i8_e32 v84, v171, v2
	;; [unrolled: 1-line block ×6, first 2 shown]
	s_nop 0
	v_mul_lo_u32 v84, v84, v178
	s_nop 0
	v_mad_u64_u32 v[86:87], s[22:23], v86, v180, v[84:85]
	v_cvt_f32_i32_e32 v86, v86
	v_mul_f32_e32 v84, v173, v85
	v_fmac_f32_e32 v105, v84, v86
	v_mov_b32_e32 v84, 0
	v_dot4c_i32_i8_e32 v84, v179, v0
	v_mov_b32_e32 v86, 0
	v_dot4c_i32_i8_e32 v84, v181, v1
	v_dot4c_i32_i8_e32 v86, v184, v4
	;; [unrolled: 1-line block ×7, first 2 shown]
	s_nop 0
	v_mul_lo_u32 v84, v84, v189
	s_nop 0
	v_mad_u64_u32 v[86:87], s[22:23], v86, v191, v[84:85]
	v_cvt_f32_i32_e32 v86, v86
	v_mul_f32_e32 v84, v185, v85
	v_fmac_f32_e32 v101, v84, v86
	v_mov_b32_e32 v84, 0
	v_dot4c_i32_i8_e32 v84, v190, v0
	v_mov_b32_e32 v86, 0
	v_dot4c_i32_i8_e32 v84, v192, v1
	v_dot4c_i32_i8_e32 v86, v195, v4
	;; [unrolled: 1-line block ×7, first 2 shown]
	s_nop 0
	v_mul_lo_u32 v84, v84, v200
	s_nop 0
	v_mad_u64_u32 v[86:87], s[22:23], v86, v202, v[84:85]
	v_cvt_f32_i32_e32 v86, v86
	v_mul_f32_e32 v84, v196, v85
	v_mov_b32_e32 v87, 0
	v_fmac_f32_e32 v100, v84, v86
	v_mov_b32_e32 v84, 0
	v_dot4c_i32_i8_e32 v84, v201, v0
	v_dot4c_i32_i8_e32 v84, v203, v1
	v_mov_b32_e32 v1, 0
	v_dot4c_i32_i8_e32 v1, v206, v4
	v_dot4c_i32_i8_e32 v84, v204, v2
	;; [unrolled: 1-line block ×6, first 2 shown]
	v_mov_b32_e32 v86, 0
	v_mul_lo_u32 v0, v84, v211
	s_nop 0
	v_mad_u64_u32 v[0:1], s[22:23], v1, v212, v[0:1]
	v_cvt_f32_i32_e32 v0, v0
	v_mul_f32_e32 v1, v207, v85
	v_fmac_f32_e32 v99, v1, v0
	ds_read2_b32 v[84:85], v168 offset0:64 offset1:96
	ds_read_b128 v[0:3], v167 offset:2048
	ds_read_b128 v[4:7], v167 offset:2064
	s_waitcnt lgkmcnt(1)
	v_dot4c_i32_i8_e32 v86, v169, v0
	v_dot4c_i32_i8_e32 v86, v170, v1
	s_waitcnt lgkmcnt(0)
	v_dot4c_i32_i8_e32 v87, v174, v4
	v_dot4c_i32_i8_e32 v86, v171, v2
	;; [unrolled: 1-line block ×6, first 2 shown]
	s_nop 0
	v_mul_lo_u32 v86, v86, v178
	s_nop 0
	v_mad_u64_u32 v[86:87], s[22:23], v87, v180, v[86:87]
	v_cvt_f32_i32_e32 v86, v86
	v_mul_f32_e32 v87, v173, v84
	v_fmac_f32_e32 v98, v87, v86
	v_mov_b32_e32 v86, 0
	v_dot4c_i32_i8_e32 v86, v179, v0
	v_mov_b32_e32 v87, 0
	v_dot4c_i32_i8_e32 v86, v181, v1
	v_dot4c_i32_i8_e32 v87, v184, v4
	;; [unrolled: 1-line block ×7, first 2 shown]
	s_nop 0
	v_mul_lo_u32 v86, v86, v189
	s_nop 0
	v_mad_u64_u32 v[86:87], s[22:23], v87, v191, v[86:87]
	v_cvt_f32_i32_e32 v86, v86
	v_mul_f32_e32 v87, v185, v84
	v_fmac_f32_e32 v83, v87, v86
	v_mov_b32_e32 v86, 0
	v_dot4c_i32_i8_e32 v86, v190, v0
	v_mov_b32_e32 v87, 0
	v_dot4c_i32_i8_e32 v86, v192, v1
	v_dot4c_i32_i8_e32 v87, v195, v4
	;; [unrolled: 1-line block ×7, first 2 shown]
	s_nop 0
	v_mul_lo_u32 v86, v86, v200
	s_nop 0
	v_mad_u64_u32 v[86:87], s[22:23], v87, v202, v[86:87]
	v_cvt_f32_i32_e32 v86, v86
	v_mul_f32_e32 v87, v196, v84
	v_fmac_f32_e32 v79, v87, v86
	v_mov_b32_e32 v86, 0
	v_dot4c_i32_i8_e32 v86, v201, v0
	v_dot4c_i32_i8_e32 v86, v203, v1
	v_mov_b32_e32 v1, 0
	v_dot4c_i32_i8_e32 v1, v206, v4
	v_dot4c_i32_i8_e32 v86, v204, v2
	;; [unrolled: 1-line block ×6, first 2 shown]
	s_nop 0
	v_mul_lo_u32 v0, v86, v211
	v_mov_b32_e32 v86, 0
	v_mad_u64_u32 v[0:1], s[22:23], v1, v212, v[0:1]
	v_cvt_f32_i32_e32 v0, v0
	v_mul_f32_e32 v1, v207, v84
	v_mov_b32_e32 v84, 0
	v_fmac_f32_e32 v63, v1, v0
	ds_read_b128 v[0:3], v167 offset:3072
	ds_read_b128 v[4:7], v167 offset:3088
	s_waitcnt lgkmcnt(1)
	v_dot4c_i32_i8_e32 v84, v169, v0
	v_dot4c_i32_i8_e32 v84, v170, v1
	s_waitcnt lgkmcnt(0)
	v_dot4c_i32_i8_e32 v86, v174, v4
	v_dot4c_i32_i8_e32 v84, v171, v2
	;; [unrolled: 1-line block ×6, first 2 shown]
	s_nop 0
	v_mul_lo_u32 v84, v84, v178
	s_nop 0
	v_mad_u64_u32 v[86:87], s[22:23], v86, v180, v[84:85]
	v_cvt_f32_i32_e32 v86, v86
	v_mul_f32_e32 v84, v173, v85
	v_fmac_f32_e32 v55, v84, v86
	v_mov_b32_e32 v84, 0
	v_dot4c_i32_i8_e32 v84, v179, v0
	v_mov_b32_e32 v86, 0
	v_dot4c_i32_i8_e32 v84, v181, v1
	v_dot4c_i32_i8_e32 v86, v184, v4
	;; [unrolled: 1-line block ×7, first 2 shown]
	s_nop 0
	v_mul_lo_u32 v84, v84, v189
	s_nop 0
	v_mad_u64_u32 v[86:87], s[22:23], v86, v191, v[84:85]
	v_cvt_f32_i32_e32 v86, v86
	v_mul_f32_e32 v84, v185, v85
	v_fmac_f32_e32 v53, v84, v86
	v_mov_b32_e32 v84, 0
	v_dot4c_i32_i8_e32 v84, v190, v0
	v_mov_b32_e32 v86, 0
	v_dot4c_i32_i8_e32 v84, v192, v1
	v_dot4c_i32_i8_e32 v86, v195, v4
	;; [unrolled: 1-line block ×7, first 2 shown]
	s_nop 0
	v_mul_lo_u32 v84, v84, v200
	s_nop 0
	v_mad_u64_u32 v[86:87], s[22:23], v86, v202, v[84:85]
	v_cvt_f32_i32_e32 v86, v86
	v_mul_f32_e32 v84, v196, v85
	v_mov_b32_e32 v87, 0
	v_fmac_f32_e32 v49, v84, v86
	v_mov_b32_e32 v84, 0
	v_dot4c_i32_i8_e32 v84, v201, v0
	v_dot4c_i32_i8_e32 v84, v203, v1
	v_mov_b32_e32 v1, 0
	v_dot4c_i32_i8_e32 v1, v206, v4
	v_dot4c_i32_i8_e32 v84, v204, v2
	;; [unrolled: 1-line block ×6, first 2 shown]
	v_mov_b32_e32 v86, 0
	v_mul_lo_u32 v0, v84, v211
	s_nop 0
	v_mad_u64_u32 v[0:1], s[22:23], v1, v212, v[0:1]
	v_cvt_f32_i32_e32 v0, v0
	v_mul_f32_e32 v1, v207, v85
	v_fmac_f32_e32 v47, v1, v0
	ds_read2_b32 v[84:85], v168 offset0:128 offset1:160
	ds_read_b128 v[0:3], v167 offset:4096
	ds_read_b128 v[4:7], v167 offset:4112
	s_waitcnt lgkmcnt(1)
	v_dot4c_i32_i8_e32 v86, v169, v0
	v_dot4c_i32_i8_e32 v86, v170, v1
	s_waitcnt lgkmcnt(0)
	v_dot4c_i32_i8_e32 v87, v174, v4
	v_dot4c_i32_i8_e32 v86, v171, v2
	;; [unrolled: 1-line block ×6, first 2 shown]
	s_nop 0
	v_mul_lo_u32 v86, v86, v178
	s_nop 0
	v_mad_u64_u32 v[86:87], s[22:23], v87, v180, v[86:87]
	v_cvt_f32_i32_e32 v86, v86
	v_mul_f32_e32 v87, v173, v84
	v_fmac_f32_e32 v45, v87, v86
	v_mov_b32_e32 v86, 0
	v_dot4c_i32_i8_e32 v86, v179, v0
	v_mov_b32_e32 v87, 0
	v_dot4c_i32_i8_e32 v86, v181, v1
	v_dot4c_i32_i8_e32 v87, v184, v4
	;; [unrolled: 1-line block ×7, first 2 shown]
	s_nop 0
	v_mul_lo_u32 v86, v86, v189
	s_nop 0
	v_mad_u64_u32 v[86:87], s[22:23], v87, v191, v[86:87]
	v_cvt_f32_i32_e32 v86, v86
	v_mul_f32_e32 v87, v185, v84
	v_fmac_f32_e32 v43, v87, v86
	v_mov_b32_e32 v86, 0
	v_dot4c_i32_i8_e32 v86, v190, v0
	v_mov_b32_e32 v87, 0
	v_dot4c_i32_i8_e32 v86, v192, v1
	v_dot4c_i32_i8_e32 v87, v195, v4
	v_dot4c_i32_i8_e32 v86, v193, v2
	v_dot4c_i32_i8_e32 v87, v197, v5
	v_dot4c_i32_i8_e32 v86, v194, v3
	v_dot4c_i32_i8_e32 v87, v198, v6
	v_dot4c_i32_i8_e32 v87, v199, v7
	s_nop 0
	v_mul_lo_u32 v86, v86, v200
	s_nop 0
	v_mad_u64_u32 v[86:87], s[22:23], v87, v202, v[86:87]
	v_cvt_f32_i32_e32 v86, v86
	v_mul_f32_e32 v87, v196, v84
	v_fmac_f32_e32 v39, v87, v86
	v_mov_b32_e32 v86, 0
	v_dot4c_i32_i8_e32 v86, v201, v0
	v_dot4c_i32_i8_e32 v86, v203, v1
	v_mov_b32_e32 v1, 0
	v_dot4c_i32_i8_e32 v1, v206, v4
	v_dot4c_i32_i8_e32 v86, v204, v2
	;; [unrolled: 1-line block ×6, first 2 shown]
	s_nop 0
	v_mul_lo_u32 v0, v86, v211
	v_mov_b32_e32 v86, 0
	v_mad_u64_u32 v[0:1], s[22:23], v1, v212, v[0:1]
	v_cvt_f32_i32_e32 v0, v0
	v_mul_f32_e32 v1, v207, v84
	v_mov_b32_e32 v84, 0
	v_fmac_f32_e32 v37, v1, v0
	ds_read_b128 v[0:3], v167 offset:5120
	ds_read_b128 v[4:7], v167 offset:5136
	s_waitcnt lgkmcnt(1)
	v_dot4c_i32_i8_e32 v84, v169, v0
	v_dot4c_i32_i8_e32 v84, v170, v1
	s_waitcnt lgkmcnt(0)
	v_dot4c_i32_i8_e32 v86, v174, v4
	v_dot4c_i32_i8_e32 v84, v171, v2
	;; [unrolled: 1-line block ×6, first 2 shown]
	s_nop 0
	v_mul_lo_u32 v84, v84, v178
	s_nop 0
	v_mad_u64_u32 v[86:87], s[22:23], v86, v180, v[84:85]
	v_cvt_f32_i32_e32 v86, v86
	v_mul_f32_e32 v84, v173, v85
	v_fmac_f32_e32 v33, v84, v86
	v_mov_b32_e32 v84, 0
	v_dot4c_i32_i8_e32 v84, v179, v0
	v_mov_b32_e32 v86, 0
	v_dot4c_i32_i8_e32 v84, v181, v1
	v_dot4c_i32_i8_e32 v86, v184, v4
	v_dot4c_i32_i8_e32 v84, v182, v2
	v_dot4c_i32_i8_e32 v86, v186, v5
	v_dot4c_i32_i8_e32 v84, v183, v3
	v_dot4c_i32_i8_e32 v86, v187, v6
	v_dot4c_i32_i8_e32 v86, v188, v7
	s_nop 0
	v_mul_lo_u32 v84, v84, v189
	s_nop 0
	v_mad_u64_u32 v[86:87], s[22:23], v86, v191, v[84:85]
	v_cvt_f32_i32_e32 v86, v86
	v_mul_f32_e32 v84, v185, v85
	v_fmac_f32_e32 v31, v84, v86
	v_mov_b32_e32 v84, 0
	v_dot4c_i32_i8_e32 v84, v190, v0
	v_mov_b32_e32 v86, 0
	v_dot4c_i32_i8_e32 v84, v192, v1
	v_dot4c_i32_i8_e32 v86, v195, v4
	;; [unrolled: 1-line block ×7, first 2 shown]
	s_nop 0
	v_mul_lo_u32 v84, v84, v200
	s_nop 0
	v_mad_u64_u32 v[86:87], s[22:23], v86, v202, v[84:85]
	v_cvt_f32_i32_e32 v86, v86
	v_mul_f32_e32 v84, v196, v85
	v_mov_b32_e32 v87, 0
	v_fmac_f32_e32 v29, v84, v86
	v_mov_b32_e32 v84, 0
	v_dot4c_i32_i8_e32 v84, v201, v0
	v_dot4c_i32_i8_e32 v84, v203, v1
	v_mov_b32_e32 v1, 0
	v_dot4c_i32_i8_e32 v1, v206, v4
	v_dot4c_i32_i8_e32 v84, v204, v2
	;; [unrolled: 1-line block ×6, first 2 shown]
	v_mov_b32_e32 v86, 0
	v_mul_lo_u32 v0, v84, v211
	s_nop 0
	v_mad_u64_u32 v[0:1], s[22:23], v1, v212, v[0:1]
	v_cvt_f32_i32_e32 v0, v0
	v_mul_f32_e32 v1, v207, v85
	v_fmac_f32_e32 v27, v1, v0
	ds_read2_b32 v[84:85], v168 offset0:192 offset1:224
	ds_read_b128 v[4:7], v167 offset:6144
	ds_read_b128 v[0:3], v167 offset:6160
	v_add_u32_e32 v168, 4, v168
	s_waitcnt lgkmcnt(1)
	v_dot4c_i32_i8_e32 v86, v169, v4
	v_dot4c_i32_i8_e32 v86, v170, v5
	s_waitcnt lgkmcnt(0)
	v_dot4c_i32_i8_e32 v87, v174, v0
	v_dot4c_i32_i8_e32 v86, v171, v6
	;; [unrolled: 1-line block ×6, first 2 shown]
	s_nop 0
	v_mul_lo_u32 v86, v86, v178
	s_nop 0
	v_mad_u64_u32 v[86:87], s[22:23], v87, v180, v[86:87]
	v_cvt_f32_i32_e32 v86, v86
	v_mul_f32_e32 v87, v173, v84
	v_fmac_f32_e32 v25, v87, v86
	v_mov_b32_e32 v86, 0
	v_dot4c_i32_i8_e32 v86, v179, v4
	v_mov_b32_e32 v87, 0
	v_dot4c_i32_i8_e32 v86, v181, v5
	v_dot4c_i32_i8_e32 v87, v184, v0
	;; [unrolled: 1-line block ×7, first 2 shown]
	s_nop 0
	v_mul_lo_u32 v86, v86, v189
	s_nop 0
	v_mad_u64_u32 v[86:87], s[22:23], v87, v191, v[86:87]
	v_cvt_f32_i32_e32 v86, v86
	v_mul_f32_e32 v87, v185, v84
	v_fmac_f32_e32 v23, v87, v86
	v_mov_b32_e32 v86, 0
	v_dot4c_i32_i8_e32 v86, v190, v4
	v_mov_b32_e32 v87, 0
	v_dot4c_i32_i8_e32 v86, v192, v5
	v_dot4c_i32_i8_e32 v87, v195, v0
	;; [unrolled: 1-line block ×7, first 2 shown]
	s_nop 0
	v_mul_lo_u32 v86, v86, v200
	s_nop 0
	v_mad_u64_u32 v[86:87], s[22:23], v87, v202, v[86:87]
	v_cvt_f32_i32_e32 v86, v86
	v_mul_f32_e32 v87, v196, v84
	v_fmac_f32_e32 v21, v87, v86
	v_mov_b32_e32 v86, 0
	v_dot4c_i32_i8_e32 v86, v201, v4
	v_dot4c_i32_i8_e32 v86, v203, v5
	v_mov_b32_e32 v5, 0
	v_dot4c_i32_i8_e32 v5, v206, v0
	v_dot4c_i32_i8_e32 v86, v204, v6
	;; [unrolled: 1-line block ×6, first 2 shown]
	s_nop 0
	v_mul_lo_u32 v4, v86, v211
	v_mov_b32_e32 v86, 0
	v_mad_u64_u32 v[0:1], s[22:23], v5, v212, v[4:5]
	v_cvt_f32_i32_e32 v0, v0
	v_mul_f32_e32 v1, v207, v84
	v_mov_b32_e32 v84, 0
	v_fmac_f32_e32 v19, v1, v0
	ds_read_b128 v[0:3], v167 offset:7168
	ds_read_b128 v[4:7], v167 offset:7184
	v_add_u32_e32 v167, 32, v167
	s_waitcnt lgkmcnt(1)
	v_dot4c_i32_i8_e32 v84, v169, v0
	v_dot4c_i32_i8_e32 v84, v170, v1
	s_waitcnt lgkmcnt(0)
	v_dot4c_i32_i8_e32 v86, v174, v4
	v_dot4c_i32_i8_e32 v84, v171, v2
	v_dot4c_i32_i8_e32 v86, v175, v5
	v_dot4c_i32_i8_e32 v84, v172, v3
	v_dot4c_i32_i8_e32 v86, v176, v6
	v_dot4c_i32_i8_e32 v86, v177, v7
	s_nop 0
	v_mul_lo_u32 v84, v84, v178
	s_nop 0
	v_mad_u64_u32 v[86:87], s[22:23], v86, v180, v[84:85]
	v_cvt_f32_i32_e32 v86, v86
	v_mul_f32_e32 v84, v173, v85
	v_fmac_f32_e32 v17, v84, v86
	v_mov_b32_e32 v84, 0
	v_dot4c_i32_i8_e32 v84, v179, v0
	v_mov_b32_e32 v86, 0
	v_dot4c_i32_i8_e32 v84, v181, v1
	v_dot4c_i32_i8_e32 v86, v184, v4
	;; [unrolled: 1-line block ×7, first 2 shown]
	s_nop 0
	v_mul_lo_u32 v84, v84, v189
	s_nop 0
	v_mad_u64_u32 v[86:87], s[22:23], v86, v191, v[84:85]
	v_cvt_f32_i32_e32 v86, v86
	v_mul_f32_e32 v84, v185, v85
	v_fmac_f32_e32 v15, v84, v86
	v_mov_b32_e32 v84, 0
	v_dot4c_i32_i8_e32 v84, v190, v0
	v_mov_b32_e32 v86, 0
	v_dot4c_i32_i8_e32 v84, v192, v1
	v_dot4c_i32_i8_e32 v86, v195, v4
	;; [unrolled: 1-line block ×7, first 2 shown]
	s_nop 0
	v_mul_lo_u32 v84, v84, v200
	s_nop 0
	v_mad_u64_u32 v[86:87], s[22:23], v86, v202, v[84:85]
	v_cvt_f32_i32_e32 v86, v86
	v_mul_f32_e32 v84, v196, v85
	v_fmac_f32_e32 v13, v84, v86
	v_mov_b32_e32 v84, 0
	v_dot4c_i32_i8_e32 v84, v201, v0
	v_dot4c_i32_i8_e32 v84, v203, v1
	v_mov_b32_e32 v1, 0
	v_dot4c_i32_i8_e32 v1, v206, v4
	v_dot4c_i32_i8_e32 v84, v204, v2
	;; [unrolled: 1-line block ×6, first 2 shown]
	s_nop 0
	v_mul_lo_u32 v0, v84, v211
	s_nop 0
	v_mad_u64_u32 v[0:1], s[22:23], v1, v212, v[0:1]
	v_cvt_f32_i32_e32 v0, v0
	v_mul_f32_e32 v1, v207, v85
	v_fmac_f32_e32 v9, v1, v0
	s_cbranch_scc1 .LBB149_14
; %bb.15:                               ;   in Loop: Header=BB149_6 Depth=1
	s_barrier
	s_branch .LBB149_5
.LBB149_16:
	v_mov_b32_e32 v1, v41
.LBB149_17:
	v_cmp_gt_u32_e32 vcc, s8, v89
	s_and_saveexec_b64 s[0:1], vcc
	s_cbranch_execz .LBB149_68
; %bb.18:
	v_add_u32_e32 v0, s6, v35
	v_mul_lo_u32 v5, v89, s10
	v_cmp_gt_u32_e32 vcc, s10, v0
	s_and_saveexec_b64 s[0:1], vcc
	s_cbranch_execz .LBB149_20
; %bb.19:
	v_cvt_f16_f32_e32 v4, v125
	v_add_u32_e32 v2, v0, v5
	v_mov_b32_e32 v3, 0
	s_waitcnt lgkmcnt(0)
	v_lshl_add_u64 v[2:3], v[2:3], 1, s[12:13]
	global_store_short v[2:3], v4, off
.LBB149_20:
	s_or_b64 exec, exec, s[0:1]
	v_add_u32_e32 v2, 32, v0
	v_cmp_gt_u32_e64 s[0:1], s10, v2
	s_and_saveexec_b64 s[2:3], s[0:1]
	s_cbranch_execz .LBB149_22
; %bb.21:
	v_cvt_f16_f32_e32 v3, v116
	v_add_u32_e32 v6, v2, v5
	v_mov_b32_e32 v7, 0
	s_waitcnt lgkmcnt(0)
	v_lshl_add_u64 v[6:7], v[6:7], 1, s[12:13]
	global_store_short v[6:7], v3, off
.LBB149_22:
	s_or_b64 exec, exec, s[2:3]
	v_add_u32_e32 v3, 64, v0
	v_cmp_gt_u32_e64 s[2:3], s10, v3
	s_and_saveexec_b64 s[4:5], s[2:3]
	;; [unrolled: 13-line block ×3, first 2 shown]
	s_cbranch_execz .LBB149_26
; %bb.25:
	v_cvt_f16_f32_e32 v8, v106
	v_add_u32_e32 v6, v4, v5
	v_mov_b32_e32 v7, 0
	s_waitcnt lgkmcnt(0)
	v_lshl_add_u64 v[6:7], v[6:7], 1, s[12:13]
	global_store_short v[6:7], v8, off
.LBB149_26:
	s_or_b64 exec, exec, s[6:7]
	v_add3_u32 v5, v1, s11, 8
	v_cmp_gt_u32_e64 s[6:7], s8, v5
	s_and_b64 exec, exec, s[6:7]
	s_cbranch_execz .LBB149_68
; %bb.27:
	v_mul_lo_u32 v5, v5, s10
	s_and_saveexec_b64 s[6:7], vcc
	s_cbranch_execnz .LBB149_69
; %bb.28:
	s_or_b64 exec, exec, s[6:7]
	s_and_saveexec_b64 s[6:7], s[0:1]
	s_cbranch_execnz .LBB149_70
.LBB149_29:
	s_or_b64 exec, exec, s[6:7]
	s_and_saveexec_b64 s[6:7], s[2:3]
	s_cbranch_execnz .LBB149_71
.LBB149_30:
	s_or_b64 exec, exec, s[6:7]
	s_and_saveexec_b64 s[6:7], s[4:5]
	s_cbranch_execz .LBB149_32
.LBB149_31:
	v_cvt_f16_f32_e32 v8, v99
	v_add_u32_e32 v6, v5, v4
	v_mov_b32_e32 v7, 0
	s_waitcnt lgkmcnt(0)
	v_lshl_add_u64 v[6:7], v[6:7], 1, s[12:13]
	global_store_short v[6:7], v8, off
.LBB149_32:
	s_or_b64 exec, exec, s[6:7]
	v_add3_u32 v5, v1, s11, 16
	v_cmp_gt_u32_e64 s[6:7], s8, v5
	s_and_b64 exec, exec, s[6:7]
	s_cbranch_execz .LBB149_68
; %bb.33:
	v_mul_lo_u32 v5, v5, s10
	s_and_saveexec_b64 s[6:7], vcc
	s_cbranch_execnz .LBB149_72
; %bb.34:
	s_or_b64 exec, exec, s[6:7]
	s_and_saveexec_b64 s[6:7], s[0:1]
	s_cbranch_execnz .LBB149_73
.LBB149_35:
	s_or_b64 exec, exec, s[6:7]
	s_and_saveexec_b64 s[6:7], s[2:3]
	s_cbranch_execnz .LBB149_74
.LBB149_36:
	s_or_b64 exec, exec, s[6:7]
	s_and_saveexec_b64 s[6:7], s[4:5]
	s_cbranch_execz .LBB149_38
.LBB149_37:
	v_cvt_f16_f32_e32 v8, v63
	v_add_u32_e32 v6, v5, v4
	v_mov_b32_e32 v7, 0
	s_waitcnt lgkmcnt(0)
	v_lshl_add_u64 v[6:7], v[6:7], 1, s[12:13]
	global_store_short v[6:7], v8, off
.LBB149_38:
	s_or_b64 exec, exec, s[6:7]
	v_add3_u32 v5, v1, s11, 24
	v_cmp_gt_u32_e64 s[6:7], s8, v5
	s_and_b64 exec, exec, s[6:7]
	s_cbranch_execz .LBB149_68
; %bb.39:
	v_mul_lo_u32 v5, v5, s10
	s_and_saveexec_b64 s[6:7], vcc
	s_cbranch_execnz .LBB149_75
; %bb.40:
	s_or_b64 exec, exec, s[6:7]
	s_and_saveexec_b64 s[6:7], s[0:1]
	s_cbranch_execnz .LBB149_76
.LBB149_41:
	s_or_b64 exec, exec, s[6:7]
	s_and_saveexec_b64 s[6:7], s[2:3]
	s_cbranch_execnz .LBB149_77
.LBB149_42:
	s_or_b64 exec, exec, s[6:7]
	s_and_saveexec_b64 s[6:7], s[4:5]
	s_cbranch_execz .LBB149_44
.LBB149_43:
	v_cvt_f16_f32_e32 v8, v47
	v_add_u32_e32 v6, v5, v4
	v_mov_b32_e32 v7, 0
	s_waitcnt lgkmcnt(0)
	v_lshl_add_u64 v[6:7], v[6:7], 1, s[12:13]
	global_store_short v[6:7], v8, off
.LBB149_44:
	s_or_b64 exec, exec, s[6:7]
	v_add3_u32 v5, v1, s11, 32
	v_cmp_gt_u32_e64 s[6:7], s8, v5
	s_and_b64 exec, exec, s[6:7]
	s_cbranch_execz .LBB149_68
; %bb.45:
	v_mul_lo_u32 v5, v5, s10
	s_and_saveexec_b64 s[6:7], vcc
	s_cbranch_execnz .LBB149_78
; %bb.46:
	s_or_b64 exec, exec, s[6:7]
	s_and_saveexec_b64 s[6:7], s[0:1]
	s_cbranch_execnz .LBB149_79
.LBB149_47:
	s_or_b64 exec, exec, s[6:7]
	s_and_saveexec_b64 s[6:7], s[2:3]
	s_cbranch_execnz .LBB149_80
.LBB149_48:
	s_or_b64 exec, exec, s[6:7]
	s_and_saveexec_b64 s[6:7], s[4:5]
	s_cbranch_execz .LBB149_50
.LBB149_49:
	v_cvt_f16_f32_e32 v8, v37
	v_add_u32_e32 v6, v5, v4
	v_mov_b32_e32 v7, 0
	s_waitcnt lgkmcnt(0)
	v_lshl_add_u64 v[6:7], v[6:7], 1, s[12:13]
	global_store_short v[6:7], v8, off
.LBB149_50:
	s_or_b64 exec, exec, s[6:7]
	v_add3_u32 v5, v1, s11, 40
	v_cmp_gt_u32_e64 s[6:7], s8, v5
	s_and_b64 exec, exec, s[6:7]
	s_cbranch_execz .LBB149_68
; %bb.51:
	v_mul_lo_u32 v5, v5, s10
	s_and_saveexec_b64 s[6:7], vcc
	s_cbranch_execnz .LBB149_81
; %bb.52:
	s_or_b64 exec, exec, s[6:7]
	s_and_saveexec_b64 s[6:7], s[0:1]
	s_cbranch_execnz .LBB149_82
.LBB149_53:
	s_or_b64 exec, exec, s[6:7]
	s_and_saveexec_b64 s[6:7], s[2:3]
	s_cbranch_execnz .LBB149_83
.LBB149_54:
	s_or_b64 exec, exec, s[6:7]
	s_and_saveexec_b64 s[6:7], s[4:5]
	s_cbranch_execz .LBB149_56
.LBB149_55:
	v_cvt_f16_f32_e32 v8, v27
	v_add_u32_e32 v6, v5, v4
	v_mov_b32_e32 v7, 0
	s_waitcnt lgkmcnt(0)
	v_lshl_add_u64 v[6:7], v[6:7], 1, s[12:13]
	global_store_short v[6:7], v8, off
.LBB149_56:
	s_or_b64 exec, exec, s[6:7]
	v_add3_u32 v5, v1, s11, 48
	v_cmp_gt_u32_e64 s[6:7], s8, v5
	s_and_b64 exec, exec, s[6:7]
	s_cbranch_execz .LBB149_68
; %bb.57:
	v_mul_lo_u32 v5, v5, s10
	s_and_saveexec_b64 s[6:7], vcc
	s_cbranch_execnz .LBB149_84
; %bb.58:
	s_or_b64 exec, exec, s[6:7]
	s_and_saveexec_b64 s[6:7], s[0:1]
	s_cbranch_execnz .LBB149_85
.LBB149_59:
	s_or_b64 exec, exec, s[6:7]
	s_and_saveexec_b64 s[6:7], s[2:3]
	s_cbranch_execnz .LBB149_86
.LBB149_60:
	s_or_b64 exec, exec, s[6:7]
	s_and_saveexec_b64 s[6:7], s[4:5]
	s_cbranch_execz .LBB149_62
.LBB149_61:
	v_cvt_f16_f32_e32 v8, v19
	v_add_u32_e32 v6, v5, v4
	v_mov_b32_e32 v7, 0
	s_waitcnt lgkmcnt(0)
	v_lshl_add_u64 v[6:7], v[6:7], 1, s[12:13]
	global_store_short v[6:7], v8, off
.LBB149_62:
	s_or_b64 exec, exec, s[6:7]
	v_add3_u32 v1, v1, s11, 56
	v_cmp_gt_u32_e64 s[6:7], s8, v1
	s_and_b64 exec, exec, s[6:7]
	s_cbranch_execz .LBB149_68
; %bb.63:
	v_mul_lo_u32 v1, v1, s10
	s_and_saveexec_b64 s[6:7], vcc
	s_cbranch_execnz .LBB149_87
; %bb.64:
	s_or_b64 exec, exec, s[6:7]
	s_and_saveexec_b64 s[6:7], s[0:1]
	s_cbranch_execnz .LBB149_88
.LBB149_65:
	s_or_b64 exec, exec, s[6:7]
	s_and_saveexec_b64 s[0:1], s[2:3]
	s_cbranch_execnz .LBB149_89
.LBB149_66:
	s_or_b64 exec, exec, s[0:1]
	s_and_b64 exec, exec, s[4:5]
	s_cbranch_execz .LBB149_68
.LBB149_67:
	v_cvt_f16_f32_e32 v2, v9
	v_add_u32_e32 v0, v1, v4
	v_mov_b32_e32 v1, 0
	s_waitcnt lgkmcnt(0)
	v_lshl_add_u64 v[0:1], v[0:1], 1, s[12:13]
	global_store_short v[0:1], v2, off
.LBB149_68:
	s_endpgm
.LBB149_69:
	v_cvt_f16_f32_e32 v8, v105
	v_add_u32_e32 v6, v5, v0
	v_mov_b32_e32 v7, 0
	s_waitcnt lgkmcnt(0)
	v_lshl_add_u64 v[6:7], v[6:7], 1, s[12:13]
	global_store_short v[6:7], v8, off
	s_or_b64 exec, exec, s[6:7]
	s_and_saveexec_b64 s[6:7], s[0:1]
	s_cbranch_execz .LBB149_29
.LBB149_70:
	v_cvt_f16_f32_e32 v8, v101
	v_add_u32_e32 v6, v5, v2
	v_mov_b32_e32 v7, 0
	s_waitcnt lgkmcnt(0)
	v_lshl_add_u64 v[6:7], v[6:7], 1, s[12:13]
	global_store_short v[6:7], v8, off
	s_or_b64 exec, exec, s[6:7]
	s_and_saveexec_b64 s[6:7], s[2:3]
	s_cbranch_execz .LBB149_30
.LBB149_71:
	v_cvt_f16_f32_e32 v8, v100
	v_add_u32_e32 v6, v5, v3
	v_mov_b32_e32 v7, 0
	s_waitcnt lgkmcnt(0)
	v_lshl_add_u64 v[6:7], v[6:7], 1, s[12:13]
	global_store_short v[6:7], v8, off
	s_or_b64 exec, exec, s[6:7]
	s_and_saveexec_b64 s[6:7], s[4:5]
	s_cbranch_execnz .LBB149_31
	s_branch .LBB149_32
.LBB149_72:
	v_cvt_f16_f32_e32 v8, v98
	v_add_u32_e32 v6, v5, v0
	v_mov_b32_e32 v7, 0
	s_waitcnt lgkmcnt(0)
	v_lshl_add_u64 v[6:7], v[6:7], 1, s[12:13]
	global_store_short v[6:7], v8, off
	s_or_b64 exec, exec, s[6:7]
	s_and_saveexec_b64 s[6:7], s[0:1]
	s_cbranch_execz .LBB149_35
.LBB149_73:
	v_cvt_f16_f32_e32 v8, v83
	v_add_u32_e32 v6, v5, v2
	v_mov_b32_e32 v7, 0
	s_waitcnt lgkmcnt(0)
	v_lshl_add_u64 v[6:7], v[6:7], 1, s[12:13]
	global_store_short v[6:7], v8, off
	s_or_b64 exec, exec, s[6:7]
	s_and_saveexec_b64 s[6:7], s[2:3]
	s_cbranch_execz .LBB149_36
.LBB149_74:
	v_cvt_f16_f32_e32 v8, v79
	v_add_u32_e32 v6, v5, v3
	v_mov_b32_e32 v7, 0
	s_waitcnt lgkmcnt(0)
	v_lshl_add_u64 v[6:7], v[6:7], 1, s[12:13]
	global_store_short v[6:7], v8, off
	s_or_b64 exec, exec, s[6:7]
	s_and_saveexec_b64 s[6:7], s[4:5]
	s_cbranch_execnz .LBB149_37
	s_branch .LBB149_38
.LBB149_75:
	v_cvt_f16_f32_e32 v8, v55
	v_add_u32_e32 v6, v5, v0
	v_mov_b32_e32 v7, 0
	s_waitcnt lgkmcnt(0)
	v_lshl_add_u64 v[6:7], v[6:7], 1, s[12:13]
	global_store_short v[6:7], v8, off
	s_or_b64 exec, exec, s[6:7]
	s_and_saveexec_b64 s[6:7], s[0:1]
	s_cbranch_execz .LBB149_41
.LBB149_76:
	v_cvt_f16_f32_e32 v8, v53
	v_add_u32_e32 v6, v5, v2
	v_mov_b32_e32 v7, 0
	s_waitcnt lgkmcnt(0)
	v_lshl_add_u64 v[6:7], v[6:7], 1, s[12:13]
	global_store_short v[6:7], v8, off
	s_or_b64 exec, exec, s[6:7]
	s_and_saveexec_b64 s[6:7], s[2:3]
	s_cbranch_execz .LBB149_42
.LBB149_77:
	v_cvt_f16_f32_e32 v8, v49
	v_add_u32_e32 v6, v5, v3
	v_mov_b32_e32 v7, 0
	s_waitcnt lgkmcnt(0)
	v_lshl_add_u64 v[6:7], v[6:7], 1, s[12:13]
	global_store_short v[6:7], v8, off
	s_or_b64 exec, exec, s[6:7]
	s_and_saveexec_b64 s[6:7], s[4:5]
	s_cbranch_execnz .LBB149_43
	s_branch .LBB149_44
.LBB149_78:
	v_cvt_f16_f32_e32 v8, v45
	v_add_u32_e32 v6, v5, v0
	v_mov_b32_e32 v7, 0
	s_waitcnt lgkmcnt(0)
	v_lshl_add_u64 v[6:7], v[6:7], 1, s[12:13]
	global_store_short v[6:7], v8, off
	s_or_b64 exec, exec, s[6:7]
	s_and_saveexec_b64 s[6:7], s[0:1]
	s_cbranch_execz .LBB149_47
.LBB149_79:
	v_cvt_f16_f32_e32 v8, v43
	v_add_u32_e32 v6, v5, v2
	v_mov_b32_e32 v7, 0
	s_waitcnt lgkmcnt(0)
	v_lshl_add_u64 v[6:7], v[6:7], 1, s[12:13]
	global_store_short v[6:7], v8, off
	s_or_b64 exec, exec, s[6:7]
	s_and_saveexec_b64 s[6:7], s[2:3]
	s_cbranch_execz .LBB149_48
.LBB149_80:
	v_cvt_f16_f32_e32 v8, v39
	v_add_u32_e32 v6, v5, v3
	v_mov_b32_e32 v7, 0
	s_waitcnt lgkmcnt(0)
	v_lshl_add_u64 v[6:7], v[6:7], 1, s[12:13]
	global_store_short v[6:7], v8, off
	s_or_b64 exec, exec, s[6:7]
	s_and_saveexec_b64 s[6:7], s[4:5]
	s_cbranch_execnz .LBB149_49
	s_branch .LBB149_50
.LBB149_81:
	v_cvt_f16_f32_e32 v8, v33
	v_add_u32_e32 v6, v5, v0
	v_mov_b32_e32 v7, 0
	s_waitcnt lgkmcnt(0)
	v_lshl_add_u64 v[6:7], v[6:7], 1, s[12:13]
	global_store_short v[6:7], v8, off
	s_or_b64 exec, exec, s[6:7]
	s_and_saveexec_b64 s[6:7], s[0:1]
	s_cbranch_execz .LBB149_53
.LBB149_82:
	v_cvt_f16_f32_e32 v8, v31
	v_add_u32_e32 v6, v5, v2
	v_mov_b32_e32 v7, 0
	s_waitcnt lgkmcnt(0)
	v_lshl_add_u64 v[6:7], v[6:7], 1, s[12:13]
	global_store_short v[6:7], v8, off
	s_or_b64 exec, exec, s[6:7]
	s_and_saveexec_b64 s[6:7], s[2:3]
	s_cbranch_execz .LBB149_54
.LBB149_83:
	v_cvt_f16_f32_e32 v8, v29
	v_add_u32_e32 v6, v5, v3
	v_mov_b32_e32 v7, 0
	s_waitcnt lgkmcnt(0)
	v_lshl_add_u64 v[6:7], v[6:7], 1, s[12:13]
	global_store_short v[6:7], v8, off
	s_or_b64 exec, exec, s[6:7]
	s_and_saveexec_b64 s[6:7], s[4:5]
	s_cbranch_execnz .LBB149_55
	s_branch .LBB149_56
.LBB149_84:
	v_cvt_f16_f32_e32 v8, v25
	v_add_u32_e32 v6, v5, v0
	v_mov_b32_e32 v7, 0
	s_waitcnt lgkmcnt(0)
	v_lshl_add_u64 v[6:7], v[6:7], 1, s[12:13]
	global_store_short v[6:7], v8, off
	s_or_b64 exec, exec, s[6:7]
	s_and_saveexec_b64 s[6:7], s[0:1]
	s_cbranch_execz .LBB149_59
.LBB149_85:
	v_cvt_f16_f32_e32 v8, v23
	v_add_u32_e32 v6, v5, v2
	v_mov_b32_e32 v7, 0
	s_waitcnt lgkmcnt(0)
	v_lshl_add_u64 v[6:7], v[6:7], 1, s[12:13]
	global_store_short v[6:7], v8, off
	s_or_b64 exec, exec, s[6:7]
	s_and_saveexec_b64 s[6:7], s[2:3]
	s_cbranch_execz .LBB149_60
.LBB149_86:
	v_cvt_f16_f32_e32 v8, v21
	v_add_u32_e32 v6, v5, v3
	v_mov_b32_e32 v7, 0
	s_waitcnt lgkmcnt(0)
	v_lshl_add_u64 v[6:7], v[6:7], 1, s[12:13]
	global_store_short v[6:7], v8, off
	s_or_b64 exec, exec, s[6:7]
	s_and_saveexec_b64 s[6:7], s[4:5]
	s_cbranch_execnz .LBB149_61
	s_branch .LBB149_62
.LBB149_87:
	v_cvt_f16_f32_e32 v5, v17
	v_add_u32_e32 v6, v1, v0
	v_mov_b32_e32 v7, 0
	s_waitcnt lgkmcnt(0)
	v_lshl_add_u64 v[6:7], v[6:7], 1, s[12:13]
	global_store_short v[6:7], v5, off
	s_or_b64 exec, exec, s[6:7]
	s_and_saveexec_b64 s[6:7], s[0:1]
	s_cbranch_execz .LBB149_65
.LBB149_88:
	v_cvt_f16_f32_e32 v0, v15
	v_add_u32_e32 v6, v1, v2
	v_mov_b32_e32 v7, 0
	s_waitcnt lgkmcnt(0)
	v_lshl_add_u64 v[6:7], v[6:7], 1, s[12:13]
	global_store_short v[6:7], v0, off
	s_or_b64 exec, exec, s[6:7]
	s_and_saveexec_b64 s[0:1], s[2:3]
	s_cbranch_execz .LBB149_66
.LBB149_89:
	v_cvt_f16_f32_e32 v0, v13
	v_add_u32_e32 v2, v1, v3
	v_mov_b32_e32 v3, 0
	s_waitcnt lgkmcnt(0)
	v_lshl_add_u64 v[2:3], v[2:3], 1, s[12:13]
	global_store_short v[2:3], v0, off
	s_or_b64 exec, exec, s[0:1]
	s_and_b64 exec, exec, s[4:5]
	s_cbranch_execnz .LBB149_67
	s_branch .LBB149_68
	.section	.rodata,"a",@progbits
	.p2align	6, 0x0
	.amdhsa_kernel _ZL12mul_mat_q3_KIN3c104HalfELb0EEvPKvS3_PT_iiiii
		.amdhsa_group_segment_fixed_size 39840
		.amdhsa_private_segment_fixed_size 0
		.amdhsa_kernarg_size 44
		.amdhsa_user_sgpr_count 2
		.amdhsa_user_sgpr_dispatch_ptr 0
		.amdhsa_user_sgpr_queue_ptr 0
		.amdhsa_user_sgpr_kernarg_segment_ptr 1
		.amdhsa_user_sgpr_dispatch_id 0
		.amdhsa_user_sgpr_kernarg_preload_length 0
		.amdhsa_user_sgpr_kernarg_preload_offset 0
		.amdhsa_user_sgpr_private_segment_size 0
		.amdhsa_uses_dynamic_stack 0
		.amdhsa_enable_private_segment 0
		.amdhsa_system_sgpr_workgroup_id_x 1
		.amdhsa_system_sgpr_workgroup_id_y 1
		.amdhsa_system_sgpr_workgroup_id_z 0
		.amdhsa_system_sgpr_workgroup_info 0
		.amdhsa_system_vgpr_workitem_id 1
		.amdhsa_next_free_vgpr 216
		.amdhsa_next_free_sgpr 30
		.amdhsa_accum_offset 216
		.amdhsa_reserve_vcc 1
		.amdhsa_float_round_mode_32 0
		.amdhsa_float_round_mode_16_64 0
		.amdhsa_float_denorm_mode_32 3
		.amdhsa_float_denorm_mode_16_64 3
		.amdhsa_dx10_clamp 1
		.amdhsa_ieee_mode 1
		.amdhsa_fp16_overflow 0
		.amdhsa_tg_split 0
		.amdhsa_exception_fp_ieee_invalid_op 0
		.amdhsa_exception_fp_denorm_src 0
		.amdhsa_exception_fp_ieee_div_zero 0
		.amdhsa_exception_fp_ieee_overflow 0
		.amdhsa_exception_fp_ieee_underflow 0
		.amdhsa_exception_fp_ieee_inexact 0
		.amdhsa_exception_int_div_zero 0
	.end_amdhsa_kernel
	.section	.text._ZL12mul_mat_q3_KIN3c104HalfELb0EEvPKvS3_PT_iiiii,"axG",@progbits,_ZL12mul_mat_q3_KIN3c104HalfELb0EEvPKvS3_PT_iiiii,comdat
.Lfunc_end149:
	.size	_ZL12mul_mat_q3_KIN3c104HalfELb0EEvPKvS3_PT_iiiii, .Lfunc_end149-_ZL12mul_mat_q3_KIN3c104HalfELb0EEvPKvS3_PT_iiiii
                                        ; -- End function
	.section	.AMDGPU.csdata,"",@progbits
; Kernel info:
; codeLenInByte = 31996
; NumSgprs: 36
; NumVgprs: 216
; NumAgprs: 0
; TotalNumVgprs: 216
; ScratchSize: 0
; MemoryBound: 0
; FloatMode: 240
; IeeeMode: 1
; LDSByteSize: 39840 bytes/workgroup (compile time only)
; SGPRBlocks: 4
; VGPRBlocks: 26
; NumSGPRsForWavesPerEU: 36
; NumVGPRsForWavesPerEU: 216
; AccumOffset: 216
; Occupancy: 1
; WaveLimiterHint : 0
; COMPUTE_PGM_RSRC2:SCRATCH_EN: 0
; COMPUTE_PGM_RSRC2:USER_SGPR: 2
; COMPUTE_PGM_RSRC2:TRAP_HANDLER: 0
; COMPUTE_PGM_RSRC2:TGID_X_EN: 1
; COMPUTE_PGM_RSRC2:TGID_Y_EN: 1
; COMPUTE_PGM_RSRC2:TGID_Z_EN: 0
; COMPUTE_PGM_RSRC2:TIDIG_COMP_CNT: 1
; COMPUTE_PGM_RSRC3_GFX90A:ACCUM_OFFSET: 53
; COMPUTE_PGM_RSRC3_GFX90A:TG_SPLIT: 0
	.section	.text._ZL12mul_mat_q3_KIN3c104HalfELb1EEvPKvS3_PT_iiiii,"axG",@progbits,_ZL12mul_mat_q3_KIN3c104HalfELb1EEvPKvS3_PT_iiiii,comdat
	.globl	_ZL12mul_mat_q3_KIN3c104HalfELb1EEvPKvS3_PT_iiiii ; -- Begin function _ZL12mul_mat_q3_KIN3c104HalfELb1EEvPKvS3_PT_iiiii
	.p2align	8
	.type	_ZL12mul_mat_q3_KIN3c104HalfELb1EEvPKvS3_PT_iiiii,@function
_ZL12mul_mat_q3_KIN3c104HalfELb1EEvPKvS3_PT_iiiii: ; @_ZL12mul_mat_q3_KIN3c104HalfELb1EEvPKvS3_PT_iiiii
; %bb.0:
	s_load_dwordx4 s[8:11], s[0:1], 0x18
	s_load_dword s14, s[0:1], 0x28
	s_lshl_b32 s15, s3, 6
	v_bfe_u32 v37, v0, 10, 10
	s_waitcnt lgkmcnt(0)
	s_cmpk_gt_i32 s8, 0xff
	s_cbranch_scc1 .LBB150_2
; %bb.1:
	v_bfe_u32 v1, v0, 10, 10
	v_and_b32_e32 v33, 0x3ff, v0
	v_add_u32_e32 v63, s15, v1
	s_mov_b64 s[4:5], 0
	s_mov_b32 s3, 0
	s_branch .LBB150_3
.LBB150_2:
	s_mov_b64 s[4:5], -1
                                        ; implicit-def: $sgpr3
                                        ; implicit-def: $vgpr1
                                        ; implicit-def: $vgpr33
                                        ; implicit-def: $vgpr63
.LBB150_3:
	s_load_dwordx2 s[12:13], s[0:1], 0x10
	s_lshl_b32 s6, s2, 7
	s_andn2_b64 vcc, exec, s[4:5]
	v_mov_b32_e32 v9, s3
	v_mov_b32_e32 v19, s3
	;; [unrolled: 1-line block ×32, first 2 shown]
	s_cbranch_vccnz .LBB150_17
; %bb.4:
	s_ashr_i32 s4, s8, 31
	s_load_dwordx4 s[0:3], s[0:1], 0x0
	s_lshr_b32 s4, s4, 24
	s_add_i32 s4, s8, s4
	s_ashr_i32 s5, s11, 31
	s_ashr_i32 s4, s4, 8
	s_lshr_b32 s5, s5, 27
	s_add_i32 s5, s11, s5
	s_mul_i32 s7, s4, s6
	s_ashr_i32 s11, s5, 5
	s_mul_hi_i32 s8, s7, 0x6e
	s_mulk_i32 s7, 0x6e
	s_waitcnt lgkmcnt(0)
	s_add_u32 s7, s0, s7
	s_addc_u32 s8, s1, s8
	s_not_b32 s16, s6
	s_add_i32 s16, s16, s9
	v_and_b32_e32 v33, 0x3ff, v0
	v_and_b32_e32 v1, 15, v33
	v_min_i32_e32 v2, s16, v37
	v_lshlrev_b32_e32 v0, 2, v33
	s_movk_i32 s0, 0x84
	v_add_u32_e32 v3, 8, v37
	v_mul_lo_u32 v12, v2, s4
	v_mad_u64_u32 v[14:15], s[18:19], v2, s0, v[0:1]
	v_min_i32_e32 v2, s16, v3
	v_add_u32_e32 v6, 16, v37
	v_mul_lo_u32 v16, v2, s4
	v_mad_u64_u32 v[18:19], s[18:19], v2, s0, v[0:1]
	v_min_i32_e32 v2, s16, v6
	;; [unrolled: 4-line block ×7, first 2 shown]
	v_mul_lo_u32 v40, v2, s4
	v_mad_u64_u32 v[42:43], s[18:19], v2, s0, v[0:1]
	v_add_u32_e32 v2, 64, v37
	v_min_i32_e32 v2, s16, v2
	v_mul_lo_u32 v44, v2, s4
	v_mad_u64_u32 v[46:47], s[18:19], v2, s0, v[0:1]
	v_add_u32_e32 v2, 0x48, v37
	v_min_i32_e32 v2, s16, v2
	;; [unrolled: 4-line block ×8, first 2 shown]
	v_lshlrev_b32_e32 v59, 4, v37
	v_lshrrev_b32_e32 v19, 1, v33
	v_mul_lo_u32 v72, v2, s4
	v_mad_u64_u32 v[74:75], s[18:19], v2, s0, v[0:1]
	v_add_u32_e32 v2, v19, v59
	v_and_b32_e32 v2, 0x7f, v2
	v_min_i32_e32 v2, s16, v2
	v_ashrrev_i32_e32 v4, 31, v2
	v_lshrrev_b32_e32 v4, 28, v4
	v_add_u32_e32 v4, v2, v4
	v_lshrrev_b32_e32 v8, 4, v33
	v_and_b32_e32 v76, 1, v33
	v_ashrrev_i32_e32 v4, 4, v4
	v_mul_lo_u32 v78, v2, s4
	v_lshlrev_b32_e32 v4, 2, v4
	v_lshlrev_b32_e32 v5, 2, v76
	s_mov_b32 s1, 0x9380
	v_lshlrev_b32_e32 v23, 3, v2
	v_lshl_add_u32 v2, v37, 1, v8
	v_add3_u32 v21, v4, v5, s1
	v_min_i32_e32 v4, s16, v2
	v_lshrrev_b32_e32 v5, 31, v4
	v_mul_lo_u32 v84, v4, s4
	v_add_lshl_u32 v5, v4, v5, 1
	v_lshlrev_b32_e32 v27, 6, v4
	v_add_u32_e32 v4, 16, v2
	v_lshlrev_b32_e32 v10, 2, v1
	v_and_b32_e32 v5, -4, v5
	s_movk_i32 s17, 0x4200
	v_min_i32_e32 v4, s16, v4
	v_add3_u32 v25, v5, v10, s17
	v_lshrrev_b32_e32 v5, 31, v4
	v_mul_lo_u32 v86, v4, s4
	v_add_lshl_u32 v5, v4, v5, 1
	v_lshlrev_b32_e32 v31, 6, v4
	v_add_u32_e32 v4, 32, v2
	v_and_b32_e32 v5, -4, v5
	v_min_i32_e32 v4, s16, v4
	v_add3_u32 v29, v5, v10, s17
	v_lshrrev_b32_e32 v5, 31, v4
	v_mul_lo_u32 v88, v4, s4
	v_add_lshl_u32 v5, v4, v5, 1
	v_lshlrev_b32_e32 v39, 6, v4
	v_add_u32_e32 v4, 48, v2
	v_and_b32_e32 v5, -4, v5
	;; [unrolled: 8-line block ×5, first 2 shown]
	v_min_i32_e32 v4, s16, v4
	v_add_u32_e32 v2, 0x70, v2
	v_add3_u32 v49, v5, v10, s17
	v_lshrrev_b32_e32 v5, 31, v4
	v_min_i32_e32 v2, s16, v2
	v_cmp_lt_u32_e32 vcc, 7, v1
	v_and_b32_e32 v1, 7, v33
	v_mul_lo_u32 v96, v4, s4
	v_add_lshl_u32 v5, v4, v5, 1
	v_lshlrev_b32_e32 v55, 6, v4
	v_lshrrev_b32_e32 v4, 31, v2
	v_cndmask_b32_e64 v80, 0, 1, vcc
	v_mul_lo_u32 v98, v2, s4
	v_add_lshl_u32 v4, v2, v4, 1
	v_lshlrev_b32_e32 v61, 6, v2
	v_cmp_lt_u32_e32 vcc, 3, v1
	v_and_b32_e32 v2, 3, v33
	v_lshlrev_b32_e32 v82, 2, v1
	v_cndmask_b32_e64 v100, 0, 1, vcc
	v_add_u16_e32 v1, -2, v2
	v_cmp_gt_u32_e32 vcc, 2, v2
	v_and_b32_e32 v5, -4, v5
	v_add3_u32 v53, v5, v10, s17
	v_cndmask_b32_e32 v1, v1, v2, vcc
	v_cmp_lt_u32_e32 vcc, 1, v2
	v_and_b32_e32 v4, -4, v4
	v_lshrrev_b32_e32 v73, 3, v33
	v_cndmask_b32_e64 v5, 0, 1, vcc
	v_add3_u32 v57, v4, v10, s17
	v_lshl_add_u32 v4, v37, 2, v73
	v_lshlrev_b32_e32 v77, 2, v5
	v_mov_b32_e32 v5, 2
	v_lshlrev_b32_sdwa v102, v5, v1 dst_sel:DWORD dst_unused:UNUSED_PAD src0_sel:DWORD src1_sel:BYTE_0
	v_min_i32_e32 v1, s16, v4
	v_ashrrev_i32_e32 v5, 31, v1
	v_lshrrev_b32_e32 v5, 30, v5
	v_mul_lo_u32 v104, v1, s4
	v_add_u32_e32 v5, v1, v5
	v_lshlrev_b32_e32 v67, 5, v1
	v_add_u32_e32 v1, 32, v4
	v_and_b32_e32 v5, -4, v5
	s_mov_b32 s17, 0x8300
	v_min_i32_e32 v1, s16, v1
	v_add3_u32 v65, v5, v82, s17
	v_ashrrev_i32_e32 v5, 31, v1
	v_lshrrev_b32_e32 v5, 30, v5
	v_mul_lo_u32 v106, v1, s4
	v_add_u32_e32 v5, v1, v5
	v_lshlrev_b32_e32 v71, 5, v1
	v_add_u32_e32 v1, 64, v4
	v_and_b32_e32 v5, -4, v5
	v_min_i32_e32 v1, s16, v1
	v_add3_u32 v69, v5, v82, s17
	v_ashrrev_i32_e32 v5, 31, v1
	v_lshrrev_b32_e32 v5, 30, v5
	v_mul_lo_u32 v108, v1, s4
	v_add_u32_e32 v5, v1, v5
	v_lshlrev_b32_e32 v81, 5, v1
	v_add_u32_e32 v1, 0x60, v4
	v_min_i32_e32 v1, s16, v1
	v_ashrrev_i32_e32 v4, 31, v1
	v_mov_b32_e32 v11, 0
	v_lshrrev_b32_e32 v4, 30, v4
	v_mul_lo_u32 v110, v1, s4
	v_add_u32_e32 v4, v1, v4
	v_lshlrev_b32_e32 v87, 5, v1
	v_and_b32_e32 v0, 28, v0
	v_mov_b32_e32 v1, v11
	v_lshl_add_u64 v[112:113], s[2:3], 0, v[0:1]
	v_lshrrev_b32_e32 v0, 2, v33
	v_lshl_add_u32 v0, v37, 3, v0
	v_and_b32_e32 v0, 63, v0
	s_add_i32 s16, s10, -1
	v_or_b32_e32 v1, s15, v0
	v_and_b32_e32 v5, -4, v5
	v_and_b32_e32 v4, -4, v4
	v_min_i32_e32 v1, s16, v1
	v_add3_u32 v75, v5, v82, s17
	v_add3_u32 v85, v4, v82, s17
	v_cvt_f64_i32_e32 v[4:5], s16
	v_mad_u64_u32 v[114:115], s[16:17], v1, s11, v[2:3]
	v_lshlrev_b32_e32 v1, 2, v2
	v_add_u32_e32 v63, s15, v37
	v_lshl_or_b32 v0, v0, 4, v1
	v_add_u32_e32 v89, 0x97a0, v0
	v_cvt_f64_u32_e32 v[0:1], v63
	v_and_b32_e32 v93, 31, v33
	v_min_f64 v[0:1], v[0:1], v[4:5]
	v_lshlrev_b32_e32 v79, 1, v2
	v_cvt_i32_f64_e32 v0, v[0:1]
	v_lshlrev_b32_e32 v2, 2, v93
	v_lshlrev_b32_e32 v93, 7, v37
	v_mul_lo_u32 v91, s11, v0
	v_or_b32_e32 v0, v93, v2
	v_add_u32_e32 v95, 0x6300, v0
	v_add_u32_e32 v0, 8, v63
	v_cvt_f64_u32_e32 v[0:1], v0
	v_min_f64 v[0:1], v[0:1], v[4:5]
	v_cvt_i32_f64_e32 v0, v[0:1]
	v_mul_lo_u32 v97, s11, v0
	v_lshl_or_b32 v0, v3, 7, v2
	v_add_u32_e32 v99, 0x6300, v0
	v_add_u32_e32 v0, 16, v63
	v_cvt_f64_u32_e32 v[0:1], v0
	v_min_f64 v[0:1], v[0:1], v[4:5]
	v_cvt_i32_f64_e32 v0, v[0:1]
	v_mul_lo_u32 v101, s11, v0
	v_lshl_or_b32 v0, v6, 7, v2
	;; [unrolled: 7-line block ×7, first 2 shown]
	v_add_u32_e32 v126, 0x6300, v0
	v_add_u32_e32 v0, 32, v33
	v_lshrrev_b32_e32 v1, 1, v0
	v_lshl_add_u32 v131, v0, 4, v1
	v_mov_b32_e32 v1, 0x1080
	v_lshlrev_b32_e32 v6, 2, v8
	v_lshlrev_b32_e32 v7, 3, v33
	v_mad_u32_u24 v132, v33, s0, v1
	v_lshrrev_b32_e32 v1, 2, v0
	v_add3_u32 v130, v6, v7, s1
	v_and_b32_e32 v1, 0x7c, v1
	v_lshlrev_b32_e32 v6, 3, v0
	v_add_u32_e32 v2, 64, v33
	v_add3_u32 v133, v6, v1, s1
	v_mov_b32_e32 v1, 0x2100
	v_lshrrev_b32_e32 v3, 1, v2
	v_mad_u32_u24 v135, v33, s0, v1
	v_lshrrev_b32_e32 v1, 2, v2
	v_lshl_add_u32 v134, v2, 4, v3
	v_and_b32_e32 v1, 0x7c, v1
	v_lshlrev_b32_e32 v3, 3, v2
	v_add_u32_e32 v4, 0x60, v33
	v_add3_u32 v136, v3, v1, s1
	v_mov_b32_e32 v1, 0x3180
	v_mad_u32_u24 v138, v33, s0, v1
	v_lshrrev_b32_e32 v1, 2, v4
	v_lshrrev_b32_e32 v5, 1, v4
	v_and_b32_e32 v1, 0x7c, v1
	v_lshlrev_b32_e32 v3, 3, v4
	v_and_b32_e32 v143, 0xfc, v33
	v_and_b32_e32 v145, 0x1fc, v0
	;; [unrolled: 1-line block ×4, first 2 shown]
	s_movk_i32 s5, 0x6e
	s_mov_b32 s9, 0
	v_mov_b32_e32 v83, v11
	v_mov_b32_e32 v103, v11
	v_lshlrev_b32_e32 v127, 5, v33
	v_lshl_add_u32 v128, v33, 4, v19
	v_mul_u32_u24_e32 v129, 0x84, v33
	v_lshl_add_u32 v137, v4, 4, v5
	v_add3_u32 v139, v3, v1, s1
	v_lshrrev_b32_e32 v140, 3, v0
	v_lshrrev_b32_e32 v141, 3, v2
	;; [unrolled: 1-line block ×3, first 2 shown]
	v_or_b32_e32 v144, 0x6300, v143
	v_add_u32_e32 v146, 0x6300, v145
	v_add_u32_e32 v148, 0x6300, v147
	;; [unrolled: 1-line block ×14, first 2 shown]
	s_mov_b64 s[0:1], 0x60
	s_mov_b32 s11, 0x30303030
	s_movk_i32 s16, 0x3f00
	s_movk_i32 s17, 0xe000
	v_add_u32_e32 v162, v65, v67
	v_add_u32_e32 v163, v69, v71
	;; [unrolled: 1-line block ×4, first 2 shown]
	v_mov_b32_e32 v166, 8
	v_mov_b32_e32 v105, v11
	;; [unrolled: 1-line block ×33, first 2 shown]
	s_branch .LBB150_6
.LBB150_5:                              ;   in Loop: Header=BB150_6 Depth=1
	s_add_i32 s9, s9, 2
	s_cmp_ge_i32 s9, s4
	s_cbranch_scc1 .LBB150_16
.LBB150_6:                              ; =>This Loop Header: Depth=1
                                        ;     Child Loop BB150_7 Depth 2
                                        ;     Child Loop BB150_9 Depth 2
	;; [unrolled: 1-line block ×4, first 2 shown]
	s_mul_i32 s18, s9, 0x6e
	s_mul_hi_u32 s19, s9, 0x6e
	s_add_u32 s18, s7, s18
	s_addc_u32 s19, s8, s19
	v_mov_b64_e32 v[0:1], s[18:19]
	v_mad_u64_u32 v[2:3], s[18:19], v8, s5, v[0:1]
	v_lshl_add_u64 v[2:3], v[2:3], 0, v[10:11]
	v_lshl_add_u64 v[2:3], v[2:3], 0, 32
	v_mad_i64_i32 v[4:5], s[18:19], v12, s5, v[2:3]
	v_mad_i64_i32 v[6:7], s[18:19], v16, s5, v[2:3]
	;; [unrolled: 1-line block ×8, first 2 shown]
	global_load_dword v167, v[4:5], off
	global_load_dword v176, v[6:7], off
	;; [unrolled: 1-line block ×7, first 2 shown]
	s_nop 0
	global_load_dword v174, v[174:175], off
	v_mad_i64_i32 v[4:5], s[18:19], v44, s5, v[2:3]
	v_mad_i64_i32 v[6:7], s[18:19], v48, s5, v[2:3]
	;; [unrolled: 1-line block ×8, first 2 shown]
	global_load_dword v175, v[4:5], off
	global_load_dword v182, v[6:7], off
	;; [unrolled: 1-line block ×4, first 2 shown]
	s_nop 0
	global_load_dword v168, v[168:169], off
	s_nop 0
	global_load_dword v169, v[170:171], off
	;; [unrolled: 2-line block ×3, first 2 shown]
	global_load_dword v171, v[2:3], off
	v_mad_i64_i32 v[2:3], s[18:19], v78, s5, v[0:1]
	v_mad_u64_u32 v[2:3], s[18:19], v76, s5, v[2:3]
	global_load_ushort v172, v[2:3], off offset:108
	v_mad_u64_u32 v[4:5], s[18:19], v80, s5, v[0:1]
	v_lshl_add_u64 v[4:5], v[4:5], 0, v[82:83]
	v_mad_i64_i32 v[6:7], s[18:19], v84, s5, v[4:5]
	v_mad_i64_i32 v[116:117], s[18:19], v86, s5, v[4:5]
	global_load_dword v173, v[6:7], off
	global_load_dword v185, v[116:117], off
	v_mad_i64_i32 v[2:3], s[18:19], v88, s5, v[4:5]
	v_mad_i64_i32 v[118:119], s[18:19], v90, s5, v[4:5]
	global_load_dword v186, v[2:3], off
	s_nop 0
	global_load_dword v118, v[118:119], off
	v_mad_i64_i32 v[6:7], s[18:19], v92, s5, v[4:5]
	v_mad_i64_i32 v[2:3], s[18:19], v94, s5, v[4:5]
	global_load_dword v119, v[6:7], off
	global_load_dword v187, v[2:3], off
	v_mad_i64_i32 v[2:3], s[18:19], v96, s5, v[4:5]
	v_mad_u64_u32 v[0:1], s[18:19], v100, s5, v[0:1]
	global_load_dword v188, v[2:3], off
	v_mad_i64_i32 v[2:3], s[18:19], v98, s5, v[4:5]
	v_lshl_add_u64 v[0:1], v[0:1], 0, s[0:1]
	global_load_dword v189, v[2:3], off
	v_mad_i64_i32 v[2:3], s[18:19], v104, s5, v[0:1]
	v_mad_i64_i32 v[6:7], s[18:19], v106, s5, v[0:1]
	v_mad_i64_i32 v[116:117], s[18:19], v108, s5, v[0:1]
	v_mad_i64_i32 v[0:1], s[18:19], v110, s5, v[0:1]
	v_lshl_add_u64 v[4:5], v[2:3], 0, v[102:103]
	global_load_dword v190, v[0:1], off offset:8
	global_load_dword v191, v[116:117], off offset:8
	;; [unrolled: 1-line block ×3, first 2 shown]
	global_load_dword v193, v[4:5], off
	global_load_dword v194, v[2:3], off offset:8
	v_lshl_add_u64 v[2:3], v[6:7], 0, v[102:103]
	global_load_dword v195, v[2:3], off
	v_lshl_add_u64 v[2:3], v[116:117], 0, v[102:103]
	global_load_dword v196, v[2:3], off
	s_waitcnt vmcnt(31)
	ds_write_b32 v14, v167
	s_waitcnt vmcnt(30)
	ds_write_b32 v18, v176
	;; [unrolled: 2-line block ×13, first 2 shown]
	v_lshl_add_u64 v[0:1], v[0:1], 0, v[102:103]
	s_lshl_b32 s18, s9, 3
	v_add_u32_e32 v167, s18, v114
	s_mov_b32 s19, 0
	s_mov_b32 s22, -2
	s_waitcnt vmcnt(15)
	v_cvt_f32_f16_e32 v2, v172
	ds_write_b32 v66, v169
	ds_write_b32 v70, v170
	ds_write_b32 v74, v171
	ds_write_b32 v153, v2
	global_load_dword v175, v[0:1], off
	v_add_u32_e32 v170, s18, v73
	v_add_u32_e32 v0, v170, v91
	;; [unrolled: 1-line block ×4, first 2 shown]
	s_waitcnt vmcnt(15)
	v_not_b32_e32 v2, v173
	ds_write_b32 v154, v2
	s_waitcnt vmcnt(14)
	v_not_b32_e32 v2, v185
	ds_write_b32 v155, v2
	v_add_u32_e32 v116, v170, v115
	s_waitcnt vmcnt(13)
	v_not_b32_e32 v2, v186
	ds_write_b32 v156, v2
	s_waitcnt vmcnt(12)
	v_not_b32_e32 v2, v118
	ds_write_b32 v157, v2
	v_mad_i64_i32 v[0:1], s[20:21], v0, 36, v[112:113]
	s_waitcnt vmcnt(11)
	v_not_b32_e32 v2, v119
	ds_write_b32 v158, v2
	s_waitcnt vmcnt(10)
	v_not_b32_e32 v2, v187
	ds_write_b32 v159, v2
	v_add_u32_e32 v2, v170, v97
	v_mad_i64_i32 v[2:3], s[20:21], v2, 36, v[112:113]
	v_mad_i64_i32 v[4:5], s[20:21], v4, 36, v[112:113]
	;; [unrolled: 1-line block ×4, first 2 shown]
	v_add_u32_e32 v118, v170, v121
	v_add_u32_e32 v168, v170, v123
	;; [unrolled: 1-line block ×3, first 2 shown]
	v_mad_i64_i32 v[118:119], s[20:21], v118, 36, v[112:113]
	v_mad_i64_i32 v[168:169], s[20:21], v168, 36, v[112:113]
	;; [unrolled: 1-line block ×3, first 2 shown]
	v_mad_u64_u32 v[172:173], s[20:21], v167, 36, s[2:3]
	global_load_dword v0, v[0:1], off offset:4
	s_nop 0
	global_load_dword v1, v[2:3], off offset:4
	s_nop 0
	global_load_dword v2, v[4:5], off offset:4
	global_load_dword v3, v[6:7], off offset:4
	s_nop 0
	global_load_dword v4, v[116:117], off offset:4
	global_load_dword v5, v[172:173], off
	global_load_dword v6, v[118:119], off offset:4
	global_load_dword v7, v[168:169], off offset:4
	s_nop 0
	global_load_dword v116, v[170:171], off offset:4
	s_waitcnt vmcnt(18)
	v_not_b32_e32 v174, v188
	s_waitcnt vmcnt(17)
	v_not_b32_e32 v117, v189
	ds_write_b32 v160, v174
	ds_write_b32 v161, v117
	s_waitcnt vmcnt(13)
	v_ashrrev_i32_e32 v117, v77, v193
	s_waitcnt vmcnt(12)
	v_ashrrev_i32_e32 v118, v79, v194
	v_and_b32_e32 v117, 0xf0f0f0f, v117
	v_lshlrev_b32_e32 v118, 4, v118
	v_and_or_b32 v117, v118, s11, v117
	v_lshlrev_b16_e32 v119, 8, v117
	v_and_b32_e32 v118, 0x3f00, v117
	v_add_u16_e32 v119, 0xe000, v119
	v_or_b32_sdwa v118, v118, v119 dst_sel:DWORD dst_unused:UNUSED_PAD src0_sel:DWORD src1_sel:BYTE_1
	v_and_b32_sdwa v119, v117, s16 dst_sel:DWORD dst_unused:UNUSED_PAD src0_sel:WORD_1 src1_sel:DWORD
	v_lshlrev_b16_sdwa v117, v166, v117 dst_sel:DWORD dst_unused:UNUSED_PAD src0_sel:DWORD src1_sel:WORD_1
	v_add_u16_e32 v117, 0xe000, v117
	v_or_b32_sdwa v117, v119, v117 dst_sel:DWORD dst_unused:UNUSED_PAD src0_sel:DWORD src1_sel:BYTE_1
	v_add_u16_e32 v118, 0xe000, v118
	v_add_u16_sdwa v117, v117, s17 dst_sel:WORD_1 dst_unused:UNUSED_PAD src0_sel:DWORD src1_sel:DWORD
	v_mov_b32_e32 v168, v93
	v_or_b32_e32 v117, v118, v117
	ds_write_b32 v162, v117
	s_waitcnt vmcnt(11)
	v_ashrrev_i32_e32 v117, v77, v195
	v_ashrrev_i32_e32 v118, v79, v192
	v_and_b32_e32 v117, 0xf0f0f0f, v117
	v_lshlrev_b32_e32 v118, 4, v118
	v_and_or_b32 v117, v118, s11, v117
	v_lshlrev_b16_e32 v119, 8, v117
	v_and_b32_e32 v118, 0x3f00, v117
	v_add_u16_e32 v119, 0xe000, v119
	v_or_b32_sdwa v118, v118, v119 dst_sel:DWORD dst_unused:UNUSED_PAD src0_sel:DWORD src1_sel:BYTE_1
	v_and_b32_sdwa v119, v117, s16 dst_sel:DWORD dst_unused:UNUSED_PAD src0_sel:WORD_1 src1_sel:DWORD
	v_lshlrev_b16_sdwa v117, v166, v117 dst_sel:DWORD dst_unused:UNUSED_PAD src0_sel:DWORD src1_sel:WORD_1
	v_add_u16_e32 v117, 0xe000, v117
	v_or_b32_sdwa v117, v119, v117 dst_sel:DWORD dst_unused:UNUSED_PAD src0_sel:DWORD src1_sel:BYTE_1
	v_add_u16_e32 v118, 0xe000, v118
	v_add_u16_sdwa v117, v117, s17 dst_sel:WORD_1 dst_unused:UNUSED_PAD src0_sel:DWORD src1_sel:DWORD
	v_mov_b32_e32 v169, v59
	v_or_b32_e32 v117, v118, v117
	ds_write_b32 v163, v117
	s_waitcnt vmcnt(10)
	v_ashrrev_i32_e32 v117, v77, v196
	v_ashrrev_i32_e32 v118, v79, v191
	v_and_b32_e32 v117, 0xf0f0f0f, v117
	v_lshlrev_b32_e32 v118, 4, v118
	v_and_or_b32 v117, v118, s11, v117
	v_lshlrev_b16_e32 v119, 8, v117
	v_and_b32_e32 v118, 0x3f00, v117
	v_add_u16_e32 v119, 0xe000, v119
	v_or_b32_sdwa v118, v118, v119 dst_sel:DWORD dst_unused:UNUSED_PAD src0_sel:DWORD src1_sel:BYTE_1
	v_and_b32_sdwa v119, v117, s16 dst_sel:DWORD dst_unused:UNUSED_PAD src0_sel:WORD_1 src1_sel:DWORD
	v_lshlrev_b16_sdwa v117, v166, v117 dst_sel:DWORD dst_unused:UNUSED_PAD src0_sel:DWORD src1_sel:WORD_1
	v_add_u16_e32 v117, 0xe000, v117
	v_or_b32_sdwa v117, v119, v117 dst_sel:DWORD dst_unused:UNUSED_PAD src0_sel:DWORD src1_sel:BYTE_1
	v_add_u16_e32 v118, 0xe000, v118
	v_add_u16_sdwa v117, v117, s17 dst_sel:WORD_1 dst_unused:UNUSED_PAD src0_sel:DWORD src1_sel:DWORD
	s_mov_b32 s20, 0
	v_or_b32_e32 v117, v118, v117
	ds_write_b32 v164, v117
	s_waitcnt vmcnt(9)
	v_ashrrev_i32_e32 v117, v77, v175
	v_ashrrev_i32_e32 v118, v79, v190
	v_and_b32_e32 v117, 0xf0f0f0f, v117
	v_lshlrev_b32_e32 v118, 4, v118
	v_and_or_b32 v117, v118, s11, v117
	v_lshlrev_b16_e32 v119, 8, v117
	v_and_b32_e32 v118, 0x3f00, v117
	v_add_u16_e32 v119, 0xe000, v119
	v_or_b32_sdwa v118, v118, v119 dst_sel:DWORD dst_unused:UNUSED_PAD src0_sel:DWORD src1_sel:BYTE_1
	v_and_b32_sdwa v119, v117, s16 dst_sel:DWORD dst_unused:UNUSED_PAD src0_sel:WORD_1 src1_sel:DWORD
	v_lshlrev_b16_sdwa v117, v166, v117 dst_sel:DWORD dst_unused:UNUSED_PAD src0_sel:DWORD src1_sel:WORD_1
	v_add_u16_e32 v117, 0xe000, v117
	v_or_b32_sdwa v117, v119, v117 dst_sel:DWORD dst_unused:UNUSED_PAD src0_sel:DWORD src1_sel:BYTE_1
	v_add_u16_e32 v118, 0xe000, v118
	v_add_u16_sdwa v117, v117, s17 dst_sel:WORD_1 dst_unused:UNUSED_PAD src0_sel:DWORD src1_sel:DWORD
	s_nop 0
	v_or_b32_e32 v117, v118, v117
	ds_write_b32 v165, v117
	s_waitcnt vmcnt(8)
	ds_write_b32 v95, v0
	s_waitcnt vmcnt(7)
	;; [unrolled: 2-line block ×6, first 2 shown]
	v_cvt_f32_f16_e32 v0, v5
	s_waitcnt vmcnt(2)
	ds_write_b32 v122, v6
	s_waitcnt vmcnt(1)
	ds_write_b32 v124, v7
	;; [unrolled: 2-line block ×3, first 2 shown]
	ds_write_b32 v89, v0
	s_waitcnt lgkmcnt(0)
	s_barrier
.LBB150_7:                              ;   Parent Loop BB150_6 Depth=1
                                        ; =>  This Inner Loop Header: Depth=2
	s_add_i32 s21, s22, 2
	s_and_b32 s23, s20, -16
	s_lshr_b32 s25, s21, 4
	v_add_u32_e32 v118, s23, v127
	s_and_b32 s24, s21, 0x3ffffff8
	s_lshl_b32 s23, s25, 3
	s_lshl_b32 s24, s24, 2
	v_add_lshl_u32 v180, v128, s23, 2
	v_add_u32_e32 v0, 0x9600, v169
	v_add_u32_e32 v119, s24, v129
	;; [unrolled: 1-line block ×3, first 2 shown]
	ds_read2_b32 v[116:117], v0 offset0:104 offset1:136
	ds_read_b128 v[4:7], v168 offset:25344
	ds_read_b128 v[0:3], v168 offset:25360
	ds_read2_b32 v[170:171], v119 offset1:1
	ds_read2_b32 v[172:173], v172 offset1:1
	s_lshl_b32 s25, s25, 2
	v_add_lshl_u32 v190, v131, s23, 2
	v_add_u32_e32 v184, 0x4200, v190
	s_waitcnt lgkmcnt(1)
	v_ashrrev_i32_e32 v170, s21, v170
	s_waitcnt lgkmcnt(0)
	v_ashrrev_i32_e32 v172, s19, v172
	v_lshlrev_b32_e32 v172, 2, v172
	v_and_b32_e32 v174, 0x3030303, v170
	v_bfe_u32 v170, v170, 24, 2
	v_and_b32_e32 v172, 0x4040404, v172
	v_ashrrev_i32_e32 v173, s19, v173
	v_sub_u16_e32 v175, v174, v172
	v_sub_u16_sdwa v176, v174, v172 dst_sel:BYTE_1 dst_unused:UNUSED_PAD src0_sel:BYTE_1 src1_sel:BYTE_1
	v_sub_u16_sdwa v170, v170, v172 dst_sel:BYTE_1 dst_unused:UNUSED_PAD src0_sel:DWORD src1_sel:BYTE_3
	v_sub_u16_sdwa v172, v174, v172 dst_sel:DWORD dst_unused:UNUSED_PAD src0_sel:WORD_1 src1_sel:WORD_1
	v_ashrrev_i32_e32 v171, s21, v171
	v_lshlrev_b32_e32 v173, 2, v173
	v_or_b32_sdwa v175, v175, v176 dst_sel:DWORD dst_unused:UNUSED_PAD src0_sel:BYTE_0 src1_sel:DWORD
	v_or_b32_sdwa v170, v172, v170 dst_sel:WORD_1 dst_unused:UNUSED_PAD src0_sel:BYTE_0 src1_sel:DWORD
	v_and_b32_e32 v172, 0x3030303, v171
	v_bfe_u32 v171, v171, 24, 2
	v_and_b32_e32 v173, 0x4040404, v173
	v_or_b32_sdwa v170, v175, v170 dst_sel:DWORD dst_unused:UNUSED_PAD src0_sel:WORD_0 src1_sel:DWORD
	v_sub_u16_e32 v174, v172, v173
	v_sub_u16_sdwa v175, v172, v173 dst_sel:BYTE_1 dst_unused:UNUSED_PAD src0_sel:BYTE_1 src1_sel:BYTE_1
	v_sub_u16_sdwa v171, v171, v173 dst_sel:BYTE_1 dst_unused:UNUSED_PAD src0_sel:DWORD src1_sel:BYTE_3
	v_sub_u16_sdwa v172, v172, v173 dst_sel:DWORD dst_unused:UNUSED_PAD src0_sel:WORD_1 src1_sel:WORD_1
	v_or_b32_sdwa v174, v174, v175 dst_sel:DWORD dst_unused:UNUSED_PAD src0_sel:BYTE_0 src1_sel:DWORD
	v_or_b32_sdwa v171, v172, v171 dst_sel:WORD_1 dst_unused:UNUSED_PAD src0_sel:BYTE_0 src1_sel:DWORD
	ds_read2_b32 v[172:173], v119 offset0:2 offset1:3
	v_or_b32_sdwa v171, v174, v171 dst_sel:DWORD dst_unused:UNUSED_PAD src0_sel:WORD_0 src1_sel:DWORD
	v_add_u32_e32 v174, 0x4208, v180
	ds_read2_b32 v[174:175], v174 offset1:1
	v_add_lshl_u32 v212, v137, s23, 2
	s_waitcnt lgkmcnt(1)
	v_ashrrev_i32_e32 v172, s21, v172
	v_and_b32_e32 v176, 0x3030303, v172
	v_bfe_u32 v172, v172, 24, 2
	s_waitcnt lgkmcnt(0)
	v_ashrrev_i32_e32 v174, s19, v174
	v_lshlrev_b32_e32 v174, 2, v174
	v_and_b32_e32 v174, 0x4040404, v174
	v_ashrrev_i32_e32 v175, s19, v175
	v_sub_u16_e32 v177, v176, v174
	v_sub_u16_sdwa v178, v176, v174 dst_sel:BYTE_1 dst_unused:UNUSED_PAD src0_sel:BYTE_1 src1_sel:BYTE_1
	v_sub_u16_sdwa v172, v172, v174 dst_sel:BYTE_1 dst_unused:UNUSED_PAD src0_sel:DWORD src1_sel:BYTE_3
	v_sub_u16_sdwa v174, v176, v174 dst_sel:DWORD dst_unused:UNUSED_PAD src0_sel:WORD_1 src1_sel:WORD_1
	v_ashrrev_i32_e32 v173, s21, v173
	v_lshlrev_b32_e32 v175, 2, v175
	v_or_b32_sdwa v177, v177, v178 dst_sel:DWORD dst_unused:UNUSED_PAD src0_sel:BYTE_0 src1_sel:DWORD
	v_or_b32_sdwa v172, v174, v172 dst_sel:WORD_1 dst_unused:UNUSED_PAD src0_sel:BYTE_0 src1_sel:DWORD
	v_and_b32_e32 v174, 0x3030303, v173
	v_bfe_u32 v173, v173, 24, 2
	v_and_b32_e32 v175, 0x4040404, v175
	v_or_b32_sdwa v172, v177, v172 dst_sel:DWORD dst_unused:UNUSED_PAD src0_sel:WORD_0 src1_sel:DWORD
	v_sub_u16_e32 v176, v174, v175
	v_sub_u16_sdwa v177, v174, v175 dst_sel:BYTE_1 dst_unused:UNUSED_PAD src0_sel:BYTE_1 src1_sel:BYTE_1
	v_sub_u16_sdwa v173, v173, v175 dst_sel:BYTE_1 dst_unused:UNUSED_PAD src0_sel:DWORD src1_sel:BYTE_3
	v_sub_u16_sdwa v174, v174, v175 dst_sel:DWORD dst_unused:UNUSED_PAD src0_sel:WORD_1 src1_sel:WORD_1
	v_or_b32_sdwa v176, v176, v177 dst_sel:DWORD dst_unused:UNUSED_PAD src0_sel:BYTE_0 src1_sel:DWORD
	v_or_b32_sdwa v173, v174, v173 dst_sel:WORD_1 dst_unused:UNUSED_PAD src0_sel:BYTE_0 src1_sel:DWORD
	v_add_lshl_u32 v202, v134, s23, 2
	v_or_b32_sdwa v173, v176, v173 dst_sel:DWORD dst_unused:UNUSED_PAD src0_sel:WORD_0 src1_sel:DWORD
	ds_read2_b32 v[176:177], v119 offset0:4 offset1:5
	v_add_u32_e32 v206, 0x4200, v212
                                        ; kill: def $vgpr215 killed $sgpr0 killed $exec
	s_add_i32 s20, s20, 2
	ds_read2_b32 v[184:185], v184 offset1:1
	ds_read2_b32 v[206:207], v206 offset1:1
	s_waitcnt lgkmcnt(2)
	v_ashrrev_i32_e32 v174, s21, v176
	v_add_u32_e32 v176, 0x4210, v180
	ds_read2_b32 v[178:179], v176 offset1:1
	v_and_b32_e32 v175, 0x3030303, v174
	v_bfe_u32 v174, v174, 24, 2
	s_waitcnt lgkmcnt(2)
	v_ashrrev_i32_e32 v184, s19, v184
	v_lshlrev_b32_e32 v184, 2, v184
	s_waitcnt lgkmcnt(0)
	v_ashrrev_i32_e32 v176, s19, v178
	v_lshlrev_b32_e32 v176, 2, v176
	v_and_b32_e32 v176, 0x4040404, v176
	v_sub_u16_e32 v178, v175, v176
	v_sub_u16_sdwa v181, v175, v176 dst_sel:BYTE_1 dst_unused:UNUSED_PAD src0_sel:BYTE_1 src1_sel:BYTE_1
	v_sub_u16_sdwa v174, v174, v176 dst_sel:BYTE_1 dst_unused:UNUSED_PAD src0_sel:DWORD src1_sel:BYTE_3
	v_sub_u16_sdwa v175, v175, v176 dst_sel:DWORD dst_unused:UNUSED_PAD src0_sel:WORD_1 src1_sel:WORD_1
	v_or_b32_sdwa v178, v178, v181 dst_sel:DWORD dst_unused:UNUSED_PAD src0_sel:BYTE_0 src1_sel:DWORD
	v_or_b32_sdwa v174, v175, v174 dst_sel:WORD_1 dst_unused:UNUSED_PAD src0_sel:BYTE_0 src1_sel:DWORD
	v_and_b32_e32 v184, 0x4040404, v184
	v_or_b32_sdwa v175, v178, v174 dst_sel:DWORD dst_unused:UNUSED_PAD src0_sel:WORD_0 src1_sel:DWORD
	v_ashrrev_i32_e32 v174, s21, v177
	v_ashrrev_i32_e32 v177, s19, v179
	v_lshlrev_b32_e32 v177, 2, v177
	v_and_b32_e32 v176, 0x3030303, v174
	v_bfe_u32 v174, v174, 24, 2
	v_and_b32_e32 v177, 0x4040404, v177
	v_sub_u16_e32 v178, v176, v177
	v_sub_u16_sdwa v179, v176, v177 dst_sel:BYTE_1 dst_unused:UNUSED_PAD src0_sel:BYTE_1 src1_sel:BYTE_1
	v_sub_u16_sdwa v174, v174, v177 dst_sel:BYTE_1 dst_unused:UNUSED_PAD src0_sel:DWORD src1_sel:BYTE_3
	v_sub_u16_sdwa v176, v176, v177 dst_sel:DWORD dst_unused:UNUSED_PAD src0_sel:WORD_1 src1_sel:WORD_1
	v_or_b32_sdwa v178, v178, v179 dst_sel:DWORD dst_unused:UNUSED_PAD src0_sel:BYTE_0 src1_sel:DWORD
	v_or_b32_sdwa v174, v176, v174 dst_sel:WORD_1 dst_unused:UNUSED_PAD src0_sel:BYTE_0 src1_sel:DWORD
	v_add_u32_e32 v177, 0x4218, v180
	v_or_b32_sdwa v176, v178, v174 dst_sel:DWORD dst_unused:UNUSED_PAD src0_sel:WORD_0 src1_sel:DWORD
	ds_read2_b32 v[178:179], v119 offset0:6 offset1:7
	ds_read2_b32 v[180:181], v177 offset1:1
	v_ashrrev_i32_e32 v206, s19, v206
	v_lshlrev_b32_e32 v206, 2, v206
	v_and_b32_e32 v206, 0x4040404, v206
	s_waitcnt lgkmcnt(1)
	v_ashrrev_i32_e32 v119, s21, v178
	s_waitcnt lgkmcnt(0)
	v_ashrrev_i32_e32 v177, s19, v180
	v_lshlrev_b32_e32 v177, 2, v177
	v_and_b32_e32 v174, 0x3030303, v119
	v_bfe_u32 v119, v119, 24, 2
	v_and_b32_e32 v177, 0x4040404, v177
	v_sub_u16_e32 v178, v174, v177
	v_sub_u16_sdwa v180, v174, v177 dst_sel:BYTE_1 dst_unused:UNUSED_PAD src0_sel:BYTE_1 src1_sel:BYTE_1
	v_sub_u16_sdwa v119, v119, v177 dst_sel:BYTE_1 dst_unused:UNUSED_PAD src0_sel:DWORD src1_sel:BYTE_3
	v_sub_u16_sdwa v174, v174, v177 dst_sel:DWORD dst_unused:UNUSED_PAD src0_sel:WORD_1 src1_sel:WORD_1
	v_or_b32_sdwa v178, v178, v180 dst_sel:DWORD dst_unused:UNUSED_PAD src0_sel:BYTE_0 src1_sel:DWORD
	v_or_b32_sdwa v119, v174, v119 dst_sel:WORD_1 dst_unused:UNUSED_PAD src0_sel:BYTE_0 src1_sel:DWORD
	s_nop 0
	v_or_b32_sdwa v177, v178, v119 dst_sel:DWORD dst_unused:UNUSED_PAD src0_sel:WORD_0 src1_sel:DWORD
	v_ashrrev_i32_e32 v178, s19, v181
	v_ashrrev_i32_e32 v119, s21, v179
	v_lshlrev_b32_e32 v178, 2, v178
	v_and_b32_e32 v174, 0x3030303, v119
	v_bfe_u32 v119, v119, 24, 2
	v_and_b32_e32 v178, 0x4040404, v178
	v_sub_u16_e32 v179, v174, v178
	v_sub_u16_sdwa v180, v174, v178 dst_sel:BYTE_1 dst_unused:UNUSED_PAD src0_sel:BYTE_1 src1_sel:BYTE_1
	v_sub_u16_sdwa v119, v119, v178 dst_sel:BYTE_1 dst_unused:UNUSED_PAD src0_sel:DWORD src1_sel:BYTE_3
	v_sub_u16_sdwa v174, v174, v178 dst_sel:DWORD dst_unused:UNUSED_PAD src0_sel:WORD_1 src1_sel:WORD_1
	v_or_b32_sdwa v179, v179, v180 dst_sel:DWORD dst_unused:UNUSED_PAD src0_sel:BYTE_0 src1_sel:DWORD
	v_or_b32_sdwa v119, v174, v119 dst_sel:WORD_1 dst_unused:UNUSED_PAD src0_sel:BYTE_0 src1_sel:DWORD
	v_add_u32_e32 v174, s25, v130
	v_or_b32_sdwa v178, v179, v119 dst_sel:DWORD dst_unused:UNUSED_PAD src0_sel:WORD_0 src1_sel:DWORD
	v_add3_u32 v119, v144, s22, v118
	ds_read_b32 v174, v174
	ds_read_u16 v119, v119 offset:8194
	v_mov_b32_e32 v180, 0
	v_dot4c_i32_i8_e32 v180, v170, v4
	v_dot4c_i32_i8_e32 v180, v171, v5
	;; [unrolled: 1-line block ×3, first 2 shown]
	s_waitcnt lgkmcnt(0)
	v_lshrrev_b16_e32 v181, 8, v119
	v_bfe_i32 v179, v119, 0, 8
	v_mov_b32_e32 v119, 0
	v_dot4c_i32_i8_e32 v119, v175, v0
	v_dot4c_i32_i8_e32 v119, v176, v1
	;; [unrolled: 1-line block ×5, first 2 shown]
	v_bfe_i32 v181, v181, 0, 8
	v_mul_lo_u32 v180, v180, v179
	s_nop 0
	v_mad_u64_u32 v[182:183], s[26:27], v119, v181, v[180:181]
	v_cvt_f32_i32_e32 v180, v182
	v_mul_f32_e32 v119, v116, v174
	v_fmac_f32_e32 v105, v119, v180
	v_add_u32_e32 v119, s24, v132
	ds_read2_b32 v[182:183], v119 offset1:1
	s_waitcnt lgkmcnt(0)
	v_ashrrev_i32_e32 v180, s21, v182
	v_and_b32_e32 v182, 0x3030303, v180
	v_bfe_u32 v180, v180, 24, 2
	v_sub_u16_e32 v186, v182, v184
	v_sub_u16_sdwa v187, v182, v184 dst_sel:BYTE_1 dst_unused:UNUSED_PAD src0_sel:BYTE_1 src1_sel:BYTE_1
	v_sub_u16_sdwa v180, v180, v184 dst_sel:BYTE_1 dst_unused:UNUSED_PAD src0_sel:DWORD src1_sel:BYTE_3
	v_sub_u16_sdwa v182, v182, v184 dst_sel:DWORD dst_unused:UNUSED_PAD src0_sel:WORD_1 src1_sel:WORD_1
	v_ashrrev_i32_e32 v184, s19, v185
	v_or_b32_sdwa v180, v182, v180 dst_sel:WORD_1 dst_unused:UNUSED_PAD src0_sel:BYTE_0 src1_sel:DWORD
	v_ashrrev_i32_e32 v182, s21, v183
	v_lshlrev_b32_e32 v184, 2, v184
	v_or_b32_sdwa v186, v186, v187 dst_sel:DWORD dst_unused:UNUSED_PAD src0_sel:BYTE_0 src1_sel:DWORD
	v_and_b32_e32 v183, 0x3030303, v182
	v_bfe_u32 v182, v182, 24, 2
	v_and_b32_e32 v184, 0x4040404, v184
	v_or_b32_sdwa v180, v186, v180 dst_sel:DWORD dst_unused:UNUSED_PAD src0_sel:WORD_0 src1_sel:DWORD
	v_sub_u16_e32 v185, v183, v184
	v_sub_u16_sdwa v186, v183, v184 dst_sel:BYTE_1 dst_unused:UNUSED_PAD src0_sel:BYTE_1 src1_sel:BYTE_1
	v_sub_u16_sdwa v182, v182, v184 dst_sel:BYTE_1 dst_unused:UNUSED_PAD src0_sel:DWORD src1_sel:BYTE_3
	v_sub_u16_sdwa v183, v183, v184 dst_sel:DWORD dst_unused:UNUSED_PAD src0_sel:WORD_1 src1_sel:WORD_1
	v_or_b32_sdwa v185, v185, v186 dst_sel:DWORD dst_unused:UNUSED_PAD src0_sel:BYTE_0 src1_sel:DWORD
	v_or_b32_sdwa v182, v183, v182 dst_sel:WORD_1 dst_unused:UNUSED_PAD src0_sel:BYTE_0 src1_sel:DWORD
	v_add_u32_e32 v186, 0x4208, v190
	v_or_b32_sdwa v182, v185, v182 dst_sel:DWORD dst_unused:UNUSED_PAD src0_sel:WORD_0 src1_sel:DWORD
	ds_read2_b32 v[184:185], v119 offset0:2 offset1:3
	ds_read2_b32 v[186:187], v186 offset1:1
	s_waitcnt lgkmcnt(1)
	v_ashrrev_i32_e32 v183, s21, v184
	s_waitcnt lgkmcnt(0)
	v_ashrrev_i32_e32 v186, s19, v186
	v_lshlrev_b32_e32 v186, 2, v186
	v_and_b32_e32 v184, 0x3030303, v183
	v_bfe_u32 v183, v183, 24, 2
	v_and_b32_e32 v186, 0x4040404, v186
	v_sub_u16_e32 v188, v184, v186
	v_sub_u16_sdwa v189, v184, v186 dst_sel:BYTE_1 dst_unused:UNUSED_PAD src0_sel:BYTE_1 src1_sel:BYTE_1
	v_sub_u16_sdwa v183, v183, v186 dst_sel:BYTE_1 dst_unused:UNUSED_PAD src0_sel:DWORD src1_sel:BYTE_3
	v_sub_u16_sdwa v184, v184, v186 dst_sel:DWORD dst_unused:UNUSED_PAD src0_sel:WORD_1 src1_sel:WORD_1
	v_ashrrev_i32_e32 v186, s19, v187
	v_or_b32_sdwa v183, v184, v183 dst_sel:WORD_1 dst_unused:UNUSED_PAD src0_sel:BYTE_0 src1_sel:DWORD
	v_ashrrev_i32_e32 v184, s21, v185
	v_lshlrev_b32_e32 v186, 2, v186
	v_or_b32_sdwa v188, v188, v189 dst_sel:DWORD dst_unused:UNUSED_PAD src0_sel:BYTE_0 src1_sel:DWORD
	v_and_b32_e32 v185, 0x3030303, v184
	v_bfe_u32 v184, v184, 24, 2
	v_and_b32_e32 v186, 0x4040404, v186
	v_or_b32_sdwa v183, v188, v183 dst_sel:DWORD dst_unused:UNUSED_PAD src0_sel:WORD_0 src1_sel:DWORD
	v_sub_u16_e32 v187, v185, v186
	v_sub_u16_sdwa v188, v185, v186 dst_sel:BYTE_1 dst_unused:UNUSED_PAD src0_sel:BYTE_1 src1_sel:BYTE_1
	v_sub_u16_sdwa v184, v184, v186 dst_sel:BYTE_1 dst_unused:UNUSED_PAD src0_sel:DWORD src1_sel:BYTE_3
	v_sub_u16_sdwa v185, v185, v186 dst_sel:DWORD dst_unused:UNUSED_PAD src0_sel:WORD_1 src1_sel:WORD_1
	v_or_b32_sdwa v187, v187, v188 dst_sel:DWORD dst_unused:UNUSED_PAD src0_sel:BYTE_0 src1_sel:DWORD
	v_or_b32_sdwa v184, v185, v184 dst_sel:WORD_1 dst_unused:UNUSED_PAD src0_sel:BYTE_0 src1_sel:DWORD
	v_add_u32_e32 v188, 0x4210, v190
	v_or_b32_sdwa v184, v187, v184 dst_sel:DWORD dst_unused:UNUSED_PAD src0_sel:WORD_0 src1_sel:DWORD
	ds_read2_b32 v[186:187], v119 offset0:4 offset1:5
	ds_read2_b32 v[188:189], v188 offset1:1
	s_waitcnt lgkmcnt(1)
	v_ashrrev_i32_e32 v185, s21, v186
	s_waitcnt lgkmcnt(0)
	v_ashrrev_i32_e32 v188, s19, v188
	v_lshlrev_b32_e32 v188, 2, v188
	v_and_b32_e32 v186, 0x3030303, v185
	v_bfe_u32 v185, v185, 24, 2
	v_and_b32_e32 v188, 0x4040404, v188
	v_sub_u16_e32 v191, v186, v188
	v_sub_u16_sdwa v192, v186, v188 dst_sel:BYTE_1 dst_unused:UNUSED_PAD src0_sel:BYTE_1 src1_sel:BYTE_1
	v_sub_u16_sdwa v185, v185, v188 dst_sel:BYTE_1 dst_unused:UNUSED_PAD src0_sel:DWORD src1_sel:BYTE_3
	v_sub_u16_sdwa v186, v186, v188 dst_sel:DWORD dst_unused:UNUSED_PAD src0_sel:WORD_1 src1_sel:WORD_1
	v_ashrrev_i32_e32 v188, s19, v189
	v_or_b32_sdwa v185, v186, v185 dst_sel:WORD_1 dst_unused:UNUSED_PAD src0_sel:BYTE_0 src1_sel:DWORD
	v_ashrrev_i32_e32 v186, s21, v187
	v_lshlrev_b32_e32 v188, 2, v188
	v_or_b32_sdwa v191, v191, v192 dst_sel:DWORD dst_unused:UNUSED_PAD src0_sel:BYTE_0 src1_sel:DWORD
	v_and_b32_e32 v187, 0x3030303, v186
	v_bfe_u32 v186, v186, 24, 2
	v_and_b32_e32 v188, 0x4040404, v188
	v_or_b32_sdwa v185, v191, v185 dst_sel:DWORD dst_unused:UNUSED_PAD src0_sel:WORD_0 src1_sel:DWORD
	v_sub_u16_e32 v189, v187, v188
	v_sub_u16_sdwa v191, v187, v188 dst_sel:BYTE_1 dst_unused:UNUSED_PAD src0_sel:BYTE_1 src1_sel:BYTE_1
	v_sub_u16_sdwa v186, v186, v188 dst_sel:BYTE_1 dst_unused:UNUSED_PAD src0_sel:DWORD src1_sel:BYTE_3
	v_sub_u16_sdwa v187, v187, v188 dst_sel:DWORD dst_unused:UNUSED_PAD src0_sel:WORD_1 src1_sel:WORD_1
	v_or_b32_sdwa v189, v189, v191 dst_sel:DWORD dst_unused:UNUSED_PAD src0_sel:BYTE_0 src1_sel:DWORD
	v_or_b32_sdwa v186, v187, v186 dst_sel:WORD_1 dst_unused:UNUSED_PAD src0_sel:BYTE_0 src1_sel:DWORD
	s_nop 0
	v_or_b32_sdwa v187, v189, v186 dst_sel:DWORD dst_unused:UNUSED_PAD src0_sel:WORD_0 src1_sel:DWORD
	ds_read2_b32 v[188:189], v119 offset0:6 offset1:7
	s_waitcnt lgkmcnt(0)
	v_ashrrev_i32_e32 v119, s21, v188
	v_add_u32_e32 v188, 0x4218, v190
	ds_read2_b32 v[190:191], v188 offset1:1
	v_and_b32_e32 v186, 0x3030303, v119
	v_bfe_u32 v119, v119, 24, 2
	s_waitcnt lgkmcnt(0)
	v_ashrrev_i32_e32 v188, s19, v190
	v_lshlrev_b32_e32 v188, 2, v188
	v_and_b32_e32 v188, 0x4040404, v188
	v_sub_u16_e32 v190, v186, v188
	v_sub_u16_sdwa v192, v186, v188 dst_sel:BYTE_1 dst_unused:UNUSED_PAD src0_sel:BYTE_1 src1_sel:BYTE_1
	v_sub_u16_sdwa v119, v119, v188 dst_sel:BYTE_1 dst_unused:UNUSED_PAD src0_sel:DWORD src1_sel:BYTE_3
	v_sub_u16_sdwa v186, v186, v188 dst_sel:DWORD dst_unused:UNUSED_PAD src0_sel:WORD_1 src1_sel:WORD_1
	v_or_b32_sdwa v190, v190, v192 dst_sel:DWORD dst_unused:UNUSED_PAD src0_sel:BYTE_0 src1_sel:DWORD
	v_or_b32_sdwa v119, v186, v119 dst_sel:WORD_1 dst_unused:UNUSED_PAD src0_sel:BYTE_0 src1_sel:DWORD
	s_nop 0
	v_or_b32_sdwa v188, v190, v119 dst_sel:DWORD dst_unused:UNUSED_PAD src0_sel:WORD_0 src1_sel:DWORD
	v_ashrrev_i32_e32 v119, s21, v189
	v_ashrrev_i32_e32 v189, s19, v191
	v_lshlrev_b32_e32 v189, 2, v189
	v_and_b32_e32 v186, 0x3030303, v119
	v_bfe_u32 v119, v119, 24, 2
	v_and_b32_e32 v189, 0x4040404, v189
	v_sub_u16_e32 v190, v186, v189
	v_sub_u16_sdwa v191, v186, v189 dst_sel:BYTE_1 dst_unused:UNUSED_PAD src0_sel:BYTE_1 src1_sel:BYTE_1
	v_sub_u16_sdwa v119, v119, v189 dst_sel:BYTE_1 dst_unused:UNUSED_PAD src0_sel:DWORD src1_sel:BYTE_3
	v_sub_u16_sdwa v186, v186, v189 dst_sel:DWORD dst_unused:UNUSED_PAD src0_sel:WORD_1 src1_sel:WORD_1
	v_or_b32_sdwa v190, v190, v191 dst_sel:DWORD dst_unused:UNUSED_PAD src0_sel:BYTE_0 src1_sel:DWORD
	v_or_b32_sdwa v119, v186, v119 dst_sel:WORD_1 dst_unused:UNUSED_PAD src0_sel:BYTE_0 src1_sel:DWORD
	v_add_u32_e32 v186, s25, v133
	v_or_b32_sdwa v189, v190, v119 dst_sel:DWORD dst_unused:UNUSED_PAD src0_sel:WORD_0 src1_sel:DWORD
	v_add3_u32 v119, v146, s22, v118
	ds_read_b32 v186, v186
	ds_read_u16 v119, v119 offset:9218
	v_mov_b32_e32 v191, 0
	v_dot4c_i32_i8_e32 v191, v180, v4
	v_dot4c_i32_i8_e32 v191, v182, v5
	v_dot4c_i32_i8_e32 v191, v183, v6
	s_waitcnt lgkmcnt(0)
	v_lshrrev_b16_e32 v192, 8, v119
	v_bfe_i32 v190, v119, 0, 8
	v_mov_b32_e32 v119, 0
	v_dot4c_i32_i8_e32 v119, v185, v0
	v_dot4c_i32_i8_e32 v119, v187, v1
	;; [unrolled: 1-line block ×5, first 2 shown]
	v_bfe_i32 v192, v192, 0, 8
	v_mul_lo_u32 v194, v191, v190
	s_nop 0
	v_mad_u64_u32 v[194:195], s[26:27], v119, v192, v[194:195]
	v_cvt_f32_i32_e32 v191, v194
	v_mul_f32_e32 v119, v116, v186
	v_fmac_f32_e32 v87, v119, v191
	v_add_u32_e32 v119, s24, v135
	ds_read2_b32 v[194:195], v119 offset1:1
	s_waitcnt lgkmcnt(0)
	v_ashrrev_i32_e32 v191, s21, v194
	v_add_u32_e32 v194, 0x4200, v202
	ds_read2_b32 v[196:197], v194 offset1:1
	v_and_b32_e32 v193, 0x3030303, v191
	v_bfe_u32 v191, v191, 24, 2
	s_waitcnt lgkmcnt(0)
	v_ashrrev_i32_e32 v194, s19, v196
	v_lshlrev_b32_e32 v194, 2, v194
	v_and_b32_e32 v194, 0x4040404, v194
	v_sub_u16_e32 v196, v193, v194
	v_sub_u16_sdwa v198, v193, v194 dst_sel:BYTE_1 dst_unused:UNUSED_PAD src0_sel:BYTE_1 src1_sel:BYTE_1
	v_sub_u16_sdwa v191, v191, v194 dst_sel:BYTE_1 dst_unused:UNUSED_PAD src0_sel:DWORD src1_sel:BYTE_3
	v_sub_u16_sdwa v193, v193, v194 dst_sel:DWORD dst_unused:UNUSED_PAD src0_sel:WORD_1 src1_sel:WORD_1
	v_or_b32_sdwa v191, v193, v191 dst_sel:WORD_1 dst_unused:UNUSED_PAD src0_sel:BYTE_0 src1_sel:DWORD
	v_ashrrev_i32_e32 v193, s21, v195
	v_ashrrev_i32_e32 v195, s19, v197
	v_lshlrev_b32_e32 v195, 2, v195
	v_or_b32_sdwa v196, v196, v198 dst_sel:DWORD dst_unused:UNUSED_PAD src0_sel:BYTE_0 src1_sel:DWORD
	v_and_b32_e32 v194, 0x3030303, v193
	v_bfe_u32 v193, v193, 24, 2
	v_and_b32_e32 v195, 0x4040404, v195
	v_or_b32_sdwa v191, v196, v191 dst_sel:DWORD dst_unused:UNUSED_PAD src0_sel:WORD_0 src1_sel:DWORD
	v_sub_u16_e32 v196, v194, v195
	v_sub_u16_sdwa v197, v194, v195 dst_sel:BYTE_1 dst_unused:UNUSED_PAD src0_sel:BYTE_1 src1_sel:BYTE_1
	v_sub_u16_sdwa v193, v193, v195 dst_sel:BYTE_1 dst_unused:UNUSED_PAD src0_sel:DWORD src1_sel:BYTE_3
	v_sub_u16_sdwa v194, v194, v195 dst_sel:DWORD dst_unused:UNUSED_PAD src0_sel:WORD_1 src1_sel:WORD_1
	v_or_b32_sdwa v196, v196, v197 dst_sel:DWORD dst_unused:UNUSED_PAD src0_sel:BYTE_0 src1_sel:DWORD
	v_or_b32_sdwa v193, v194, v193 dst_sel:WORD_1 dst_unused:UNUSED_PAD src0_sel:BYTE_0 src1_sel:DWORD
	ds_read2_b32 v[194:195], v119 offset0:2 offset1:3
	v_or_b32_sdwa v193, v196, v193 dst_sel:DWORD dst_unused:UNUSED_PAD src0_sel:WORD_0 src1_sel:DWORD
	v_add_u32_e32 v196, 0x4208, v202
	ds_read2_b32 v[196:197], v196 offset1:1
	s_waitcnt lgkmcnt(1)
	v_ashrrev_i32_e32 v194, s21, v194
	v_and_b32_e32 v198, 0x3030303, v194
	v_bfe_u32 v194, v194, 24, 2
	s_waitcnt lgkmcnt(0)
	v_ashrrev_i32_e32 v196, s19, v196
	v_lshlrev_b32_e32 v196, 2, v196
	v_and_b32_e32 v196, 0x4040404, v196
	v_ashrrev_i32_e32 v197, s19, v197
	v_sub_u16_e32 v199, v198, v196
	v_sub_u16_sdwa v200, v198, v196 dst_sel:BYTE_1 dst_unused:UNUSED_PAD src0_sel:BYTE_1 src1_sel:BYTE_1
	v_sub_u16_sdwa v194, v194, v196 dst_sel:BYTE_1 dst_unused:UNUSED_PAD src0_sel:DWORD src1_sel:BYTE_3
	v_sub_u16_sdwa v196, v198, v196 dst_sel:DWORD dst_unused:UNUSED_PAD src0_sel:WORD_1 src1_sel:WORD_1
	v_ashrrev_i32_e32 v195, s21, v195
	v_lshlrev_b32_e32 v197, 2, v197
	v_or_b32_sdwa v199, v199, v200 dst_sel:DWORD dst_unused:UNUSED_PAD src0_sel:BYTE_0 src1_sel:DWORD
	v_or_b32_sdwa v194, v196, v194 dst_sel:WORD_1 dst_unused:UNUSED_PAD src0_sel:BYTE_0 src1_sel:DWORD
	v_and_b32_e32 v196, 0x3030303, v195
	v_bfe_u32 v195, v195, 24, 2
	v_and_b32_e32 v197, 0x4040404, v197
	v_or_b32_sdwa v194, v199, v194 dst_sel:DWORD dst_unused:UNUSED_PAD src0_sel:WORD_0 src1_sel:DWORD
	v_sub_u16_e32 v198, v196, v197
	v_sub_u16_sdwa v199, v196, v197 dst_sel:BYTE_1 dst_unused:UNUSED_PAD src0_sel:BYTE_1 src1_sel:BYTE_1
	v_sub_u16_sdwa v195, v195, v197 dst_sel:BYTE_1 dst_unused:UNUSED_PAD src0_sel:DWORD src1_sel:BYTE_3
	v_sub_u16_sdwa v196, v196, v197 dst_sel:DWORD dst_unused:UNUSED_PAD src0_sel:WORD_1 src1_sel:WORD_1
	v_or_b32_sdwa v198, v198, v199 dst_sel:DWORD dst_unused:UNUSED_PAD src0_sel:BYTE_0 src1_sel:DWORD
	v_or_b32_sdwa v195, v196, v195 dst_sel:WORD_1 dst_unused:UNUSED_PAD src0_sel:BYTE_0 src1_sel:DWORD
	ds_read2_b32 v[196:197], v119 offset0:4 offset1:5
	v_or_b32_sdwa v195, v198, v195 dst_sel:DWORD dst_unused:UNUSED_PAD src0_sel:WORD_0 src1_sel:DWORD
	v_add_u32_e32 v198, 0x4210, v202
	ds_read2_b32 v[198:199], v198 offset1:1
	s_waitcnt lgkmcnt(1)
	v_ashrrev_i32_e32 v196, s21, v196
	v_and_b32_e32 v200, 0x3030303, v196
	v_bfe_u32 v196, v196, 24, 2
	s_waitcnt lgkmcnt(0)
	v_ashrrev_i32_e32 v198, s19, v198
	v_lshlrev_b32_e32 v198, 2, v198
	v_and_b32_e32 v198, 0x4040404, v198
	v_ashrrev_i32_e32 v199, s19, v199
	v_sub_u16_e32 v201, v200, v198
	v_sub_u16_sdwa v203, v200, v198 dst_sel:BYTE_1 dst_unused:UNUSED_PAD src0_sel:BYTE_1 src1_sel:BYTE_1
	v_sub_u16_sdwa v196, v196, v198 dst_sel:BYTE_1 dst_unused:UNUSED_PAD src0_sel:DWORD src1_sel:BYTE_3
	v_sub_u16_sdwa v198, v200, v198 dst_sel:DWORD dst_unused:UNUSED_PAD src0_sel:WORD_1 src1_sel:WORD_1
	v_ashrrev_i32_e32 v197, s21, v197
	v_lshlrev_b32_e32 v199, 2, v199
	v_or_b32_sdwa v201, v201, v203 dst_sel:DWORD dst_unused:UNUSED_PAD src0_sel:BYTE_0 src1_sel:DWORD
	v_or_b32_sdwa v196, v198, v196 dst_sel:WORD_1 dst_unused:UNUSED_PAD src0_sel:BYTE_0 src1_sel:DWORD
	v_and_b32_e32 v198, 0x3030303, v197
	v_bfe_u32 v197, v197, 24, 2
	v_and_b32_e32 v199, 0x4040404, v199
	v_or_b32_sdwa v196, v201, v196 dst_sel:DWORD dst_unused:UNUSED_PAD src0_sel:WORD_0 src1_sel:DWORD
	v_sub_u16_e32 v200, v198, v199
	v_sub_u16_sdwa v201, v198, v199 dst_sel:BYTE_1 dst_unused:UNUSED_PAD src0_sel:BYTE_1 src1_sel:BYTE_1
	v_sub_u16_sdwa v197, v197, v199 dst_sel:BYTE_1 dst_unused:UNUSED_PAD src0_sel:DWORD src1_sel:BYTE_3
	v_sub_u16_sdwa v198, v198, v199 dst_sel:DWORD dst_unused:UNUSED_PAD src0_sel:WORD_1 src1_sel:WORD_1
	v_or_b32_sdwa v200, v200, v201 dst_sel:DWORD dst_unused:UNUSED_PAD src0_sel:BYTE_0 src1_sel:DWORD
	v_or_b32_sdwa v197, v198, v197 dst_sel:WORD_1 dst_unused:UNUSED_PAD src0_sel:BYTE_0 src1_sel:DWORD
	v_add_u32_e32 v199, 0x4218, v202
	v_or_b32_sdwa v198, v200, v197 dst_sel:DWORD dst_unused:UNUSED_PAD src0_sel:WORD_0 src1_sel:DWORD
	ds_read2_b32 v[200:201], v119 offset0:6 offset1:7
	ds_read2_b32 v[202:203], v199 offset1:1
	s_waitcnt lgkmcnt(1)
	v_ashrrev_i32_e32 v119, s21, v200
	s_waitcnt lgkmcnt(0)
	v_ashrrev_i32_e32 v199, s19, v202
	v_lshlrev_b32_e32 v199, 2, v199
	v_and_b32_e32 v197, 0x3030303, v119
	v_bfe_u32 v119, v119, 24, 2
	v_and_b32_e32 v199, 0x4040404, v199
	v_sub_u16_e32 v200, v197, v199
	v_sub_u16_sdwa v202, v197, v199 dst_sel:BYTE_1 dst_unused:UNUSED_PAD src0_sel:BYTE_1 src1_sel:BYTE_1
	v_sub_u16_sdwa v119, v119, v199 dst_sel:BYTE_1 dst_unused:UNUSED_PAD src0_sel:DWORD src1_sel:BYTE_3
	v_sub_u16_sdwa v197, v197, v199 dst_sel:DWORD dst_unused:UNUSED_PAD src0_sel:WORD_1 src1_sel:WORD_1
	v_or_b32_sdwa v200, v200, v202 dst_sel:DWORD dst_unused:UNUSED_PAD src0_sel:BYTE_0 src1_sel:DWORD
	v_or_b32_sdwa v119, v197, v119 dst_sel:WORD_1 dst_unused:UNUSED_PAD src0_sel:BYTE_0 src1_sel:DWORD
	s_nop 0
	v_or_b32_sdwa v199, v200, v119 dst_sel:DWORD dst_unused:UNUSED_PAD src0_sel:WORD_0 src1_sel:DWORD
	v_ashrrev_i32_e32 v200, s19, v203
	v_ashrrev_i32_e32 v119, s21, v201
	v_lshlrev_b32_e32 v200, 2, v200
	v_and_b32_e32 v197, 0x3030303, v119
	v_bfe_u32 v119, v119, 24, 2
	v_and_b32_e32 v200, 0x4040404, v200
	v_sub_u16_e32 v201, v197, v200
	v_sub_u16_sdwa v202, v197, v200 dst_sel:BYTE_1 dst_unused:UNUSED_PAD src0_sel:BYTE_1 src1_sel:BYTE_1
	v_sub_u16_sdwa v119, v119, v200 dst_sel:BYTE_1 dst_unused:UNUSED_PAD src0_sel:DWORD src1_sel:BYTE_3
	v_sub_u16_sdwa v197, v197, v200 dst_sel:DWORD dst_unused:UNUSED_PAD src0_sel:WORD_1 src1_sel:WORD_1
	v_or_b32_sdwa v201, v201, v202 dst_sel:DWORD dst_unused:UNUSED_PAD src0_sel:BYTE_0 src1_sel:DWORD
	v_or_b32_sdwa v119, v197, v119 dst_sel:WORD_1 dst_unused:UNUSED_PAD src0_sel:BYTE_0 src1_sel:DWORD
	v_add_u32_e32 v197, s25, v136
	v_or_b32_sdwa v200, v201, v119 dst_sel:DWORD dst_unused:UNUSED_PAD src0_sel:WORD_0 src1_sel:DWORD
	v_add3_u32 v119, v148, s22, v118
	ds_read_b32 v197, v197
	ds_read_u16 v119, v119 offset:10242
	v_mov_b32_e32 v202, 0
	v_dot4c_i32_i8_e32 v202, v191, v4
	v_dot4c_i32_i8_e32 v202, v193, v5
	;; [unrolled: 1-line block ×3, first 2 shown]
	s_waitcnt lgkmcnt(0)
	v_lshrrev_b16_e32 v203, 8, v119
	v_bfe_i32 v201, v119, 0, 8
	v_mov_b32_e32 v119, 0
	v_dot4c_i32_i8_e32 v119, v196, v0
	v_dot4c_i32_i8_e32 v119, v198, v1
	;; [unrolled: 1-line block ×5, first 2 shown]
	v_bfe_i32 v203, v203, 0, 8
	v_mul_lo_u32 v202, v202, v201
	v_add3_u32 v118, v150, s22, v118
	v_mad_u64_u32 v[204:205], s[26:27], v119, v203, v[202:203]
	v_cvt_f32_i32_e32 v202, v204
	v_mul_f32_e32 v119, v116, v197
	v_fmac_f32_e32 v85, v119, v202
	v_add_u32_e32 v119, s24, v138
	ds_read2_b32 v[204:205], v119 offset1:1
	s_waitcnt lgkmcnt(0)
	v_ashrrev_i32_e32 v202, s21, v204
	v_and_b32_e32 v204, 0x3030303, v202
	v_bfe_u32 v202, v202, 24, 2
	v_sub_u16_e32 v208, v204, v206
	v_sub_u16_sdwa v209, v204, v206 dst_sel:BYTE_1 dst_unused:UNUSED_PAD src0_sel:BYTE_1 src1_sel:BYTE_1
	v_sub_u16_sdwa v202, v202, v206 dst_sel:BYTE_1 dst_unused:UNUSED_PAD src0_sel:DWORD src1_sel:BYTE_3
	v_sub_u16_sdwa v204, v204, v206 dst_sel:DWORD dst_unused:UNUSED_PAD src0_sel:WORD_1 src1_sel:WORD_1
	v_ashrrev_i32_e32 v206, s19, v207
	v_or_b32_sdwa v202, v204, v202 dst_sel:WORD_1 dst_unused:UNUSED_PAD src0_sel:BYTE_0 src1_sel:DWORD
	v_ashrrev_i32_e32 v204, s21, v205
	v_lshlrev_b32_e32 v206, 2, v206
	v_or_b32_sdwa v208, v208, v209 dst_sel:DWORD dst_unused:UNUSED_PAD src0_sel:BYTE_0 src1_sel:DWORD
	v_and_b32_e32 v205, 0x3030303, v204
	v_bfe_u32 v204, v204, 24, 2
	v_and_b32_e32 v206, 0x4040404, v206
	v_or_b32_sdwa v202, v208, v202 dst_sel:DWORD dst_unused:UNUSED_PAD src0_sel:WORD_0 src1_sel:DWORD
	v_sub_u16_e32 v207, v205, v206
	v_sub_u16_sdwa v208, v205, v206 dst_sel:BYTE_1 dst_unused:UNUSED_PAD src0_sel:BYTE_1 src1_sel:BYTE_1
	v_sub_u16_sdwa v204, v204, v206 dst_sel:BYTE_1 dst_unused:UNUSED_PAD src0_sel:DWORD src1_sel:BYTE_3
	v_sub_u16_sdwa v205, v205, v206 dst_sel:DWORD dst_unused:UNUSED_PAD src0_sel:WORD_1 src1_sel:WORD_1
	v_or_b32_sdwa v207, v207, v208 dst_sel:DWORD dst_unused:UNUSED_PAD src0_sel:BYTE_0 src1_sel:DWORD
	v_or_b32_sdwa v204, v205, v204 dst_sel:WORD_1 dst_unused:UNUSED_PAD src0_sel:BYTE_0 src1_sel:DWORD
	v_add_u32_e32 v208, 0x4208, v212
	v_or_b32_sdwa v204, v207, v204 dst_sel:DWORD dst_unused:UNUSED_PAD src0_sel:WORD_0 src1_sel:DWORD
	ds_read2_b32 v[206:207], v119 offset0:2 offset1:3
	ds_read2_b32 v[208:209], v208 offset1:1
	s_waitcnt lgkmcnt(1)
	v_ashrrev_i32_e32 v205, s21, v206
	s_waitcnt lgkmcnt(0)
	v_ashrrev_i32_e32 v208, s19, v208
	v_lshlrev_b32_e32 v208, 2, v208
	v_and_b32_e32 v206, 0x3030303, v205
	v_bfe_u32 v205, v205, 24, 2
	v_and_b32_e32 v208, 0x4040404, v208
	v_sub_u16_e32 v210, v206, v208
	v_sub_u16_sdwa v211, v206, v208 dst_sel:BYTE_1 dst_unused:UNUSED_PAD src0_sel:BYTE_1 src1_sel:BYTE_1
	v_sub_u16_sdwa v205, v205, v208 dst_sel:BYTE_1 dst_unused:UNUSED_PAD src0_sel:DWORD src1_sel:BYTE_3
	v_sub_u16_sdwa v206, v206, v208 dst_sel:DWORD dst_unused:UNUSED_PAD src0_sel:WORD_1 src1_sel:WORD_1
	v_ashrrev_i32_e32 v208, s19, v209
	v_or_b32_sdwa v205, v206, v205 dst_sel:WORD_1 dst_unused:UNUSED_PAD src0_sel:BYTE_0 src1_sel:DWORD
	v_ashrrev_i32_e32 v206, s21, v207
	v_lshlrev_b32_e32 v208, 2, v208
	v_or_b32_sdwa v210, v210, v211 dst_sel:DWORD dst_unused:UNUSED_PAD src0_sel:BYTE_0 src1_sel:DWORD
	v_and_b32_e32 v207, 0x3030303, v206
	v_bfe_u32 v206, v206, 24, 2
	v_and_b32_e32 v208, 0x4040404, v208
	v_or_b32_sdwa v205, v210, v205 dst_sel:DWORD dst_unused:UNUSED_PAD src0_sel:WORD_0 src1_sel:DWORD
	v_sub_u16_e32 v209, v207, v208
	v_sub_u16_sdwa v210, v207, v208 dst_sel:BYTE_1 dst_unused:UNUSED_PAD src0_sel:BYTE_1 src1_sel:BYTE_1
	v_sub_u16_sdwa v206, v206, v208 dst_sel:BYTE_1 dst_unused:UNUSED_PAD src0_sel:DWORD src1_sel:BYTE_3
	v_sub_u16_sdwa v207, v207, v208 dst_sel:DWORD dst_unused:UNUSED_PAD src0_sel:WORD_1 src1_sel:WORD_1
	v_or_b32_sdwa v209, v209, v210 dst_sel:DWORD dst_unused:UNUSED_PAD src0_sel:BYTE_0 src1_sel:DWORD
	v_or_b32_sdwa v206, v207, v206 dst_sel:WORD_1 dst_unused:UNUSED_PAD src0_sel:BYTE_0 src1_sel:DWORD
	v_add_u32_e32 v210, 0x4210, v212
	v_or_b32_sdwa v206, v209, v206 dst_sel:DWORD dst_unused:UNUSED_PAD src0_sel:WORD_0 src1_sel:DWORD
	ds_read2_b32 v[208:209], v119 offset0:4 offset1:5
	ds_read2_b32 v[210:211], v210 offset1:1
	s_waitcnt lgkmcnt(1)
	v_ashrrev_i32_e32 v207, s21, v208
	s_waitcnt lgkmcnt(0)
	v_ashrrev_i32_e32 v210, s19, v210
	v_lshlrev_b32_e32 v210, 2, v210
	v_and_b32_e32 v208, 0x3030303, v207
	v_bfe_u32 v207, v207, 24, 2
	v_and_b32_e32 v210, 0x4040404, v210
	v_sub_u16_e32 v213, v208, v210
	v_sub_u16_sdwa v214, v208, v210 dst_sel:BYTE_1 dst_unused:UNUSED_PAD src0_sel:BYTE_1 src1_sel:BYTE_1
	v_sub_u16_sdwa v207, v207, v210 dst_sel:BYTE_1 dst_unused:UNUSED_PAD src0_sel:DWORD src1_sel:BYTE_3
	v_sub_u16_sdwa v208, v208, v210 dst_sel:DWORD dst_unused:UNUSED_PAD src0_sel:WORD_1 src1_sel:WORD_1
	v_ashrrev_i32_e32 v210, s19, v211
	v_or_b32_sdwa v207, v208, v207 dst_sel:WORD_1 dst_unused:UNUSED_PAD src0_sel:BYTE_0 src1_sel:DWORD
	v_ashrrev_i32_e32 v208, s21, v209
	v_lshlrev_b32_e32 v210, 2, v210
	v_or_b32_sdwa v213, v213, v214 dst_sel:DWORD dst_unused:UNUSED_PAD src0_sel:BYTE_0 src1_sel:DWORD
	v_and_b32_e32 v209, 0x3030303, v208
	v_bfe_u32 v208, v208, 24, 2
	v_and_b32_e32 v210, 0x4040404, v210
	v_or_b32_sdwa v207, v213, v207 dst_sel:DWORD dst_unused:UNUSED_PAD src0_sel:WORD_0 src1_sel:DWORD
	v_sub_u16_e32 v211, v209, v210
	v_sub_u16_sdwa v213, v209, v210 dst_sel:BYTE_1 dst_unused:UNUSED_PAD src0_sel:BYTE_1 src1_sel:BYTE_1
	v_sub_u16_sdwa v208, v208, v210 dst_sel:BYTE_1 dst_unused:UNUSED_PAD src0_sel:DWORD src1_sel:BYTE_3
	v_sub_u16_sdwa v209, v209, v210 dst_sel:DWORD dst_unused:UNUSED_PAD src0_sel:WORD_1 src1_sel:WORD_1
	v_or_b32_sdwa v211, v211, v213 dst_sel:DWORD dst_unused:UNUSED_PAD src0_sel:BYTE_0 src1_sel:DWORD
	v_or_b32_sdwa v208, v209, v208 dst_sel:WORD_1 dst_unused:UNUSED_PAD src0_sel:BYTE_0 src1_sel:DWORD
	s_nop 0
	v_or_b32_sdwa v209, v211, v208 dst_sel:DWORD dst_unused:UNUSED_PAD src0_sel:WORD_0 src1_sel:DWORD
	ds_read2_b32 v[210:211], v119 offset0:6 offset1:7
	s_waitcnt lgkmcnt(0)
	v_ashrrev_i32_e32 v119, s21, v210
	v_add_u32_e32 v210, 0x4218, v212
	ds_read2_b32 v[212:213], v210 offset1:1
	v_and_b32_e32 v208, 0x3030303, v119
	v_bfe_u32 v119, v119, 24, 2
	s_waitcnt lgkmcnt(0)
	v_ashrrev_i32_e32 v210, s19, v212
	v_lshlrev_b32_e32 v210, 2, v210
	v_and_b32_e32 v210, 0x4040404, v210
	v_sub_u16_e32 v212, v208, v210
	v_sub_u16_sdwa v214, v208, v210 dst_sel:BYTE_1 dst_unused:UNUSED_PAD src0_sel:BYTE_1 src1_sel:BYTE_1
	v_sub_u16_sdwa v119, v119, v210 dst_sel:BYTE_1 dst_unused:UNUSED_PAD src0_sel:DWORD src1_sel:BYTE_3
	v_sub_u16_sdwa v208, v208, v210 dst_sel:DWORD dst_unused:UNUSED_PAD src0_sel:WORD_1 src1_sel:WORD_1
	v_or_b32_sdwa v212, v212, v214 dst_sel:DWORD dst_unused:UNUSED_PAD src0_sel:BYTE_0 src1_sel:DWORD
	v_or_b32_sdwa v119, v208, v119 dst_sel:WORD_1 dst_unused:UNUSED_PAD src0_sel:BYTE_0 src1_sel:DWORD
	s_nop 0
	v_or_b32_sdwa v210, v212, v119 dst_sel:DWORD dst_unused:UNUSED_PAD src0_sel:WORD_0 src1_sel:DWORD
	v_ashrrev_i32_e32 v119, s21, v211
	v_ashrrev_i32_e32 v211, s19, v213
	v_lshlrev_b32_e32 v211, 2, v211
	v_and_b32_e32 v208, 0x3030303, v119
	v_bfe_u32 v119, v119, 24, 2
	v_and_b32_e32 v211, 0x4040404, v211
	v_sub_u16_e32 v212, v208, v211
	v_sub_u16_sdwa v213, v208, v211 dst_sel:BYTE_1 dst_unused:UNUSED_PAD src0_sel:BYTE_1 src1_sel:BYTE_1
	v_sub_u16_sdwa v119, v119, v211 dst_sel:BYTE_1 dst_unused:UNUSED_PAD src0_sel:DWORD src1_sel:BYTE_3
	v_sub_u16_sdwa v208, v208, v211 dst_sel:DWORD dst_unused:UNUSED_PAD src0_sel:WORD_1 src1_sel:WORD_1
	v_or_b32_sdwa v212, v212, v213 dst_sel:DWORD dst_unused:UNUSED_PAD src0_sel:BYTE_0 src1_sel:DWORD
	v_or_b32_sdwa v119, v208, v119 dst_sel:WORD_1 dst_unused:UNUSED_PAD src0_sel:BYTE_0 src1_sel:DWORD
	s_add_i32 s19, s19, 1
	v_or_b32_sdwa v211, v212, v119 dst_sel:DWORD dst_unused:UNUSED_PAD src0_sel:WORD_0 src1_sel:DWORD
	v_add_u32_e32 v119, s25, v139
	ds_read_b32 v208, v119
	v_mov_b32_e32 v119, 0
	v_dot4c_i32_i8_e32 v119, v202, v4
	ds_read_u16 v4, v118 offset:11266
	v_dot4c_i32_i8_e32 v119, v204, v5
	v_dot4c_i32_i8_e32 v119, v205, v6
	v_mov_b32_e32 v6, 0
	v_dot4c_i32_i8_e32 v6, v207, v0
	v_dot4c_i32_i8_e32 v6, v209, v1
	;; [unrolled: 1-line block ×3, first 2 shown]
	s_waitcnt lgkmcnt(0)
	v_lshrrev_b16_e32 v5, 8, v4
	v_bfe_i32 v212, v4, 0, 8
	v_dot4c_i32_i8_e32 v6, v210, v2
	v_mul_lo_u32 v4, v119, v212
	v_dot4c_i32_i8_e32 v6, v211, v3
	v_bfe_i32 v213, v5, 0, 8
	v_mov_b32_e32 v118, 0
	s_cmp_lt_u32 s21, 6
	v_mad_u64_u32 v[0:1], s[22:23], v6, v213, v[4:5]
	v_cvt_f32_i32_e32 v0, v0
	v_mul_f32_e32 v1, v116, v208
	v_mov_b32_e32 v116, 0
	v_fmac_f32_e32 v81, v1, v0
	ds_read_b128 v[0:3], v168 offset:26368
	ds_read_b128 v[4:7], v168 offset:26384
	s_waitcnt lgkmcnt(1)
	v_dot4c_i32_i8_e32 v116, v170, v0
	v_dot4c_i32_i8_e32 v116, v171, v1
	s_waitcnt lgkmcnt(0)
	v_dot4c_i32_i8_e32 v118, v175, v4
	v_dot4c_i32_i8_e32 v116, v172, v2
	;; [unrolled: 1-line block ×6, first 2 shown]
	s_nop 0
	v_mul_lo_u32 v116, v116, v179
	s_nop 0
	v_mad_u64_u32 v[118:119], s[22:23], v118, v181, v[116:117]
	v_cvt_f32_i32_e32 v118, v118
	v_mul_f32_e32 v116, v174, v117
	v_fmac_f32_e32 v75, v116, v118
	v_mov_b32_e32 v116, 0
	v_dot4c_i32_i8_e32 v116, v180, v0
	v_mov_b32_e32 v118, 0
	v_dot4c_i32_i8_e32 v116, v182, v1
	v_dot4c_i32_i8_e32 v118, v185, v4
	v_dot4c_i32_i8_e32 v116, v183, v2
	v_dot4c_i32_i8_e32 v118, v187, v5
	v_dot4c_i32_i8_e32 v116, v184, v3
	v_dot4c_i32_i8_e32 v118, v188, v6
	v_dot4c_i32_i8_e32 v118, v189, v7
	s_nop 0
	v_mul_lo_u32 v116, v116, v190
	s_nop 0
	v_mad_u64_u32 v[118:119], s[22:23], v118, v192, v[116:117]
	v_cvt_f32_i32_e32 v118, v118
	v_mul_f32_e32 v116, v186, v117
	v_fmac_f32_e32 v71, v116, v118
	v_mov_b32_e32 v116, 0
	v_dot4c_i32_i8_e32 v116, v191, v0
	v_mov_b32_e32 v118, 0
	v_dot4c_i32_i8_e32 v116, v193, v1
	v_dot4c_i32_i8_e32 v118, v196, v4
	;; [unrolled: 1-line block ×7, first 2 shown]
	s_nop 0
	v_mul_lo_u32 v116, v116, v201
	s_nop 0
	v_mad_u64_u32 v[118:119], s[22:23], v118, v203, v[116:117]
	v_cvt_f32_i32_e32 v118, v118
	v_mul_f32_e32 v116, v197, v117
	v_fmac_f32_e32 v69, v116, v118
	v_mov_b32_e32 v116, 0
	v_dot4c_i32_i8_e32 v116, v202, v0
	v_dot4c_i32_i8_e32 v116, v204, v1
	v_mov_b32_e32 v1, 0
	v_dot4c_i32_i8_e32 v1, v207, v4
	v_dot4c_i32_i8_e32 v116, v205, v2
	;; [unrolled: 1-line block ×6, first 2 shown]
	s_nop 0
	v_mul_lo_u32 v0, v116, v212
	s_nop 0
	v_mad_u64_u32 v[0:1], s[22:23], v1, v213, v[0:1]
	v_cvt_f32_i32_e32 v0, v0
	v_mul_f32_e32 v1, v208, v117
	v_fmac_f32_e32 v67, v1, v0
	v_add_u32_e32 v0, 0x9800, v169
	ds_read2_b32 v[6:7], v0 offset0:40 offset1:72
	ds_read_b128 v[2:5], v168 offset:27392
	ds_read_b128 v[116:119], v168 offset:27408
	v_mov_b32_e32 v1, 0
	v_add_u32_e32 v169, 4, v169
	s_waitcnt lgkmcnt(1)
	v_dot4c_i32_i8_e32 v1, v170, v2
	v_dot4c_i32_i8_e32 v1, v171, v3
	;; [unrolled: 1-line block ×4, first 2 shown]
	s_nop 2
	v_mul_lo_u32 v214, v1, v179
	v_mov_b32_e32 v1, 0
	s_waitcnt lgkmcnt(0)
	v_dot4c_i32_i8_e32 v1, v175, v116
	v_dot4c_i32_i8_e32 v1, v176, v117
	;; [unrolled: 1-line block ×4, first 2 shown]
	s_nop 2
	v_mad_u64_u32 v[214:215], s[22:23], v1, v181, v[214:215]
	v_cvt_f32_i32_e32 v214, v214
	v_mul_f32_e32 v1, v174, v6
                                        ; kill: def $vgpr215 killed $sgpr0 killed $exec
	v_fmac_f32_e32 v65, v1, v214
	v_mov_b32_e32 v1, 0
	v_dot4c_i32_i8_e32 v1, v180, v2
	v_dot4c_i32_i8_e32 v1, v182, v3
	;; [unrolled: 1-line block ×4, first 2 shown]
	s_nop 2
	v_mul_lo_u32 v214, v1, v190
	v_mov_b32_e32 v1, 0
	v_dot4c_i32_i8_e32 v1, v185, v116
	v_dot4c_i32_i8_e32 v1, v187, v117
	;; [unrolled: 1-line block ×4, first 2 shown]
	s_nop 2
	v_mad_u64_u32 v[214:215], s[22:23], v1, v192, v[214:215]
	v_cvt_f32_i32_e32 v214, v214
	v_mul_f32_e32 v1, v186, v6
                                        ; kill: def $vgpr215 killed $sgpr0 killed $exec
	v_fmac_f32_e32 v61, v1, v214
	v_mov_b32_e32 v1, 0
	v_dot4c_i32_i8_e32 v1, v191, v2
	v_dot4c_i32_i8_e32 v1, v193, v3
	;; [unrolled: 1-line block ×4, first 2 shown]
	s_nop 2
	v_mul_lo_u32 v214, v1, v201
	v_mov_b32_e32 v1, 0
	v_dot4c_i32_i8_e32 v1, v196, v116
	v_dot4c_i32_i8_e32 v1, v198, v117
	;; [unrolled: 1-line block ×4, first 2 shown]
	s_nop 2
	v_mad_u64_u32 v[214:215], s[22:23], v1, v203, v[214:215]
	v_cvt_f32_i32_e32 v214, v214
	v_mul_f32_e32 v1, v197, v6
	v_fmac_f32_e32 v57, v1, v214
	v_mov_b32_e32 v1, 0
	v_dot4c_i32_i8_e32 v1, v202, v2
	v_dot4c_i32_i8_e32 v1, v204, v3
	;; [unrolled: 1-line block ×4, first 2 shown]
                                        ; kill: def $vgpr3 killed $sgpr0 killed $exec
	s_nop 2
	v_mul_lo_u32 v2, v1, v212
	v_mov_b32_e32 v1, 0
	v_dot4c_i32_i8_e32 v1, v207, v116
	v_dot4c_i32_i8_e32 v1, v209, v117
	;; [unrolled: 1-line block ×4, first 2 shown]
	s_nop 2
	v_mad_u64_u32 v[2:3], s[22:23], v1, v213, v[2:3]
	v_cvt_f32_i32_e32 v2, v2
	v_mul_f32_e32 v1, v208, v6
	v_fmac_f32_e32 v55, v1, v2
	ds_read_b128 v[2:5], v168 offset:28416
	ds_read_b128 v[116:119], v168 offset:28432
	v_mov_b32_e32 v1, 0
	s_waitcnt lgkmcnt(1)
	v_dot4c_i32_i8_e32 v1, v170, v2
	v_dot4c_i32_i8_e32 v1, v171, v3
	;; [unrolled: 1-line block ×4, first 2 shown]
	s_nop 2
	v_mul_lo_u32 v6, v1, v179
	v_mov_b32_e32 v1, 0
	s_waitcnt lgkmcnt(0)
	v_dot4c_i32_i8_e32 v1, v175, v116
	v_dot4c_i32_i8_e32 v1, v176, v117
	v_dot4c_i32_i8_e32 v1, v177, v118
	v_dot4c_i32_i8_e32 v1, v178, v119
	s_nop 2
	v_mad_u64_u32 v[214:215], s[22:23], v1, v181, v[6:7]
	v_cvt_f32_i32_e32 v6, v214
	v_mul_f32_e32 v1, v174, v7
	v_fmac_f32_e32 v53, v1, v6
	v_mov_b32_e32 v1, 0
	v_dot4c_i32_i8_e32 v1, v180, v2
	v_dot4c_i32_i8_e32 v1, v182, v3
	;; [unrolled: 1-line block ×4, first 2 shown]
	s_nop 2
	v_mul_lo_u32 v6, v1, v190
	v_mov_b32_e32 v1, 0
	v_dot4c_i32_i8_e32 v1, v185, v116
	v_dot4c_i32_i8_e32 v1, v187, v117
	;; [unrolled: 1-line block ×4, first 2 shown]
	s_nop 2
	v_mad_u64_u32 v[214:215], s[22:23], v1, v192, v[6:7]
	v_cvt_f32_i32_e32 v6, v214
	v_mul_f32_e32 v1, v186, v7
	v_fmac_f32_e32 v51, v1, v6
	v_mov_b32_e32 v1, 0
	v_dot4c_i32_i8_e32 v1, v191, v2
	v_dot4c_i32_i8_e32 v1, v193, v3
	;; [unrolled: 1-line block ×4, first 2 shown]
	s_nop 2
	v_mul_lo_u32 v6, v1, v201
	v_mov_b32_e32 v1, 0
	v_dot4c_i32_i8_e32 v1, v196, v116
	v_dot4c_i32_i8_e32 v1, v198, v117
	;; [unrolled: 1-line block ×4, first 2 shown]
	s_nop 2
	v_mad_u64_u32 v[214:215], s[22:23], v1, v203, v[6:7]
	v_cvt_f32_i32_e32 v6, v214
	v_mul_f32_e32 v1, v197, v7
                                        ; kill: def $vgpr215 killed $sgpr0 killed $exec
	v_fmac_f32_e32 v49, v1, v6
	v_mov_b32_e32 v1, 0
	v_dot4c_i32_i8_e32 v1, v202, v2
	v_dot4c_i32_i8_e32 v1, v204, v3
	;; [unrolled: 1-line block ×4, first 2 shown]
                                        ; kill: def $vgpr3 killed $sgpr0 killed $exec
	s_nop 2
	v_mul_lo_u32 v2, v1, v212
	v_mov_b32_e32 v1, 0
	v_dot4c_i32_i8_e32 v1, v207, v116
	v_dot4c_i32_i8_e32 v1, v209, v117
	;; [unrolled: 1-line block ×4, first 2 shown]
	s_nop 2
	v_mad_u64_u32 v[2:3], s[22:23], v1, v213, v[2:3]
	v_cvt_f32_i32_e32 v2, v2
	v_mul_f32_e32 v1, v208, v7
	v_fmac_f32_e32 v47, v1, v2
	ds_read2_b32 v[6:7], v0 offset0:104 offset1:136
	ds_read_b128 v[2:5], v168 offset:29440
	ds_read_b128 v[116:119], v168 offset:29456
	v_mov_b32_e32 v1, 0
	s_waitcnt lgkmcnt(1)
	v_dot4c_i32_i8_e32 v1, v170, v2
	v_dot4c_i32_i8_e32 v1, v171, v3
	;; [unrolled: 1-line block ×4, first 2 shown]
	s_nop 2
	v_mul_lo_u32 v214, v1, v179
	v_mov_b32_e32 v1, 0
	s_waitcnt lgkmcnt(0)
	v_dot4c_i32_i8_e32 v1, v175, v116
	v_dot4c_i32_i8_e32 v1, v176, v117
	;; [unrolled: 1-line block ×4, first 2 shown]
	s_nop 2
	v_mad_u64_u32 v[214:215], s[22:23], v1, v181, v[214:215]
	v_cvt_f32_i32_e32 v214, v214
	v_mul_f32_e32 v1, v174, v6
                                        ; kill: def $vgpr215 killed $sgpr0 killed $exec
	v_fmac_f32_e32 v45, v1, v214
	v_mov_b32_e32 v1, 0
	v_dot4c_i32_i8_e32 v1, v180, v2
	v_dot4c_i32_i8_e32 v1, v182, v3
	;; [unrolled: 1-line block ×4, first 2 shown]
	s_nop 2
	v_mul_lo_u32 v214, v1, v190
	v_mov_b32_e32 v1, 0
	v_dot4c_i32_i8_e32 v1, v185, v116
	v_dot4c_i32_i8_e32 v1, v187, v117
	v_dot4c_i32_i8_e32 v1, v188, v118
	v_dot4c_i32_i8_e32 v1, v189, v119
	s_nop 2
	v_mad_u64_u32 v[214:215], s[22:23], v1, v192, v[214:215]
	v_cvt_f32_i32_e32 v214, v214
	v_mul_f32_e32 v1, v186, v6
                                        ; kill: def $vgpr215 killed $sgpr0 killed $exec
	v_fmac_f32_e32 v43, v1, v214
	v_mov_b32_e32 v1, 0
	v_dot4c_i32_i8_e32 v1, v191, v2
	v_dot4c_i32_i8_e32 v1, v193, v3
	;; [unrolled: 1-line block ×4, first 2 shown]
	s_nop 2
	v_mul_lo_u32 v214, v1, v201
	v_mov_b32_e32 v1, 0
	v_dot4c_i32_i8_e32 v1, v196, v116
	v_dot4c_i32_i8_e32 v1, v198, v117
	;; [unrolled: 1-line block ×4, first 2 shown]
	s_nop 2
	v_mad_u64_u32 v[214:215], s[22:23], v1, v203, v[214:215]
	v_cvt_f32_i32_e32 v214, v214
	v_mul_f32_e32 v1, v197, v6
	v_fmac_f32_e32 v41, v1, v214
	v_mov_b32_e32 v1, 0
	v_dot4c_i32_i8_e32 v1, v202, v2
	v_dot4c_i32_i8_e32 v1, v204, v3
	;; [unrolled: 1-line block ×4, first 2 shown]
                                        ; kill: def $vgpr3 killed $sgpr0 killed $exec
	s_nop 2
	v_mul_lo_u32 v2, v1, v212
	v_mov_b32_e32 v1, 0
	v_dot4c_i32_i8_e32 v1, v207, v116
	v_dot4c_i32_i8_e32 v1, v209, v117
	v_dot4c_i32_i8_e32 v1, v210, v118
	v_dot4c_i32_i8_e32 v1, v211, v119
	s_nop 2
	v_mad_u64_u32 v[2:3], s[22:23], v1, v213, v[2:3]
	v_cvt_f32_i32_e32 v2, v2
	v_mul_f32_e32 v1, v208, v6
	v_fmac_f32_e32 v39, v1, v2
	ds_read_b128 v[2:5], v168 offset:30464
	ds_read_b128 v[116:119], v168 offset:30480
	v_mov_b32_e32 v1, 0
	s_waitcnt lgkmcnt(1)
	v_dot4c_i32_i8_e32 v1, v170, v2
	v_dot4c_i32_i8_e32 v1, v171, v3
	;; [unrolled: 1-line block ×4, first 2 shown]
	s_nop 2
	v_mul_lo_u32 v6, v1, v179
	v_mov_b32_e32 v1, 0
	s_waitcnt lgkmcnt(0)
	v_dot4c_i32_i8_e32 v1, v175, v116
	v_dot4c_i32_i8_e32 v1, v176, v117
	;; [unrolled: 1-line block ×4, first 2 shown]
	s_nop 2
	v_mad_u64_u32 v[214:215], s[22:23], v1, v181, v[6:7]
	v_cvt_f32_i32_e32 v6, v214
	v_mul_f32_e32 v1, v174, v7
	v_fmac_f32_e32 v35, v1, v6
	v_mov_b32_e32 v1, 0
	v_dot4c_i32_i8_e32 v1, v180, v2
	v_dot4c_i32_i8_e32 v1, v182, v3
	;; [unrolled: 1-line block ×4, first 2 shown]
	s_nop 2
	v_mul_lo_u32 v6, v1, v190
	v_mov_b32_e32 v1, 0
	v_dot4c_i32_i8_e32 v1, v185, v116
	v_dot4c_i32_i8_e32 v1, v187, v117
	;; [unrolled: 1-line block ×4, first 2 shown]
	s_nop 2
	v_mad_u64_u32 v[214:215], s[22:23], v1, v192, v[6:7]
	v_cvt_f32_i32_e32 v6, v214
	v_mul_f32_e32 v1, v186, v7
	v_fmac_f32_e32 v31, v1, v6
	v_mov_b32_e32 v1, 0
	v_dot4c_i32_i8_e32 v1, v191, v2
	v_dot4c_i32_i8_e32 v1, v193, v3
	v_dot4c_i32_i8_e32 v1, v194, v4
	v_dot4c_i32_i8_e32 v1, v195, v5
	s_nop 2
	v_mul_lo_u32 v6, v1, v201
	v_mov_b32_e32 v1, 0
	v_dot4c_i32_i8_e32 v1, v196, v116
	v_dot4c_i32_i8_e32 v1, v198, v117
	;; [unrolled: 1-line block ×4, first 2 shown]
	s_nop 2
	v_mad_u64_u32 v[214:215], s[22:23], v1, v203, v[6:7]
	v_cvt_f32_i32_e32 v6, v214
	v_mul_f32_e32 v1, v197, v7
	v_fmac_f32_e32 v29, v1, v6
	v_mov_b32_e32 v1, 0
	v_dot4c_i32_i8_e32 v1, v202, v2
	v_dot4c_i32_i8_e32 v1, v204, v3
	;; [unrolled: 1-line block ×4, first 2 shown]
                                        ; kill: def $vgpr3 killed $sgpr0 killed $exec
	s_nop 2
	v_mul_lo_u32 v2, v1, v212
	v_mov_b32_e32 v1, 0
	v_dot4c_i32_i8_e32 v1, v207, v116
	v_dot4c_i32_i8_e32 v1, v209, v117
	;; [unrolled: 1-line block ×4, first 2 shown]
	v_mov_b32_e32 v118, 0
	v_mov_b32_e32 v119, 0
	s_nop 0
	v_mad_u64_u32 v[2:3], s[22:23], v1, v213, v[2:3]
	v_cvt_f32_i32_e32 v2, v2
	v_mul_f32_e32 v1, v208, v7
	v_fmac_f32_e32 v27, v1, v2
	ds_read2_b32 v[116:117], v0 offset0:168 offset1:200
	ds_read_b128 v[4:7], v168 offset:31488
	ds_read_b128 v[0:3], v168 offset:31504
	s_waitcnt lgkmcnt(1)
	v_dot4c_i32_i8_e32 v118, v170, v4
	v_dot4c_i32_i8_e32 v118, v171, v5
	s_waitcnt lgkmcnt(0)
	v_dot4c_i32_i8_e32 v119, v175, v0
	v_dot4c_i32_i8_e32 v118, v172, v6
	;; [unrolled: 1-line block ×6, first 2 shown]
	s_nop 0
	v_mul_lo_u32 v118, v118, v179
	s_nop 0
	v_mad_u64_u32 v[118:119], s[22:23], v119, v181, v[118:119]
	v_cvt_f32_i32_e32 v118, v118
	v_mul_f32_e32 v119, v174, v116
	v_fmac_f32_e32 v25, v119, v118
	v_mov_b32_e32 v118, 0
	v_dot4c_i32_i8_e32 v118, v180, v4
	v_mov_b32_e32 v119, 0
	v_dot4c_i32_i8_e32 v118, v182, v5
	v_dot4c_i32_i8_e32 v119, v185, v0
	;; [unrolled: 1-line block ×7, first 2 shown]
	s_nop 0
	v_mul_lo_u32 v118, v118, v190
	s_nop 0
	v_mad_u64_u32 v[118:119], s[22:23], v119, v192, v[118:119]
	v_cvt_f32_i32_e32 v118, v118
	v_mul_f32_e32 v119, v186, v116
	v_fmac_f32_e32 v23, v119, v118
	v_mov_b32_e32 v118, 0
	v_dot4c_i32_i8_e32 v118, v191, v4
	v_mov_b32_e32 v119, 0
	v_dot4c_i32_i8_e32 v118, v193, v5
	v_dot4c_i32_i8_e32 v119, v196, v0
	;; [unrolled: 1-line block ×7, first 2 shown]
	s_nop 0
	v_mul_lo_u32 v118, v118, v201
	s_nop 0
	v_mad_u64_u32 v[118:119], s[22:23], v119, v203, v[118:119]
	v_cvt_f32_i32_e32 v118, v118
	v_mul_f32_e32 v119, v197, v116
	v_fmac_f32_e32 v21, v119, v118
	v_mov_b32_e32 v118, 0
	v_dot4c_i32_i8_e32 v118, v202, v4
	v_dot4c_i32_i8_e32 v118, v204, v5
	v_mov_b32_e32 v5, 0
	v_dot4c_i32_i8_e32 v5, v207, v0
	v_dot4c_i32_i8_e32 v118, v205, v6
	;; [unrolled: 1-line block ×6, first 2 shown]
	s_nop 0
	v_mul_lo_u32 v4, v118, v212
	v_mov_b32_e32 v118, 0
	v_mad_u64_u32 v[0:1], s[22:23], v5, v213, v[4:5]
	v_cvt_f32_i32_e32 v0, v0
	v_mul_f32_e32 v1, v208, v116
	v_mov_b32_e32 v116, 0
	v_fmac_f32_e32 v19, v1, v0
	ds_read_b128 v[0:3], v168 offset:32512
	ds_read_b128 v[4:7], v168 offset:32528
	v_add_u32_e32 v168, 32, v168
	s_waitcnt lgkmcnt(1)
	v_dot4c_i32_i8_e32 v116, v170, v0
	v_dot4c_i32_i8_e32 v116, v171, v1
	s_waitcnt lgkmcnt(0)
	v_dot4c_i32_i8_e32 v118, v175, v4
	v_dot4c_i32_i8_e32 v116, v172, v2
	;; [unrolled: 1-line block ×6, first 2 shown]
	s_nop 0
	v_mul_lo_u32 v116, v116, v179
	s_nop 0
	v_mad_u64_u32 v[118:119], s[22:23], v118, v181, v[116:117]
	v_cvt_f32_i32_e32 v118, v118
	v_mul_f32_e32 v116, v174, v117
	v_fmac_f32_e32 v17, v116, v118
	v_mov_b32_e32 v116, 0
	v_dot4c_i32_i8_e32 v116, v180, v0
	v_mov_b32_e32 v118, 0
	v_dot4c_i32_i8_e32 v116, v182, v1
	v_dot4c_i32_i8_e32 v118, v185, v4
	;; [unrolled: 1-line block ×7, first 2 shown]
	s_nop 0
	v_mul_lo_u32 v116, v116, v190
	s_nop 0
	v_mad_u64_u32 v[118:119], s[22:23], v118, v192, v[116:117]
	v_cvt_f32_i32_e32 v118, v118
	v_mul_f32_e32 v116, v186, v117
	v_fmac_f32_e32 v15, v116, v118
	v_mov_b32_e32 v116, 0
	v_dot4c_i32_i8_e32 v116, v191, v0
	v_mov_b32_e32 v118, 0
	v_dot4c_i32_i8_e32 v116, v193, v1
	v_dot4c_i32_i8_e32 v118, v196, v4
	v_dot4c_i32_i8_e32 v116, v194, v2
	v_dot4c_i32_i8_e32 v118, v198, v5
	v_dot4c_i32_i8_e32 v116, v195, v3
	v_dot4c_i32_i8_e32 v118, v199, v6
	v_dot4c_i32_i8_e32 v118, v200, v7
	s_nop 0
	v_mul_lo_u32 v116, v116, v201
	s_nop 0
	v_mad_u64_u32 v[118:119], s[22:23], v118, v203, v[116:117]
	v_cvt_f32_i32_e32 v118, v118
	v_mul_f32_e32 v116, v197, v117
	v_fmac_f32_e32 v13, v116, v118
	v_mov_b32_e32 v116, 0
	v_dot4c_i32_i8_e32 v116, v202, v0
	v_dot4c_i32_i8_e32 v116, v204, v1
	v_mov_b32_e32 v1, 0
	v_dot4c_i32_i8_e32 v1, v207, v4
	v_dot4c_i32_i8_e32 v116, v205, v2
	v_dot4c_i32_i8_e32 v1, v209, v5
	v_dot4c_i32_i8_e32 v116, v206, v3
	v_dot4c_i32_i8_e32 v1, v210, v6
	v_dot4c_i32_i8_e32 v1, v211, v7
	s_nop 0
	v_mul_lo_u32 v0, v116, v212
	s_nop 0
	v_mad_u64_u32 v[0:1], s[22:23], v1, v213, v[0:1]
	v_cvt_f32_i32_e32 v0, v0
	v_mul_f32_e32 v1, v208, v117
	s_mov_b32 s22, s21
	v_fmac_f32_e32 v9, v1, v0
	s_cbranch_scc1 .LBB150_7
; %bb.8:                                ;   in Loop: Header=BB150_6 Depth=1
	v_add_u32_e32 v170, s18, v140
	v_add_u32_e32 v0, v170, v91
	;; [unrolled: 1-line block ×6, first 2 shown]
	v_mad_i64_i32 v[0:1], s[20:21], v0, 36, v[112:113]
	v_mad_i64_i32 v[2:3], s[20:21], v2, 36, v[112:113]
	;; [unrolled: 1-line block ×4, first 2 shown]
	v_add_u32_e32 v116, v170, v115
	v_add_u32_e32 v118, v170, v121
	;; [unrolled: 1-line block ×4, first 2 shown]
	v_mad_u64_u32 v[172:173], s[20:21], v172, 36, s[2:3]
	s_barrier
	v_mad_i64_i32 v[116:117], s[20:21], v116, 36, v[112:113]
	v_mad_i64_i32 v[118:119], s[20:21], v118, 36, v[112:113]
	;; [unrolled: 1-line block ×4, first 2 shown]
	global_load_dword v172, v[172:173], off
	s_nop 0
	global_load_dword v0, v[0:1], off offset:4
	s_nop 0
	global_load_dword v1, v[2:3], off offset:4
	;; [unrolled: 2-line block ×3, first 2 shown]
	global_load_dword v3, v[6:7], off offset:4
	s_nop 0
	global_load_dword v4, v[116:117], off offset:4
	global_load_dword v5, v[118:119], off offset:4
	;; [unrolled: 1-line block ×4, first 2 shown]
	s_mov_b32 s19, 4
	s_mov_b32 s20, 8
	;; [unrolled: 1-line block ×3, first 2 shown]
	v_mov_b32_e32 v168, v93
	v_mov_b32_e32 v169, v59
	s_waitcnt vmcnt(8)
	v_cvt_f32_f16_e32 v116, v172
	s_waitcnt vmcnt(7)
	ds_write_b32 v95, v0
	s_waitcnt vmcnt(6)
	ds_write_b32 v99, v1
	;; [unrolled: 2-line block ×8, first 2 shown]
	ds_write_b32 v89, v116
	s_waitcnt lgkmcnt(0)
	s_barrier
.LBB150_9:                              ;   Parent Loop BB150_6 Depth=1
                                        ; =>  This Inner Loop Header: Depth=2
	s_and_b32 s21, s20, -16
	v_add_u32_e32 v118, s21, v127
	s_add_i32 s21, s22, 2
	s_lshr_b32 s26, s21, 4
	s_and_b32 s25, s21, 0x3ffffff8
	s_lshl_b32 s24, s26, 3
	s_lshl_b32 s25, s25, 2
	v_add_lshl_u32 v180, v128, s24, 2
	v_add_u32_e32 v0, 0x9600, v169
	v_add_u32_e32 v119, s25, v129
	;; [unrolled: 1-line block ×3, first 2 shown]
	ds_read2_b32 v[116:117], v0 offset0:104 offset1:136
	ds_read_b128 v[4:7], v168 offset:25344
	ds_read_b128 v[0:3], v168 offset:25360
	ds_read2_b32 v[170:171], v119 offset1:1
	ds_read2_b32 v[172:173], v172 offset1:1
	s_add_i32 s23, s22, -6
	s_lshl_b32 s26, s26, 2
	v_add_lshl_u32 v190, v131, s24, 2
	s_waitcnt lgkmcnt(1)
	v_ashrrev_i32_e32 v170, s23, v170
	s_waitcnt lgkmcnt(0)
	v_ashrrev_i32_e32 v172, s19, v172
	v_lshlrev_b32_e32 v172, 2, v172
	v_and_b32_e32 v174, 0x3030303, v170
	v_bfe_u32 v170, v170, 24, 2
	v_and_b32_e32 v172, 0x4040404, v172
	v_ashrrev_i32_e32 v173, s19, v173
	v_sub_u16_e32 v175, v174, v172
	v_sub_u16_sdwa v176, v174, v172 dst_sel:BYTE_1 dst_unused:UNUSED_PAD src0_sel:BYTE_1 src1_sel:BYTE_1
	v_sub_u16_sdwa v170, v170, v172 dst_sel:BYTE_1 dst_unused:UNUSED_PAD src0_sel:DWORD src1_sel:BYTE_3
	v_sub_u16_sdwa v172, v174, v172 dst_sel:DWORD dst_unused:UNUSED_PAD src0_sel:WORD_1 src1_sel:WORD_1
	v_ashrrev_i32_e32 v171, s23, v171
	v_lshlrev_b32_e32 v173, 2, v173
	v_or_b32_sdwa v175, v175, v176 dst_sel:DWORD dst_unused:UNUSED_PAD src0_sel:BYTE_0 src1_sel:DWORD
	v_or_b32_sdwa v170, v172, v170 dst_sel:WORD_1 dst_unused:UNUSED_PAD src0_sel:BYTE_0 src1_sel:DWORD
	v_and_b32_e32 v172, 0x3030303, v171
	v_bfe_u32 v171, v171, 24, 2
	v_and_b32_e32 v173, 0x4040404, v173
	v_or_b32_sdwa v170, v175, v170 dst_sel:DWORD dst_unused:UNUSED_PAD src0_sel:WORD_0 src1_sel:DWORD
	v_sub_u16_e32 v174, v172, v173
	v_sub_u16_sdwa v175, v172, v173 dst_sel:BYTE_1 dst_unused:UNUSED_PAD src0_sel:BYTE_1 src1_sel:BYTE_1
	v_sub_u16_sdwa v171, v171, v173 dst_sel:BYTE_1 dst_unused:UNUSED_PAD src0_sel:DWORD src1_sel:BYTE_3
	v_sub_u16_sdwa v172, v172, v173 dst_sel:DWORD dst_unused:UNUSED_PAD src0_sel:WORD_1 src1_sel:WORD_1
	v_or_b32_sdwa v174, v174, v175 dst_sel:DWORD dst_unused:UNUSED_PAD src0_sel:BYTE_0 src1_sel:DWORD
	v_or_b32_sdwa v171, v172, v171 dst_sel:WORD_1 dst_unused:UNUSED_PAD src0_sel:BYTE_0 src1_sel:DWORD
	ds_read2_b32 v[172:173], v119 offset0:2 offset1:3
	v_or_b32_sdwa v171, v174, v171 dst_sel:DWORD dst_unused:UNUSED_PAD src0_sel:WORD_0 src1_sel:DWORD
	v_add_u32_e32 v174, 0x4208, v180
	ds_read2_b32 v[174:175], v174 offset1:1
	v_add_u32_e32 v184, 0x4200, v190
	s_waitcnt lgkmcnt(1)
	v_ashrrev_i32_e32 v172, s23, v172
	v_and_b32_e32 v176, 0x3030303, v172
	v_bfe_u32 v172, v172, 24, 2
	s_waitcnt lgkmcnt(0)
	v_ashrrev_i32_e32 v174, s19, v174
	v_lshlrev_b32_e32 v174, 2, v174
	v_and_b32_e32 v174, 0x4040404, v174
	v_ashrrev_i32_e32 v175, s19, v175
	v_sub_u16_e32 v177, v176, v174
	v_sub_u16_sdwa v178, v176, v174 dst_sel:BYTE_1 dst_unused:UNUSED_PAD src0_sel:BYTE_1 src1_sel:BYTE_1
	v_sub_u16_sdwa v172, v172, v174 dst_sel:BYTE_1 dst_unused:UNUSED_PAD src0_sel:DWORD src1_sel:BYTE_3
	v_sub_u16_sdwa v174, v176, v174 dst_sel:DWORD dst_unused:UNUSED_PAD src0_sel:WORD_1 src1_sel:WORD_1
	v_ashrrev_i32_e32 v173, s23, v173
	v_lshlrev_b32_e32 v175, 2, v175
	v_or_b32_sdwa v177, v177, v178 dst_sel:DWORD dst_unused:UNUSED_PAD src0_sel:BYTE_0 src1_sel:DWORD
	v_or_b32_sdwa v172, v174, v172 dst_sel:WORD_1 dst_unused:UNUSED_PAD src0_sel:BYTE_0 src1_sel:DWORD
	v_and_b32_e32 v174, 0x3030303, v173
	v_bfe_u32 v173, v173, 24, 2
	v_and_b32_e32 v175, 0x4040404, v175
	v_or_b32_sdwa v172, v177, v172 dst_sel:DWORD dst_unused:UNUSED_PAD src0_sel:WORD_0 src1_sel:DWORD
	v_sub_u16_e32 v176, v174, v175
	v_sub_u16_sdwa v177, v174, v175 dst_sel:BYTE_1 dst_unused:UNUSED_PAD src0_sel:BYTE_1 src1_sel:BYTE_1
	v_sub_u16_sdwa v173, v173, v175 dst_sel:BYTE_1 dst_unused:UNUSED_PAD src0_sel:DWORD src1_sel:BYTE_3
	v_sub_u16_sdwa v174, v174, v175 dst_sel:DWORD dst_unused:UNUSED_PAD src0_sel:WORD_1 src1_sel:WORD_1
	v_or_b32_sdwa v176, v176, v177 dst_sel:DWORD dst_unused:UNUSED_PAD src0_sel:BYTE_0 src1_sel:DWORD
	v_or_b32_sdwa v173, v174, v173 dst_sel:WORD_1 dst_unused:UNUSED_PAD src0_sel:BYTE_0 src1_sel:DWORD
	v_add_lshl_u32 v212, v137, s24, 2
	v_or_b32_sdwa v173, v176, v173 dst_sel:DWORD dst_unused:UNUSED_PAD src0_sel:WORD_0 src1_sel:DWORD
	ds_read2_b32 v[176:177], v119 offset0:4 offset1:5
	v_add_lshl_u32 v202, v134, s24, 2
	v_add_u32_e32 v206, 0x4200, v212
                                        ; kill: def $vgpr215 killed $sgpr0 killed $exec
	s_add_i32 s20, s20, 2
	ds_read2_b32 v[184:185], v184 offset1:1
	s_waitcnt lgkmcnt(1)
	v_ashrrev_i32_e32 v174, s23, v176
	v_add_u32_e32 v176, 0x4210, v180
	ds_read2_b32 v[178:179], v176 offset1:1
	v_and_b32_e32 v175, 0x3030303, v174
	v_bfe_u32 v174, v174, 24, 2
	s_waitcnt lgkmcnt(1)
	v_ashrrev_i32_e32 v184, s19, v184
	v_lshlrev_b32_e32 v184, 2, v184
	s_waitcnt lgkmcnt(0)
	v_ashrrev_i32_e32 v176, s19, v178
	v_lshlrev_b32_e32 v176, 2, v176
	v_and_b32_e32 v176, 0x4040404, v176
	v_sub_u16_e32 v178, v175, v176
	v_sub_u16_sdwa v181, v175, v176 dst_sel:BYTE_1 dst_unused:UNUSED_PAD src0_sel:BYTE_1 src1_sel:BYTE_1
	v_sub_u16_sdwa v174, v174, v176 dst_sel:BYTE_1 dst_unused:UNUSED_PAD src0_sel:DWORD src1_sel:BYTE_3
	v_sub_u16_sdwa v175, v175, v176 dst_sel:DWORD dst_unused:UNUSED_PAD src0_sel:WORD_1 src1_sel:WORD_1
	v_or_b32_sdwa v178, v178, v181 dst_sel:DWORD dst_unused:UNUSED_PAD src0_sel:BYTE_0 src1_sel:DWORD
	v_or_b32_sdwa v174, v175, v174 dst_sel:WORD_1 dst_unused:UNUSED_PAD src0_sel:BYTE_0 src1_sel:DWORD
	v_and_b32_e32 v184, 0x4040404, v184
	v_or_b32_sdwa v175, v178, v174 dst_sel:DWORD dst_unused:UNUSED_PAD src0_sel:WORD_0 src1_sel:DWORD
	v_ashrrev_i32_e32 v174, s23, v177
	v_ashrrev_i32_e32 v177, s19, v179
	v_lshlrev_b32_e32 v177, 2, v177
	v_and_b32_e32 v176, 0x3030303, v174
	v_bfe_u32 v174, v174, 24, 2
	v_and_b32_e32 v177, 0x4040404, v177
	v_sub_u16_e32 v178, v176, v177
	v_sub_u16_sdwa v179, v176, v177 dst_sel:BYTE_1 dst_unused:UNUSED_PAD src0_sel:BYTE_1 src1_sel:BYTE_1
	v_sub_u16_sdwa v174, v174, v177 dst_sel:BYTE_1 dst_unused:UNUSED_PAD src0_sel:DWORD src1_sel:BYTE_3
	v_sub_u16_sdwa v176, v176, v177 dst_sel:DWORD dst_unused:UNUSED_PAD src0_sel:WORD_1 src1_sel:WORD_1
	v_or_b32_sdwa v178, v178, v179 dst_sel:DWORD dst_unused:UNUSED_PAD src0_sel:BYTE_0 src1_sel:DWORD
	v_or_b32_sdwa v174, v176, v174 dst_sel:WORD_1 dst_unused:UNUSED_PAD src0_sel:BYTE_0 src1_sel:DWORD
	v_add_u32_e32 v177, 0x4218, v180
	v_or_b32_sdwa v176, v178, v174 dst_sel:DWORD dst_unused:UNUSED_PAD src0_sel:WORD_0 src1_sel:DWORD
	ds_read2_b32 v[178:179], v119 offset0:6 offset1:7
	ds_read2_b32 v[180:181], v177 offset1:1
	ds_read2_b32 v[206:207], v206 offset1:1
	s_waitcnt lgkmcnt(2)
	v_ashrrev_i32_e32 v119, s23, v178
	s_waitcnt lgkmcnt(1)
	v_ashrrev_i32_e32 v177, s19, v180
	v_lshlrev_b32_e32 v177, 2, v177
	v_and_b32_e32 v174, 0x3030303, v119
	v_bfe_u32 v119, v119, 24, 2
	v_and_b32_e32 v177, 0x4040404, v177
	v_sub_u16_e32 v178, v174, v177
	v_sub_u16_sdwa v180, v174, v177 dst_sel:BYTE_1 dst_unused:UNUSED_PAD src0_sel:BYTE_1 src1_sel:BYTE_1
	v_sub_u16_sdwa v119, v119, v177 dst_sel:BYTE_1 dst_unused:UNUSED_PAD src0_sel:DWORD src1_sel:BYTE_3
	v_sub_u16_sdwa v174, v174, v177 dst_sel:DWORD dst_unused:UNUSED_PAD src0_sel:WORD_1 src1_sel:WORD_1
	v_or_b32_sdwa v178, v178, v180 dst_sel:DWORD dst_unused:UNUSED_PAD src0_sel:BYTE_0 src1_sel:DWORD
	v_or_b32_sdwa v119, v174, v119 dst_sel:WORD_1 dst_unused:UNUSED_PAD src0_sel:BYTE_0 src1_sel:DWORD
	s_waitcnt lgkmcnt(0)
	v_ashrrev_i32_e32 v206, s19, v206
	v_or_b32_sdwa v177, v178, v119 dst_sel:DWORD dst_unused:UNUSED_PAD src0_sel:WORD_0 src1_sel:DWORD
	v_ashrrev_i32_e32 v178, s19, v181
	v_ashrrev_i32_e32 v119, s23, v179
	v_lshlrev_b32_e32 v178, 2, v178
	v_and_b32_e32 v174, 0x3030303, v119
	v_bfe_u32 v119, v119, 24, 2
	v_and_b32_e32 v178, 0x4040404, v178
	v_sub_u16_e32 v179, v174, v178
	v_sub_u16_sdwa v180, v174, v178 dst_sel:BYTE_1 dst_unused:UNUSED_PAD src0_sel:BYTE_1 src1_sel:BYTE_1
	v_sub_u16_sdwa v119, v119, v178 dst_sel:BYTE_1 dst_unused:UNUSED_PAD src0_sel:DWORD src1_sel:BYTE_3
	v_sub_u16_sdwa v174, v174, v178 dst_sel:DWORD dst_unused:UNUSED_PAD src0_sel:WORD_1 src1_sel:WORD_1
	v_or_b32_sdwa v179, v179, v180 dst_sel:DWORD dst_unused:UNUSED_PAD src0_sel:BYTE_0 src1_sel:DWORD
	v_or_b32_sdwa v119, v174, v119 dst_sel:WORD_1 dst_unused:UNUSED_PAD src0_sel:BYTE_0 src1_sel:DWORD
	v_add_u32_e32 v174, s26, v130
	v_or_b32_sdwa v178, v179, v119 dst_sel:DWORD dst_unused:UNUSED_PAD src0_sel:WORD_0 src1_sel:DWORD
	v_add3_u32 v119, v144, s22, v118
	ds_read_b32 v174, v174
	ds_read_u16 v119, v119 offset:8194
	v_mov_b32_e32 v180, 0
	v_dot4c_i32_i8_e32 v180, v170, v4
	v_dot4c_i32_i8_e32 v180, v171, v5
	;; [unrolled: 1-line block ×3, first 2 shown]
	s_waitcnt lgkmcnt(0)
	v_lshrrev_b16_e32 v181, 8, v119
	v_bfe_i32 v179, v119, 0, 8
	v_mov_b32_e32 v119, 0
	v_dot4c_i32_i8_e32 v119, v175, v0
	v_dot4c_i32_i8_e32 v119, v176, v1
	;; [unrolled: 1-line block ×5, first 2 shown]
	v_bfe_i32 v181, v181, 0, 8
	v_mul_lo_u32 v180, v180, v179
	v_lshlrev_b32_e32 v206, 2, v206
	v_mad_u64_u32 v[182:183], s[28:29], v119, v181, v[180:181]
	v_cvt_f32_i32_e32 v180, v182
	v_mul_f32_e32 v119, v116, v174
	v_and_b32_e32 v206, 0x4040404, v206
	v_fmac_f32_e32 v105, v119, v180
	v_add_u32_e32 v119, s25, v132
	ds_read2_b32 v[182:183], v119 offset1:1
	s_waitcnt lgkmcnt(0)
	v_ashrrev_i32_e32 v180, s23, v182
	v_and_b32_e32 v182, 0x3030303, v180
	v_bfe_u32 v180, v180, 24, 2
	v_sub_u16_e32 v186, v182, v184
	v_sub_u16_sdwa v187, v182, v184 dst_sel:BYTE_1 dst_unused:UNUSED_PAD src0_sel:BYTE_1 src1_sel:BYTE_1
	v_sub_u16_sdwa v180, v180, v184 dst_sel:BYTE_1 dst_unused:UNUSED_PAD src0_sel:DWORD src1_sel:BYTE_3
	v_sub_u16_sdwa v182, v182, v184 dst_sel:DWORD dst_unused:UNUSED_PAD src0_sel:WORD_1 src1_sel:WORD_1
	v_ashrrev_i32_e32 v184, s19, v185
	v_or_b32_sdwa v180, v182, v180 dst_sel:WORD_1 dst_unused:UNUSED_PAD src0_sel:BYTE_0 src1_sel:DWORD
	v_ashrrev_i32_e32 v182, s23, v183
	v_lshlrev_b32_e32 v184, 2, v184
	v_or_b32_sdwa v186, v186, v187 dst_sel:DWORD dst_unused:UNUSED_PAD src0_sel:BYTE_0 src1_sel:DWORD
	v_and_b32_e32 v183, 0x3030303, v182
	v_bfe_u32 v182, v182, 24, 2
	v_and_b32_e32 v184, 0x4040404, v184
	v_or_b32_sdwa v180, v186, v180 dst_sel:DWORD dst_unused:UNUSED_PAD src0_sel:WORD_0 src1_sel:DWORD
	v_sub_u16_e32 v185, v183, v184
	v_sub_u16_sdwa v186, v183, v184 dst_sel:BYTE_1 dst_unused:UNUSED_PAD src0_sel:BYTE_1 src1_sel:BYTE_1
	v_sub_u16_sdwa v182, v182, v184 dst_sel:BYTE_1 dst_unused:UNUSED_PAD src0_sel:DWORD src1_sel:BYTE_3
	v_sub_u16_sdwa v183, v183, v184 dst_sel:DWORD dst_unused:UNUSED_PAD src0_sel:WORD_1 src1_sel:WORD_1
	v_or_b32_sdwa v185, v185, v186 dst_sel:DWORD dst_unused:UNUSED_PAD src0_sel:BYTE_0 src1_sel:DWORD
	v_or_b32_sdwa v182, v183, v182 dst_sel:WORD_1 dst_unused:UNUSED_PAD src0_sel:BYTE_0 src1_sel:DWORD
	v_add_u32_e32 v186, 0x4208, v190
	v_or_b32_sdwa v182, v185, v182 dst_sel:DWORD dst_unused:UNUSED_PAD src0_sel:WORD_0 src1_sel:DWORD
	ds_read2_b32 v[184:185], v119 offset0:2 offset1:3
	ds_read2_b32 v[186:187], v186 offset1:1
	s_waitcnt lgkmcnt(1)
	v_ashrrev_i32_e32 v183, s23, v184
	s_waitcnt lgkmcnt(0)
	v_ashrrev_i32_e32 v186, s19, v186
	v_lshlrev_b32_e32 v186, 2, v186
	v_and_b32_e32 v184, 0x3030303, v183
	v_bfe_u32 v183, v183, 24, 2
	v_and_b32_e32 v186, 0x4040404, v186
	v_sub_u16_e32 v188, v184, v186
	v_sub_u16_sdwa v189, v184, v186 dst_sel:BYTE_1 dst_unused:UNUSED_PAD src0_sel:BYTE_1 src1_sel:BYTE_1
	v_sub_u16_sdwa v183, v183, v186 dst_sel:BYTE_1 dst_unused:UNUSED_PAD src0_sel:DWORD src1_sel:BYTE_3
	v_sub_u16_sdwa v184, v184, v186 dst_sel:DWORD dst_unused:UNUSED_PAD src0_sel:WORD_1 src1_sel:WORD_1
	v_ashrrev_i32_e32 v186, s19, v187
	v_or_b32_sdwa v183, v184, v183 dst_sel:WORD_1 dst_unused:UNUSED_PAD src0_sel:BYTE_0 src1_sel:DWORD
	v_ashrrev_i32_e32 v184, s23, v185
	v_lshlrev_b32_e32 v186, 2, v186
	v_or_b32_sdwa v188, v188, v189 dst_sel:DWORD dst_unused:UNUSED_PAD src0_sel:BYTE_0 src1_sel:DWORD
	v_and_b32_e32 v185, 0x3030303, v184
	v_bfe_u32 v184, v184, 24, 2
	v_and_b32_e32 v186, 0x4040404, v186
	v_or_b32_sdwa v183, v188, v183 dst_sel:DWORD dst_unused:UNUSED_PAD src0_sel:WORD_0 src1_sel:DWORD
	v_sub_u16_e32 v187, v185, v186
	v_sub_u16_sdwa v188, v185, v186 dst_sel:BYTE_1 dst_unused:UNUSED_PAD src0_sel:BYTE_1 src1_sel:BYTE_1
	v_sub_u16_sdwa v184, v184, v186 dst_sel:BYTE_1 dst_unused:UNUSED_PAD src0_sel:DWORD src1_sel:BYTE_3
	v_sub_u16_sdwa v185, v185, v186 dst_sel:DWORD dst_unused:UNUSED_PAD src0_sel:WORD_1 src1_sel:WORD_1
	v_or_b32_sdwa v187, v187, v188 dst_sel:DWORD dst_unused:UNUSED_PAD src0_sel:BYTE_0 src1_sel:DWORD
	v_or_b32_sdwa v184, v185, v184 dst_sel:WORD_1 dst_unused:UNUSED_PAD src0_sel:BYTE_0 src1_sel:DWORD
	v_add_u32_e32 v188, 0x4210, v190
	v_or_b32_sdwa v184, v187, v184 dst_sel:DWORD dst_unused:UNUSED_PAD src0_sel:WORD_0 src1_sel:DWORD
	ds_read2_b32 v[186:187], v119 offset0:4 offset1:5
	ds_read2_b32 v[188:189], v188 offset1:1
	s_waitcnt lgkmcnt(1)
	v_ashrrev_i32_e32 v185, s23, v186
	s_waitcnt lgkmcnt(0)
	v_ashrrev_i32_e32 v188, s19, v188
	v_lshlrev_b32_e32 v188, 2, v188
	v_and_b32_e32 v186, 0x3030303, v185
	v_bfe_u32 v185, v185, 24, 2
	v_and_b32_e32 v188, 0x4040404, v188
	v_sub_u16_e32 v191, v186, v188
	v_sub_u16_sdwa v192, v186, v188 dst_sel:BYTE_1 dst_unused:UNUSED_PAD src0_sel:BYTE_1 src1_sel:BYTE_1
	v_sub_u16_sdwa v185, v185, v188 dst_sel:BYTE_1 dst_unused:UNUSED_PAD src0_sel:DWORD src1_sel:BYTE_3
	v_sub_u16_sdwa v186, v186, v188 dst_sel:DWORD dst_unused:UNUSED_PAD src0_sel:WORD_1 src1_sel:WORD_1
	v_ashrrev_i32_e32 v188, s19, v189
	v_or_b32_sdwa v185, v186, v185 dst_sel:WORD_1 dst_unused:UNUSED_PAD src0_sel:BYTE_0 src1_sel:DWORD
	v_ashrrev_i32_e32 v186, s23, v187
	v_lshlrev_b32_e32 v188, 2, v188
	v_or_b32_sdwa v191, v191, v192 dst_sel:DWORD dst_unused:UNUSED_PAD src0_sel:BYTE_0 src1_sel:DWORD
	v_and_b32_e32 v187, 0x3030303, v186
	v_bfe_u32 v186, v186, 24, 2
	v_and_b32_e32 v188, 0x4040404, v188
	v_or_b32_sdwa v185, v191, v185 dst_sel:DWORD dst_unused:UNUSED_PAD src0_sel:WORD_0 src1_sel:DWORD
	v_sub_u16_e32 v189, v187, v188
	v_sub_u16_sdwa v191, v187, v188 dst_sel:BYTE_1 dst_unused:UNUSED_PAD src0_sel:BYTE_1 src1_sel:BYTE_1
	v_sub_u16_sdwa v186, v186, v188 dst_sel:BYTE_1 dst_unused:UNUSED_PAD src0_sel:DWORD src1_sel:BYTE_3
	v_sub_u16_sdwa v187, v187, v188 dst_sel:DWORD dst_unused:UNUSED_PAD src0_sel:WORD_1 src1_sel:WORD_1
	v_or_b32_sdwa v189, v189, v191 dst_sel:DWORD dst_unused:UNUSED_PAD src0_sel:BYTE_0 src1_sel:DWORD
	v_or_b32_sdwa v186, v187, v186 dst_sel:WORD_1 dst_unused:UNUSED_PAD src0_sel:BYTE_0 src1_sel:DWORD
	s_nop 0
	v_or_b32_sdwa v187, v189, v186 dst_sel:DWORD dst_unused:UNUSED_PAD src0_sel:WORD_0 src1_sel:DWORD
	ds_read2_b32 v[188:189], v119 offset0:6 offset1:7
	s_waitcnt lgkmcnt(0)
	v_ashrrev_i32_e32 v119, s23, v188
	v_add_u32_e32 v188, 0x4218, v190
	ds_read2_b32 v[190:191], v188 offset1:1
	v_and_b32_e32 v186, 0x3030303, v119
	v_bfe_u32 v119, v119, 24, 2
	s_waitcnt lgkmcnt(0)
	v_ashrrev_i32_e32 v188, s19, v190
	v_lshlrev_b32_e32 v188, 2, v188
	v_and_b32_e32 v188, 0x4040404, v188
	v_sub_u16_e32 v190, v186, v188
	v_sub_u16_sdwa v192, v186, v188 dst_sel:BYTE_1 dst_unused:UNUSED_PAD src0_sel:BYTE_1 src1_sel:BYTE_1
	v_sub_u16_sdwa v119, v119, v188 dst_sel:BYTE_1 dst_unused:UNUSED_PAD src0_sel:DWORD src1_sel:BYTE_3
	v_sub_u16_sdwa v186, v186, v188 dst_sel:DWORD dst_unused:UNUSED_PAD src0_sel:WORD_1 src1_sel:WORD_1
	v_or_b32_sdwa v190, v190, v192 dst_sel:DWORD dst_unused:UNUSED_PAD src0_sel:BYTE_0 src1_sel:DWORD
	v_or_b32_sdwa v119, v186, v119 dst_sel:WORD_1 dst_unused:UNUSED_PAD src0_sel:BYTE_0 src1_sel:DWORD
	s_nop 0
	v_or_b32_sdwa v188, v190, v119 dst_sel:DWORD dst_unused:UNUSED_PAD src0_sel:WORD_0 src1_sel:DWORD
	v_ashrrev_i32_e32 v119, s23, v189
	v_ashrrev_i32_e32 v189, s19, v191
	v_lshlrev_b32_e32 v189, 2, v189
	v_and_b32_e32 v186, 0x3030303, v119
	v_bfe_u32 v119, v119, 24, 2
	v_and_b32_e32 v189, 0x4040404, v189
	v_sub_u16_e32 v190, v186, v189
	v_sub_u16_sdwa v191, v186, v189 dst_sel:BYTE_1 dst_unused:UNUSED_PAD src0_sel:BYTE_1 src1_sel:BYTE_1
	v_sub_u16_sdwa v119, v119, v189 dst_sel:BYTE_1 dst_unused:UNUSED_PAD src0_sel:DWORD src1_sel:BYTE_3
	v_sub_u16_sdwa v186, v186, v189 dst_sel:DWORD dst_unused:UNUSED_PAD src0_sel:WORD_1 src1_sel:WORD_1
	v_or_b32_sdwa v190, v190, v191 dst_sel:DWORD dst_unused:UNUSED_PAD src0_sel:BYTE_0 src1_sel:DWORD
	v_or_b32_sdwa v119, v186, v119 dst_sel:WORD_1 dst_unused:UNUSED_PAD src0_sel:BYTE_0 src1_sel:DWORD
	v_add_u32_e32 v186, s26, v133
	v_or_b32_sdwa v189, v190, v119 dst_sel:DWORD dst_unused:UNUSED_PAD src0_sel:WORD_0 src1_sel:DWORD
	v_add3_u32 v119, v146, s22, v118
	ds_read_b32 v186, v186
	ds_read_u16 v119, v119 offset:9218
	v_mov_b32_e32 v191, 0
	v_dot4c_i32_i8_e32 v191, v180, v4
	v_dot4c_i32_i8_e32 v191, v182, v5
	;; [unrolled: 1-line block ×3, first 2 shown]
	s_waitcnt lgkmcnt(0)
	v_lshrrev_b16_e32 v192, 8, v119
	v_bfe_i32 v190, v119, 0, 8
	v_mov_b32_e32 v119, 0
	v_dot4c_i32_i8_e32 v119, v185, v0
	v_dot4c_i32_i8_e32 v119, v187, v1
	;; [unrolled: 1-line block ×5, first 2 shown]
	v_bfe_i32 v192, v192, 0, 8
	v_mul_lo_u32 v194, v191, v190
	s_nop 0
	v_mad_u64_u32 v[194:195], s[28:29], v119, v192, v[194:195]
	v_cvt_f32_i32_e32 v191, v194
	v_mul_f32_e32 v119, v116, v186
	v_fmac_f32_e32 v87, v119, v191
	v_add_u32_e32 v119, s25, v135
	ds_read2_b32 v[194:195], v119 offset1:1
	s_waitcnt lgkmcnt(0)
	v_ashrrev_i32_e32 v191, s23, v194
	v_add_u32_e32 v194, 0x4200, v202
	ds_read2_b32 v[196:197], v194 offset1:1
	v_and_b32_e32 v193, 0x3030303, v191
	v_bfe_u32 v191, v191, 24, 2
	s_waitcnt lgkmcnt(0)
	v_ashrrev_i32_e32 v194, s19, v196
	v_lshlrev_b32_e32 v194, 2, v194
	v_and_b32_e32 v194, 0x4040404, v194
	v_sub_u16_e32 v196, v193, v194
	v_sub_u16_sdwa v198, v193, v194 dst_sel:BYTE_1 dst_unused:UNUSED_PAD src0_sel:BYTE_1 src1_sel:BYTE_1
	v_sub_u16_sdwa v191, v191, v194 dst_sel:BYTE_1 dst_unused:UNUSED_PAD src0_sel:DWORD src1_sel:BYTE_3
	v_sub_u16_sdwa v193, v193, v194 dst_sel:DWORD dst_unused:UNUSED_PAD src0_sel:WORD_1 src1_sel:WORD_1
	v_or_b32_sdwa v191, v193, v191 dst_sel:WORD_1 dst_unused:UNUSED_PAD src0_sel:BYTE_0 src1_sel:DWORD
	v_ashrrev_i32_e32 v193, s23, v195
	v_ashrrev_i32_e32 v195, s19, v197
	v_lshlrev_b32_e32 v195, 2, v195
	v_or_b32_sdwa v196, v196, v198 dst_sel:DWORD dst_unused:UNUSED_PAD src0_sel:BYTE_0 src1_sel:DWORD
	v_and_b32_e32 v194, 0x3030303, v193
	v_bfe_u32 v193, v193, 24, 2
	v_and_b32_e32 v195, 0x4040404, v195
	v_or_b32_sdwa v191, v196, v191 dst_sel:DWORD dst_unused:UNUSED_PAD src0_sel:WORD_0 src1_sel:DWORD
	v_sub_u16_e32 v196, v194, v195
	v_sub_u16_sdwa v197, v194, v195 dst_sel:BYTE_1 dst_unused:UNUSED_PAD src0_sel:BYTE_1 src1_sel:BYTE_1
	v_sub_u16_sdwa v193, v193, v195 dst_sel:BYTE_1 dst_unused:UNUSED_PAD src0_sel:DWORD src1_sel:BYTE_3
	v_sub_u16_sdwa v194, v194, v195 dst_sel:DWORD dst_unused:UNUSED_PAD src0_sel:WORD_1 src1_sel:WORD_1
	v_or_b32_sdwa v196, v196, v197 dst_sel:DWORD dst_unused:UNUSED_PAD src0_sel:BYTE_0 src1_sel:DWORD
	v_or_b32_sdwa v193, v194, v193 dst_sel:WORD_1 dst_unused:UNUSED_PAD src0_sel:BYTE_0 src1_sel:DWORD
	ds_read2_b32 v[194:195], v119 offset0:2 offset1:3
	v_or_b32_sdwa v193, v196, v193 dst_sel:DWORD dst_unused:UNUSED_PAD src0_sel:WORD_0 src1_sel:DWORD
	v_add_u32_e32 v196, 0x4208, v202
	ds_read2_b32 v[196:197], v196 offset1:1
	s_waitcnt lgkmcnt(1)
	v_ashrrev_i32_e32 v194, s23, v194
	v_and_b32_e32 v198, 0x3030303, v194
	v_bfe_u32 v194, v194, 24, 2
	s_waitcnt lgkmcnt(0)
	v_ashrrev_i32_e32 v196, s19, v196
	v_lshlrev_b32_e32 v196, 2, v196
	v_and_b32_e32 v196, 0x4040404, v196
	v_ashrrev_i32_e32 v197, s19, v197
	v_sub_u16_e32 v199, v198, v196
	v_sub_u16_sdwa v200, v198, v196 dst_sel:BYTE_1 dst_unused:UNUSED_PAD src0_sel:BYTE_1 src1_sel:BYTE_1
	v_sub_u16_sdwa v194, v194, v196 dst_sel:BYTE_1 dst_unused:UNUSED_PAD src0_sel:DWORD src1_sel:BYTE_3
	v_sub_u16_sdwa v196, v198, v196 dst_sel:DWORD dst_unused:UNUSED_PAD src0_sel:WORD_1 src1_sel:WORD_1
	v_ashrrev_i32_e32 v195, s23, v195
	v_lshlrev_b32_e32 v197, 2, v197
	v_or_b32_sdwa v199, v199, v200 dst_sel:DWORD dst_unused:UNUSED_PAD src0_sel:BYTE_0 src1_sel:DWORD
	v_or_b32_sdwa v194, v196, v194 dst_sel:WORD_1 dst_unused:UNUSED_PAD src0_sel:BYTE_0 src1_sel:DWORD
	v_and_b32_e32 v196, 0x3030303, v195
	v_bfe_u32 v195, v195, 24, 2
	v_and_b32_e32 v197, 0x4040404, v197
	v_or_b32_sdwa v194, v199, v194 dst_sel:DWORD dst_unused:UNUSED_PAD src0_sel:WORD_0 src1_sel:DWORD
	v_sub_u16_e32 v198, v196, v197
	v_sub_u16_sdwa v199, v196, v197 dst_sel:BYTE_1 dst_unused:UNUSED_PAD src0_sel:BYTE_1 src1_sel:BYTE_1
	v_sub_u16_sdwa v195, v195, v197 dst_sel:BYTE_1 dst_unused:UNUSED_PAD src0_sel:DWORD src1_sel:BYTE_3
	v_sub_u16_sdwa v196, v196, v197 dst_sel:DWORD dst_unused:UNUSED_PAD src0_sel:WORD_1 src1_sel:WORD_1
	v_or_b32_sdwa v198, v198, v199 dst_sel:DWORD dst_unused:UNUSED_PAD src0_sel:BYTE_0 src1_sel:DWORD
	v_or_b32_sdwa v195, v196, v195 dst_sel:WORD_1 dst_unused:UNUSED_PAD src0_sel:BYTE_0 src1_sel:DWORD
	ds_read2_b32 v[196:197], v119 offset0:4 offset1:5
	v_or_b32_sdwa v195, v198, v195 dst_sel:DWORD dst_unused:UNUSED_PAD src0_sel:WORD_0 src1_sel:DWORD
	v_add_u32_e32 v198, 0x4210, v202
	ds_read2_b32 v[198:199], v198 offset1:1
	s_waitcnt lgkmcnt(1)
	v_ashrrev_i32_e32 v196, s23, v196
	v_and_b32_e32 v200, 0x3030303, v196
	v_bfe_u32 v196, v196, 24, 2
	s_waitcnt lgkmcnt(0)
	v_ashrrev_i32_e32 v198, s19, v198
	v_lshlrev_b32_e32 v198, 2, v198
	v_and_b32_e32 v198, 0x4040404, v198
	v_ashrrev_i32_e32 v199, s19, v199
	v_sub_u16_e32 v201, v200, v198
	v_sub_u16_sdwa v203, v200, v198 dst_sel:BYTE_1 dst_unused:UNUSED_PAD src0_sel:BYTE_1 src1_sel:BYTE_1
	v_sub_u16_sdwa v196, v196, v198 dst_sel:BYTE_1 dst_unused:UNUSED_PAD src0_sel:DWORD src1_sel:BYTE_3
	v_sub_u16_sdwa v198, v200, v198 dst_sel:DWORD dst_unused:UNUSED_PAD src0_sel:WORD_1 src1_sel:WORD_1
	v_ashrrev_i32_e32 v197, s23, v197
	v_lshlrev_b32_e32 v199, 2, v199
	v_or_b32_sdwa v201, v201, v203 dst_sel:DWORD dst_unused:UNUSED_PAD src0_sel:BYTE_0 src1_sel:DWORD
	v_or_b32_sdwa v196, v198, v196 dst_sel:WORD_1 dst_unused:UNUSED_PAD src0_sel:BYTE_0 src1_sel:DWORD
	v_and_b32_e32 v198, 0x3030303, v197
	v_bfe_u32 v197, v197, 24, 2
	v_and_b32_e32 v199, 0x4040404, v199
	v_or_b32_sdwa v196, v201, v196 dst_sel:DWORD dst_unused:UNUSED_PAD src0_sel:WORD_0 src1_sel:DWORD
	v_sub_u16_e32 v200, v198, v199
	v_sub_u16_sdwa v201, v198, v199 dst_sel:BYTE_1 dst_unused:UNUSED_PAD src0_sel:BYTE_1 src1_sel:BYTE_1
	v_sub_u16_sdwa v197, v197, v199 dst_sel:BYTE_1 dst_unused:UNUSED_PAD src0_sel:DWORD src1_sel:BYTE_3
	v_sub_u16_sdwa v198, v198, v199 dst_sel:DWORD dst_unused:UNUSED_PAD src0_sel:WORD_1 src1_sel:WORD_1
	v_or_b32_sdwa v200, v200, v201 dst_sel:DWORD dst_unused:UNUSED_PAD src0_sel:BYTE_0 src1_sel:DWORD
	v_or_b32_sdwa v197, v198, v197 dst_sel:WORD_1 dst_unused:UNUSED_PAD src0_sel:BYTE_0 src1_sel:DWORD
	v_add_u32_e32 v199, 0x4218, v202
	v_or_b32_sdwa v198, v200, v197 dst_sel:DWORD dst_unused:UNUSED_PAD src0_sel:WORD_0 src1_sel:DWORD
	ds_read2_b32 v[200:201], v119 offset0:6 offset1:7
	ds_read2_b32 v[202:203], v199 offset1:1
	s_waitcnt lgkmcnt(1)
	v_ashrrev_i32_e32 v119, s23, v200
	s_waitcnt lgkmcnt(0)
	v_ashrrev_i32_e32 v199, s19, v202
	v_lshlrev_b32_e32 v199, 2, v199
	v_and_b32_e32 v197, 0x3030303, v119
	v_bfe_u32 v119, v119, 24, 2
	v_and_b32_e32 v199, 0x4040404, v199
	v_sub_u16_e32 v200, v197, v199
	v_sub_u16_sdwa v202, v197, v199 dst_sel:BYTE_1 dst_unused:UNUSED_PAD src0_sel:BYTE_1 src1_sel:BYTE_1
	v_sub_u16_sdwa v119, v119, v199 dst_sel:BYTE_1 dst_unused:UNUSED_PAD src0_sel:DWORD src1_sel:BYTE_3
	v_sub_u16_sdwa v197, v197, v199 dst_sel:DWORD dst_unused:UNUSED_PAD src0_sel:WORD_1 src1_sel:WORD_1
	v_or_b32_sdwa v200, v200, v202 dst_sel:DWORD dst_unused:UNUSED_PAD src0_sel:BYTE_0 src1_sel:DWORD
	v_or_b32_sdwa v119, v197, v119 dst_sel:WORD_1 dst_unused:UNUSED_PAD src0_sel:BYTE_0 src1_sel:DWORD
	s_nop 0
	v_or_b32_sdwa v199, v200, v119 dst_sel:DWORD dst_unused:UNUSED_PAD src0_sel:WORD_0 src1_sel:DWORD
	v_ashrrev_i32_e32 v200, s19, v203
	v_ashrrev_i32_e32 v119, s23, v201
	v_lshlrev_b32_e32 v200, 2, v200
	v_and_b32_e32 v197, 0x3030303, v119
	v_bfe_u32 v119, v119, 24, 2
	v_and_b32_e32 v200, 0x4040404, v200
	v_sub_u16_e32 v201, v197, v200
	v_sub_u16_sdwa v202, v197, v200 dst_sel:BYTE_1 dst_unused:UNUSED_PAD src0_sel:BYTE_1 src1_sel:BYTE_1
	v_sub_u16_sdwa v119, v119, v200 dst_sel:BYTE_1 dst_unused:UNUSED_PAD src0_sel:DWORD src1_sel:BYTE_3
	v_sub_u16_sdwa v197, v197, v200 dst_sel:DWORD dst_unused:UNUSED_PAD src0_sel:WORD_1 src1_sel:WORD_1
	v_or_b32_sdwa v201, v201, v202 dst_sel:DWORD dst_unused:UNUSED_PAD src0_sel:BYTE_0 src1_sel:DWORD
	v_or_b32_sdwa v119, v197, v119 dst_sel:WORD_1 dst_unused:UNUSED_PAD src0_sel:BYTE_0 src1_sel:DWORD
	v_add_u32_e32 v197, s26, v136
	v_or_b32_sdwa v200, v201, v119 dst_sel:DWORD dst_unused:UNUSED_PAD src0_sel:WORD_0 src1_sel:DWORD
	v_add3_u32 v119, v148, s22, v118
	ds_read_b32 v197, v197
	ds_read_u16 v119, v119 offset:10242
	v_mov_b32_e32 v202, 0
	v_dot4c_i32_i8_e32 v202, v191, v4
	v_dot4c_i32_i8_e32 v202, v193, v5
	;; [unrolled: 1-line block ×3, first 2 shown]
	s_waitcnt lgkmcnt(0)
	v_lshrrev_b16_e32 v203, 8, v119
	v_bfe_i32 v201, v119, 0, 8
	v_mov_b32_e32 v119, 0
	v_dot4c_i32_i8_e32 v119, v196, v0
	v_dot4c_i32_i8_e32 v119, v198, v1
	;; [unrolled: 1-line block ×5, first 2 shown]
	v_bfe_i32 v203, v203, 0, 8
	v_mul_lo_u32 v202, v202, v201
	v_add3_u32 v118, v150, s22, v118
	v_mad_u64_u32 v[204:205], s[28:29], v119, v203, v[202:203]
	v_cvt_f32_i32_e32 v202, v204
	v_mul_f32_e32 v119, v116, v197
	v_fmac_f32_e32 v85, v119, v202
	v_add_u32_e32 v119, s25, v138
	ds_read2_b32 v[204:205], v119 offset1:1
	s_waitcnt lgkmcnt(0)
	v_ashrrev_i32_e32 v202, s23, v204
	v_and_b32_e32 v204, 0x3030303, v202
	v_bfe_u32 v202, v202, 24, 2
	v_sub_u16_e32 v208, v204, v206
	v_sub_u16_sdwa v209, v204, v206 dst_sel:BYTE_1 dst_unused:UNUSED_PAD src0_sel:BYTE_1 src1_sel:BYTE_1
	v_sub_u16_sdwa v202, v202, v206 dst_sel:BYTE_1 dst_unused:UNUSED_PAD src0_sel:DWORD src1_sel:BYTE_3
	v_sub_u16_sdwa v204, v204, v206 dst_sel:DWORD dst_unused:UNUSED_PAD src0_sel:WORD_1 src1_sel:WORD_1
	v_ashrrev_i32_e32 v206, s19, v207
	v_or_b32_sdwa v202, v204, v202 dst_sel:WORD_1 dst_unused:UNUSED_PAD src0_sel:BYTE_0 src1_sel:DWORD
	v_ashrrev_i32_e32 v204, s23, v205
	v_lshlrev_b32_e32 v206, 2, v206
	v_or_b32_sdwa v208, v208, v209 dst_sel:DWORD dst_unused:UNUSED_PAD src0_sel:BYTE_0 src1_sel:DWORD
	v_and_b32_e32 v205, 0x3030303, v204
	v_bfe_u32 v204, v204, 24, 2
	v_and_b32_e32 v206, 0x4040404, v206
	v_or_b32_sdwa v202, v208, v202 dst_sel:DWORD dst_unused:UNUSED_PAD src0_sel:WORD_0 src1_sel:DWORD
	v_sub_u16_e32 v207, v205, v206
	v_sub_u16_sdwa v208, v205, v206 dst_sel:BYTE_1 dst_unused:UNUSED_PAD src0_sel:BYTE_1 src1_sel:BYTE_1
	v_sub_u16_sdwa v204, v204, v206 dst_sel:BYTE_1 dst_unused:UNUSED_PAD src0_sel:DWORD src1_sel:BYTE_3
	v_sub_u16_sdwa v205, v205, v206 dst_sel:DWORD dst_unused:UNUSED_PAD src0_sel:WORD_1 src1_sel:WORD_1
	v_or_b32_sdwa v207, v207, v208 dst_sel:DWORD dst_unused:UNUSED_PAD src0_sel:BYTE_0 src1_sel:DWORD
	v_or_b32_sdwa v204, v205, v204 dst_sel:WORD_1 dst_unused:UNUSED_PAD src0_sel:BYTE_0 src1_sel:DWORD
	v_add_u32_e32 v208, 0x4208, v212
	v_or_b32_sdwa v204, v207, v204 dst_sel:DWORD dst_unused:UNUSED_PAD src0_sel:WORD_0 src1_sel:DWORD
	ds_read2_b32 v[206:207], v119 offset0:2 offset1:3
	ds_read2_b32 v[208:209], v208 offset1:1
	s_waitcnt lgkmcnt(1)
	v_ashrrev_i32_e32 v205, s23, v206
	s_waitcnt lgkmcnt(0)
	v_ashrrev_i32_e32 v208, s19, v208
	v_lshlrev_b32_e32 v208, 2, v208
	v_and_b32_e32 v206, 0x3030303, v205
	v_bfe_u32 v205, v205, 24, 2
	v_and_b32_e32 v208, 0x4040404, v208
	v_sub_u16_e32 v210, v206, v208
	v_sub_u16_sdwa v211, v206, v208 dst_sel:BYTE_1 dst_unused:UNUSED_PAD src0_sel:BYTE_1 src1_sel:BYTE_1
	v_sub_u16_sdwa v205, v205, v208 dst_sel:BYTE_1 dst_unused:UNUSED_PAD src0_sel:DWORD src1_sel:BYTE_3
	v_sub_u16_sdwa v206, v206, v208 dst_sel:DWORD dst_unused:UNUSED_PAD src0_sel:WORD_1 src1_sel:WORD_1
	v_ashrrev_i32_e32 v208, s19, v209
	v_or_b32_sdwa v205, v206, v205 dst_sel:WORD_1 dst_unused:UNUSED_PAD src0_sel:BYTE_0 src1_sel:DWORD
	v_ashrrev_i32_e32 v206, s23, v207
	v_lshlrev_b32_e32 v208, 2, v208
	v_or_b32_sdwa v210, v210, v211 dst_sel:DWORD dst_unused:UNUSED_PAD src0_sel:BYTE_0 src1_sel:DWORD
	v_and_b32_e32 v207, 0x3030303, v206
	v_bfe_u32 v206, v206, 24, 2
	v_and_b32_e32 v208, 0x4040404, v208
	v_or_b32_sdwa v205, v210, v205 dst_sel:DWORD dst_unused:UNUSED_PAD src0_sel:WORD_0 src1_sel:DWORD
	v_sub_u16_e32 v209, v207, v208
	v_sub_u16_sdwa v210, v207, v208 dst_sel:BYTE_1 dst_unused:UNUSED_PAD src0_sel:BYTE_1 src1_sel:BYTE_1
	v_sub_u16_sdwa v206, v206, v208 dst_sel:BYTE_1 dst_unused:UNUSED_PAD src0_sel:DWORD src1_sel:BYTE_3
	v_sub_u16_sdwa v207, v207, v208 dst_sel:DWORD dst_unused:UNUSED_PAD src0_sel:WORD_1 src1_sel:WORD_1
	v_or_b32_sdwa v209, v209, v210 dst_sel:DWORD dst_unused:UNUSED_PAD src0_sel:BYTE_0 src1_sel:DWORD
	v_or_b32_sdwa v206, v207, v206 dst_sel:WORD_1 dst_unused:UNUSED_PAD src0_sel:BYTE_0 src1_sel:DWORD
	v_add_u32_e32 v210, 0x4210, v212
	v_or_b32_sdwa v206, v209, v206 dst_sel:DWORD dst_unused:UNUSED_PAD src0_sel:WORD_0 src1_sel:DWORD
	ds_read2_b32 v[208:209], v119 offset0:4 offset1:5
	ds_read2_b32 v[210:211], v210 offset1:1
	s_waitcnt lgkmcnt(1)
	v_ashrrev_i32_e32 v207, s23, v208
	s_waitcnt lgkmcnt(0)
	v_ashrrev_i32_e32 v210, s19, v210
	v_lshlrev_b32_e32 v210, 2, v210
	v_and_b32_e32 v208, 0x3030303, v207
	v_bfe_u32 v207, v207, 24, 2
	v_and_b32_e32 v210, 0x4040404, v210
	v_sub_u16_e32 v213, v208, v210
	v_sub_u16_sdwa v214, v208, v210 dst_sel:BYTE_1 dst_unused:UNUSED_PAD src0_sel:BYTE_1 src1_sel:BYTE_1
	v_sub_u16_sdwa v207, v207, v210 dst_sel:BYTE_1 dst_unused:UNUSED_PAD src0_sel:DWORD src1_sel:BYTE_3
	v_sub_u16_sdwa v208, v208, v210 dst_sel:DWORD dst_unused:UNUSED_PAD src0_sel:WORD_1 src1_sel:WORD_1
	v_ashrrev_i32_e32 v210, s19, v211
	v_or_b32_sdwa v207, v208, v207 dst_sel:WORD_1 dst_unused:UNUSED_PAD src0_sel:BYTE_0 src1_sel:DWORD
	v_ashrrev_i32_e32 v208, s23, v209
	v_lshlrev_b32_e32 v210, 2, v210
	v_or_b32_sdwa v213, v213, v214 dst_sel:DWORD dst_unused:UNUSED_PAD src0_sel:BYTE_0 src1_sel:DWORD
	v_and_b32_e32 v209, 0x3030303, v208
	v_bfe_u32 v208, v208, 24, 2
	v_and_b32_e32 v210, 0x4040404, v210
	v_or_b32_sdwa v207, v213, v207 dst_sel:DWORD dst_unused:UNUSED_PAD src0_sel:WORD_0 src1_sel:DWORD
	v_sub_u16_e32 v211, v209, v210
	v_sub_u16_sdwa v213, v209, v210 dst_sel:BYTE_1 dst_unused:UNUSED_PAD src0_sel:BYTE_1 src1_sel:BYTE_1
	v_sub_u16_sdwa v208, v208, v210 dst_sel:BYTE_1 dst_unused:UNUSED_PAD src0_sel:DWORD src1_sel:BYTE_3
	v_sub_u16_sdwa v209, v209, v210 dst_sel:DWORD dst_unused:UNUSED_PAD src0_sel:WORD_1 src1_sel:WORD_1
	v_or_b32_sdwa v211, v211, v213 dst_sel:DWORD dst_unused:UNUSED_PAD src0_sel:BYTE_0 src1_sel:DWORD
	v_or_b32_sdwa v208, v209, v208 dst_sel:WORD_1 dst_unused:UNUSED_PAD src0_sel:BYTE_0 src1_sel:DWORD
	s_nop 0
	v_or_b32_sdwa v209, v211, v208 dst_sel:DWORD dst_unused:UNUSED_PAD src0_sel:WORD_0 src1_sel:DWORD
	ds_read2_b32 v[210:211], v119 offset0:6 offset1:7
	s_waitcnt lgkmcnt(0)
	v_ashrrev_i32_e32 v119, s23, v210
	v_add_u32_e32 v210, 0x4218, v212
	ds_read2_b32 v[212:213], v210 offset1:1
	v_and_b32_e32 v208, 0x3030303, v119
	v_bfe_u32 v119, v119, 24, 2
	s_waitcnt lgkmcnt(0)
	v_ashrrev_i32_e32 v210, s19, v212
	v_lshlrev_b32_e32 v210, 2, v210
	v_and_b32_e32 v210, 0x4040404, v210
	v_sub_u16_e32 v212, v208, v210
	v_sub_u16_sdwa v214, v208, v210 dst_sel:BYTE_1 dst_unused:UNUSED_PAD src0_sel:BYTE_1 src1_sel:BYTE_1
	v_sub_u16_sdwa v119, v119, v210 dst_sel:BYTE_1 dst_unused:UNUSED_PAD src0_sel:DWORD src1_sel:BYTE_3
	v_sub_u16_sdwa v208, v208, v210 dst_sel:DWORD dst_unused:UNUSED_PAD src0_sel:WORD_1 src1_sel:WORD_1
	v_or_b32_sdwa v212, v212, v214 dst_sel:DWORD dst_unused:UNUSED_PAD src0_sel:BYTE_0 src1_sel:DWORD
	v_or_b32_sdwa v119, v208, v119 dst_sel:WORD_1 dst_unused:UNUSED_PAD src0_sel:BYTE_0 src1_sel:DWORD
	s_nop 0
	v_or_b32_sdwa v210, v212, v119 dst_sel:DWORD dst_unused:UNUSED_PAD src0_sel:WORD_0 src1_sel:DWORD
	v_ashrrev_i32_e32 v119, s23, v211
	v_ashrrev_i32_e32 v211, s19, v213
	v_lshlrev_b32_e32 v211, 2, v211
	v_and_b32_e32 v208, 0x3030303, v119
	v_bfe_u32 v119, v119, 24, 2
	v_and_b32_e32 v211, 0x4040404, v211
	v_sub_u16_e32 v212, v208, v211
	v_sub_u16_sdwa v213, v208, v211 dst_sel:BYTE_1 dst_unused:UNUSED_PAD src0_sel:BYTE_1 src1_sel:BYTE_1
	v_sub_u16_sdwa v119, v119, v211 dst_sel:BYTE_1 dst_unused:UNUSED_PAD src0_sel:DWORD src1_sel:BYTE_3
	v_sub_u16_sdwa v208, v208, v211 dst_sel:DWORD dst_unused:UNUSED_PAD src0_sel:WORD_1 src1_sel:WORD_1
	v_or_b32_sdwa v212, v212, v213 dst_sel:DWORD dst_unused:UNUSED_PAD src0_sel:BYTE_0 src1_sel:DWORD
	v_or_b32_sdwa v119, v208, v119 dst_sel:WORD_1 dst_unused:UNUSED_PAD src0_sel:BYTE_0 src1_sel:DWORD
	s_add_i32 s19, s19, 1
	v_or_b32_sdwa v211, v212, v119 dst_sel:DWORD dst_unused:UNUSED_PAD src0_sel:WORD_0 src1_sel:DWORD
	v_add_u32_e32 v119, s26, v139
	ds_read_b32 v208, v119
	v_mov_b32_e32 v119, 0
	v_dot4c_i32_i8_e32 v119, v202, v4
	ds_read_u16 v4, v118 offset:11266
	v_dot4c_i32_i8_e32 v119, v204, v5
	v_dot4c_i32_i8_e32 v119, v205, v6
	v_mov_b32_e32 v6, 0
	v_dot4c_i32_i8_e32 v6, v207, v0
	v_dot4c_i32_i8_e32 v6, v209, v1
	;; [unrolled: 1-line block ×3, first 2 shown]
	s_waitcnt lgkmcnt(0)
	v_lshrrev_b16_e32 v5, 8, v4
	v_bfe_i32 v212, v4, 0, 8
	v_dot4c_i32_i8_e32 v6, v210, v2
	v_mul_lo_u32 v4, v119, v212
	v_dot4c_i32_i8_e32 v6, v211, v3
	v_bfe_i32 v213, v5, 0, 8
	v_mov_b32_e32 v118, 0
	s_cmp_lt_u32 s21, 14
	v_mad_u64_u32 v[0:1], s[22:23], v6, v213, v[4:5]
	v_cvt_f32_i32_e32 v0, v0
	v_mul_f32_e32 v1, v116, v208
	v_mov_b32_e32 v116, 0
	v_fmac_f32_e32 v81, v1, v0
	ds_read_b128 v[0:3], v168 offset:26368
	ds_read_b128 v[4:7], v168 offset:26384
	s_waitcnt lgkmcnt(1)
	v_dot4c_i32_i8_e32 v116, v170, v0
	v_dot4c_i32_i8_e32 v116, v171, v1
	s_waitcnt lgkmcnt(0)
	v_dot4c_i32_i8_e32 v118, v175, v4
	v_dot4c_i32_i8_e32 v116, v172, v2
	;; [unrolled: 1-line block ×6, first 2 shown]
	s_nop 0
	v_mul_lo_u32 v116, v116, v179
	s_nop 0
	v_mad_u64_u32 v[118:119], s[22:23], v118, v181, v[116:117]
	v_cvt_f32_i32_e32 v118, v118
	v_mul_f32_e32 v116, v174, v117
	v_fmac_f32_e32 v75, v116, v118
	v_mov_b32_e32 v116, 0
	v_dot4c_i32_i8_e32 v116, v180, v0
	v_mov_b32_e32 v118, 0
	v_dot4c_i32_i8_e32 v116, v182, v1
	v_dot4c_i32_i8_e32 v118, v185, v4
	;; [unrolled: 1-line block ×7, first 2 shown]
	s_nop 0
	v_mul_lo_u32 v116, v116, v190
	s_nop 0
	v_mad_u64_u32 v[118:119], s[22:23], v118, v192, v[116:117]
	v_cvt_f32_i32_e32 v118, v118
	v_mul_f32_e32 v116, v186, v117
	v_fmac_f32_e32 v71, v116, v118
	v_mov_b32_e32 v116, 0
	v_dot4c_i32_i8_e32 v116, v191, v0
	v_mov_b32_e32 v118, 0
	v_dot4c_i32_i8_e32 v116, v193, v1
	v_dot4c_i32_i8_e32 v118, v196, v4
	;; [unrolled: 1-line block ×7, first 2 shown]
	s_nop 0
	v_mul_lo_u32 v116, v116, v201
	s_nop 0
	v_mad_u64_u32 v[118:119], s[22:23], v118, v203, v[116:117]
	v_cvt_f32_i32_e32 v118, v118
	v_mul_f32_e32 v116, v197, v117
	v_fmac_f32_e32 v69, v116, v118
	v_mov_b32_e32 v116, 0
	v_dot4c_i32_i8_e32 v116, v202, v0
	v_dot4c_i32_i8_e32 v116, v204, v1
	v_mov_b32_e32 v1, 0
	v_dot4c_i32_i8_e32 v1, v207, v4
	v_dot4c_i32_i8_e32 v116, v205, v2
	;; [unrolled: 1-line block ×6, first 2 shown]
	s_nop 0
	v_mul_lo_u32 v0, v116, v212
	s_nop 0
	v_mad_u64_u32 v[0:1], s[22:23], v1, v213, v[0:1]
	v_cvt_f32_i32_e32 v0, v0
	v_mul_f32_e32 v1, v208, v117
	v_fmac_f32_e32 v67, v1, v0
	v_add_u32_e32 v0, 0x9800, v169
	ds_read2_b32 v[6:7], v0 offset0:40 offset1:72
	ds_read_b128 v[2:5], v168 offset:27392
	ds_read_b128 v[116:119], v168 offset:27408
	v_mov_b32_e32 v1, 0
	v_add_u32_e32 v169, 4, v169
	s_waitcnt lgkmcnt(1)
	v_dot4c_i32_i8_e32 v1, v170, v2
	v_dot4c_i32_i8_e32 v1, v171, v3
	;; [unrolled: 1-line block ×4, first 2 shown]
	s_nop 2
	v_mul_lo_u32 v214, v1, v179
	v_mov_b32_e32 v1, 0
	s_waitcnt lgkmcnt(0)
	v_dot4c_i32_i8_e32 v1, v175, v116
	v_dot4c_i32_i8_e32 v1, v176, v117
	;; [unrolled: 1-line block ×4, first 2 shown]
	s_nop 2
	v_mad_u64_u32 v[214:215], s[22:23], v1, v181, v[214:215]
	v_cvt_f32_i32_e32 v214, v214
	v_mul_f32_e32 v1, v174, v6
                                        ; kill: def $vgpr215 killed $sgpr0 killed $exec
	v_fmac_f32_e32 v65, v1, v214
	v_mov_b32_e32 v1, 0
	v_dot4c_i32_i8_e32 v1, v180, v2
	v_dot4c_i32_i8_e32 v1, v182, v3
	;; [unrolled: 1-line block ×4, first 2 shown]
	s_nop 2
	v_mul_lo_u32 v214, v1, v190
	v_mov_b32_e32 v1, 0
	v_dot4c_i32_i8_e32 v1, v185, v116
	v_dot4c_i32_i8_e32 v1, v187, v117
	;; [unrolled: 1-line block ×4, first 2 shown]
	s_nop 2
	v_mad_u64_u32 v[214:215], s[22:23], v1, v192, v[214:215]
	v_cvt_f32_i32_e32 v214, v214
	v_mul_f32_e32 v1, v186, v6
                                        ; kill: def $vgpr215 killed $sgpr0 killed $exec
	v_fmac_f32_e32 v61, v1, v214
	v_mov_b32_e32 v1, 0
	v_dot4c_i32_i8_e32 v1, v191, v2
	v_dot4c_i32_i8_e32 v1, v193, v3
	;; [unrolled: 1-line block ×4, first 2 shown]
	s_nop 2
	v_mul_lo_u32 v214, v1, v201
	v_mov_b32_e32 v1, 0
	v_dot4c_i32_i8_e32 v1, v196, v116
	v_dot4c_i32_i8_e32 v1, v198, v117
	;; [unrolled: 1-line block ×4, first 2 shown]
	s_nop 2
	v_mad_u64_u32 v[214:215], s[22:23], v1, v203, v[214:215]
	v_cvt_f32_i32_e32 v214, v214
	v_mul_f32_e32 v1, v197, v6
	v_fmac_f32_e32 v57, v1, v214
	v_mov_b32_e32 v1, 0
	v_dot4c_i32_i8_e32 v1, v202, v2
	v_dot4c_i32_i8_e32 v1, v204, v3
	;; [unrolled: 1-line block ×4, first 2 shown]
                                        ; kill: def $vgpr3 killed $sgpr0 killed $exec
	s_nop 2
	v_mul_lo_u32 v2, v1, v212
	v_mov_b32_e32 v1, 0
	v_dot4c_i32_i8_e32 v1, v207, v116
	v_dot4c_i32_i8_e32 v1, v209, v117
	;; [unrolled: 1-line block ×4, first 2 shown]
	s_nop 2
	v_mad_u64_u32 v[2:3], s[22:23], v1, v213, v[2:3]
	v_cvt_f32_i32_e32 v2, v2
	v_mul_f32_e32 v1, v208, v6
	v_fmac_f32_e32 v55, v1, v2
	ds_read_b128 v[2:5], v168 offset:28416
	ds_read_b128 v[116:119], v168 offset:28432
	v_mov_b32_e32 v1, 0
	s_waitcnt lgkmcnt(1)
	v_dot4c_i32_i8_e32 v1, v170, v2
	v_dot4c_i32_i8_e32 v1, v171, v3
	;; [unrolled: 1-line block ×4, first 2 shown]
	s_nop 2
	v_mul_lo_u32 v6, v1, v179
	v_mov_b32_e32 v1, 0
	s_waitcnt lgkmcnt(0)
	v_dot4c_i32_i8_e32 v1, v175, v116
	v_dot4c_i32_i8_e32 v1, v176, v117
	v_dot4c_i32_i8_e32 v1, v177, v118
	v_dot4c_i32_i8_e32 v1, v178, v119
	s_nop 2
	v_mad_u64_u32 v[214:215], s[22:23], v1, v181, v[6:7]
	v_cvt_f32_i32_e32 v6, v214
	v_mul_f32_e32 v1, v174, v7
	v_fmac_f32_e32 v53, v1, v6
	v_mov_b32_e32 v1, 0
	v_dot4c_i32_i8_e32 v1, v180, v2
	v_dot4c_i32_i8_e32 v1, v182, v3
	;; [unrolled: 1-line block ×4, first 2 shown]
	s_nop 2
	v_mul_lo_u32 v6, v1, v190
	v_mov_b32_e32 v1, 0
	v_dot4c_i32_i8_e32 v1, v185, v116
	v_dot4c_i32_i8_e32 v1, v187, v117
	;; [unrolled: 1-line block ×4, first 2 shown]
	s_nop 2
	v_mad_u64_u32 v[214:215], s[22:23], v1, v192, v[6:7]
	v_cvt_f32_i32_e32 v6, v214
	v_mul_f32_e32 v1, v186, v7
	v_fmac_f32_e32 v51, v1, v6
	v_mov_b32_e32 v1, 0
	v_dot4c_i32_i8_e32 v1, v191, v2
	v_dot4c_i32_i8_e32 v1, v193, v3
	;; [unrolled: 1-line block ×4, first 2 shown]
	s_nop 2
	v_mul_lo_u32 v6, v1, v201
	v_mov_b32_e32 v1, 0
	v_dot4c_i32_i8_e32 v1, v196, v116
	v_dot4c_i32_i8_e32 v1, v198, v117
	;; [unrolled: 1-line block ×4, first 2 shown]
	s_nop 2
	v_mad_u64_u32 v[214:215], s[22:23], v1, v203, v[6:7]
	v_cvt_f32_i32_e32 v6, v214
	v_mul_f32_e32 v1, v197, v7
                                        ; kill: def $vgpr215 killed $sgpr0 killed $exec
	v_fmac_f32_e32 v49, v1, v6
	v_mov_b32_e32 v1, 0
	v_dot4c_i32_i8_e32 v1, v202, v2
	v_dot4c_i32_i8_e32 v1, v204, v3
	;; [unrolled: 1-line block ×4, first 2 shown]
                                        ; kill: def $vgpr3 killed $sgpr0 killed $exec
	s_nop 2
	v_mul_lo_u32 v2, v1, v212
	v_mov_b32_e32 v1, 0
	v_dot4c_i32_i8_e32 v1, v207, v116
	v_dot4c_i32_i8_e32 v1, v209, v117
	;; [unrolled: 1-line block ×4, first 2 shown]
	s_nop 2
	v_mad_u64_u32 v[2:3], s[22:23], v1, v213, v[2:3]
	v_cvt_f32_i32_e32 v2, v2
	v_mul_f32_e32 v1, v208, v7
	v_fmac_f32_e32 v47, v1, v2
	ds_read2_b32 v[6:7], v0 offset0:104 offset1:136
	ds_read_b128 v[2:5], v168 offset:29440
	ds_read_b128 v[116:119], v168 offset:29456
	v_mov_b32_e32 v1, 0
	s_waitcnt lgkmcnt(1)
	v_dot4c_i32_i8_e32 v1, v170, v2
	v_dot4c_i32_i8_e32 v1, v171, v3
	;; [unrolled: 1-line block ×4, first 2 shown]
	s_nop 2
	v_mul_lo_u32 v214, v1, v179
	v_mov_b32_e32 v1, 0
	s_waitcnt lgkmcnt(0)
	v_dot4c_i32_i8_e32 v1, v175, v116
	v_dot4c_i32_i8_e32 v1, v176, v117
	;; [unrolled: 1-line block ×4, first 2 shown]
	s_nop 2
	v_mad_u64_u32 v[214:215], s[22:23], v1, v181, v[214:215]
	v_cvt_f32_i32_e32 v214, v214
	v_mul_f32_e32 v1, v174, v6
                                        ; kill: def $vgpr215 killed $sgpr0 killed $exec
	v_fmac_f32_e32 v45, v1, v214
	v_mov_b32_e32 v1, 0
	v_dot4c_i32_i8_e32 v1, v180, v2
	v_dot4c_i32_i8_e32 v1, v182, v3
	;; [unrolled: 1-line block ×4, first 2 shown]
	s_nop 2
	v_mul_lo_u32 v214, v1, v190
	v_mov_b32_e32 v1, 0
	v_dot4c_i32_i8_e32 v1, v185, v116
	v_dot4c_i32_i8_e32 v1, v187, v117
	;; [unrolled: 1-line block ×4, first 2 shown]
	s_nop 2
	v_mad_u64_u32 v[214:215], s[22:23], v1, v192, v[214:215]
	v_cvt_f32_i32_e32 v214, v214
	v_mul_f32_e32 v1, v186, v6
                                        ; kill: def $vgpr215 killed $sgpr0 killed $exec
	v_fmac_f32_e32 v43, v1, v214
	v_mov_b32_e32 v1, 0
	v_dot4c_i32_i8_e32 v1, v191, v2
	v_dot4c_i32_i8_e32 v1, v193, v3
	;; [unrolled: 1-line block ×4, first 2 shown]
	s_nop 2
	v_mul_lo_u32 v214, v1, v201
	v_mov_b32_e32 v1, 0
	v_dot4c_i32_i8_e32 v1, v196, v116
	v_dot4c_i32_i8_e32 v1, v198, v117
	;; [unrolled: 1-line block ×4, first 2 shown]
	s_nop 2
	v_mad_u64_u32 v[214:215], s[22:23], v1, v203, v[214:215]
	v_cvt_f32_i32_e32 v214, v214
	v_mul_f32_e32 v1, v197, v6
	v_fmac_f32_e32 v41, v1, v214
	v_mov_b32_e32 v1, 0
	v_dot4c_i32_i8_e32 v1, v202, v2
	v_dot4c_i32_i8_e32 v1, v204, v3
	;; [unrolled: 1-line block ×4, first 2 shown]
                                        ; kill: def $vgpr3 killed $sgpr0 killed $exec
	s_nop 2
	v_mul_lo_u32 v2, v1, v212
	v_mov_b32_e32 v1, 0
	v_dot4c_i32_i8_e32 v1, v207, v116
	v_dot4c_i32_i8_e32 v1, v209, v117
	;; [unrolled: 1-line block ×4, first 2 shown]
	s_nop 2
	v_mad_u64_u32 v[2:3], s[22:23], v1, v213, v[2:3]
	v_cvt_f32_i32_e32 v2, v2
	v_mul_f32_e32 v1, v208, v6
	v_fmac_f32_e32 v39, v1, v2
	ds_read_b128 v[2:5], v168 offset:30464
	ds_read_b128 v[116:119], v168 offset:30480
	v_mov_b32_e32 v1, 0
	s_waitcnt lgkmcnt(1)
	v_dot4c_i32_i8_e32 v1, v170, v2
	v_dot4c_i32_i8_e32 v1, v171, v3
	;; [unrolled: 1-line block ×4, first 2 shown]
	s_nop 2
	v_mul_lo_u32 v6, v1, v179
	v_mov_b32_e32 v1, 0
	s_waitcnt lgkmcnt(0)
	v_dot4c_i32_i8_e32 v1, v175, v116
	v_dot4c_i32_i8_e32 v1, v176, v117
	;; [unrolled: 1-line block ×4, first 2 shown]
	s_nop 2
	v_mad_u64_u32 v[214:215], s[22:23], v1, v181, v[6:7]
	v_cvt_f32_i32_e32 v6, v214
	v_mul_f32_e32 v1, v174, v7
	v_fmac_f32_e32 v35, v1, v6
	v_mov_b32_e32 v1, 0
	v_dot4c_i32_i8_e32 v1, v180, v2
	v_dot4c_i32_i8_e32 v1, v182, v3
	;; [unrolled: 1-line block ×4, first 2 shown]
	s_nop 2
	v_mul_lo_u32 v6, v1, v190
	v_mov_b32_e32 v1, 0
	v_dot4c_i32_i8_e32 v1, v185, v116
	v_dot4c_i32_i8_e32 v1, v187, v117
	;; [unrolled: 1-line block ×4, first 2 shown]
	s_nop 2
	v_mad_u64_u32 v[214:215], s[22:23], v1, v192, v[6:7]
	v_cvt_f32_i32_e32 v6, v214
	v_mul_f32_e32 v1, v186, v7
	v_fmac_f32_e32 v31, v1, v6
	v_mov_b32_e32 v1, 0
	v_dot4c_i32_i8_e32 v1, v191, v2
	v_dot4c_i32_i8_e32 v1, v193, v3
	;; [unrolled: 1-line block ×4, first 2 shown]
	s_nop 2
	v_mul_lo_u32 v6, v1, v201
	v_mov_b32_e32 v1, 0
	v_dot4c_i32_i8_e32 v1, v196, v116
	v_dot4c_i32_i8_e32 v1, v198, v117
	;; [unrolled: 1-line block ×4, first 2 shown]
	s_nop 2
	v_mad_u64_u32 v[214:215], s[22:23], v1, v203, v[6:7]
	v_cvt_f32_i32_e32 v6, v214
	v_mul_f32_e32 v1, v197, v7
	v_fmac_f32_e32 v29, v1, v6
	v_mov_b32_e32 v1, 0
	v_dot4c_i32_i8_e32 v1, v202, v2
	v_dot4c_i32_i8_e32 v1, v204, v3
	;; [unrolled: 1-line block ×4, first 2 shown]
                                        ; kill: def $vgpr3 killed $sgpr0 killed $exec
	s_nop 2
	v_mul_lo_u32 v2, v1, v212
	v_mov_b32_e32 v1, 0
	v_dot4c_i32_i8_e32 v1, v207, v116
	v_dot4c_i32_i8_e32 v1, v209, v117
	v_dot4c_i32_i8_e32 v1, v210, v118
	v_dot4c_i32_i8_e32 v1, v211, v119
	v_mov_b32_e32 v118, 0
	v_mov_b32_e32 v119, 0
	s_nop 0
	v_mad_u64_u32 v[2:3], s[22:23], v1, v213, v[2:3]
	v_cvt_f32_i32_e32 v2, v2
	v_mul_f32_e32 v1, v208, v7
	v_fmac_f32_e32 v27, v1, v2
	ds_read2_b32 v[116:117], v0 offset0:168 offset1:200
	ds_read_b128 v[4:7], v168 offset:31488
	ds_read_b128 v[0:3], v168 offset:31504
	s_waitcnt lgkmcnt(1)
	v_dot4c_i32_i8_e32 v118, v170, v4
	v_dot4c_i32_i8_e32 v118, v171, v5
	s_waitcnt lgkmcnt(0)
	v_dot4c_i32_i8_e32 v119, v175, v0
	v_dot4c_i32_i8_e32 v118, v172, v6
	;; [unrolled: 1-line block ×6, first 2 shown]
	s_nop 0
	v_mul_lo_u32 v118, v118, v179
	s_nop 0
	v_mad_u64_u32 v[118:119], s[22:23], v119, v181, v[118:119]
	v_cvt_f32_i32_e32 v118, v118
	v_mul_f32_e32 v119, v174, v116
	v_fmac_f32_e32 v25, v119, v118
	v_mov_b32_e32 v118, 0
	v_dot4c_i32_i8_e32 v118, v180, v4
	v_mov_b32_e32 v119, 0
	v_dot4c_i32_i8_e32 v118, v182, v5
	v_dot4c_i32_i8_e32 v119, v185, v0
	;; [unrolled: 1-line block ×7, first 2 shown]
	s_nop 0
	v_mul_lo_u32 v118, v118, v190
	s_nop 0
	v_mad_u64_u32 v[118:119], s[22:23], v119, v192, v[118:119]
	v_cvt_f32_i32_e32 v118, v118
	v_mul_f32_e32 v119, v186, v116
	v_fmac_f32_e32 v23, v119, v118
	v_mov_b32_e32 v118, 0
	v_dot4c_i32_i8_e32 v118, v191, v4
	v_mov_b32_e32 v119, 0
	v_dot4c_i32_i8_e32 v118, v193, v5
	v_dot4c_i32_i8_e32 v119, v196, v0
	;; [unrolled: 1-line block ×7, first 2 shown]
	s_nop 0
	v_mul_lo_u32 v118, v118, v201
	s_nop 0
	v_mad_u64_u32 v[118:119], s[22:23], v119, v203, v[118:119]
	v_cvt_f32_i32_e32 v118, v118
	v_mul_f32_e32 v119, v197, v116
	v_fmac_f32_e32 v21, v119, v118
	v_mov_b32_e32 v118, 0
	v_dot4c_i32_i8_e32 v118, v202, v4
	v_dot4c_i32_i8_e32 v118, v204, v5
	v_mov_b32_e32 v5, 0
	v_dot4c_i32_i8_e32 v5, v207, v0
	v_dot4c_i32_i8_e32 v118, v205, v6
	;; [unrolled: 1-line block ×6, first 2 shown]
	s_nop 0
	v_mul_lo_u32 v4, v118, v212
	v_mov_b32_e32 v118, 0
	v_mad_u64_u32 v[0:1], s[22:23], v5, v213, v[4:5]
	v_cvt_f32_i32_e32 v0, v0
	v_mul_f32_e32 v1, v208, v116
	v_mov_b32_e32 v116, 0
	v_fmac_f32_e32 v19, v1, v0
	ds_read_b128 v[0:3], v168 offset:32512
	ds_read_b128 v[4:7], v168 offset:32528
	v_add_u32_e32 v168, 32, v168
	s_waitcnt lgkmcnt(1)
	v_dot4c_i32_i8_e32 v116, v170, v0
	v_dot4c_i32_i8_e32 v116, v171, v1
	s_waitcnt lgkmcnt(0)
	v_dot4c_i32_i8_e32 v118, v175, v4
	v_dot4c_i32_i8_e32 v116, v172, v2
	;; [unrolled: 1-line block ×6, first 2 shown]
	s_nop 0
	v_mul_lo_u32 v116, v116, v179
	s_nop 0
	v_mad_u64_u32 v[118:119], s[22:23], v118, v181, v[116:117]
	v_cvt_f32_i32_e32 v118, v118
	v_mul_f32_e32 v116, v174, v117
	v_fmac_f32_e32 v17, v116, v118
	v_mov_b32_e32 v116, 0
	v_dot4c_i32_i8_e32 v116, v180, v0
	v_mov_b32_e32 v118, 0
	v_dot4c_i32_i8_e32 v116, v182, v1
	v_dot4c_i32_i8_e32 v118, v185, v4
	;; [unrolled: 1-line block ×7, first 2 shown]
	s_nop 0
	v_mul_lo_u32 v116, v116, v190
	s_nop 0
	v_mad_u64_u32 v[118:119], s[22:23], v118, v192, v[116:117]
	v_cvt_f32_i32_e32 v118, v118
	v_mul_f32_e32 v116, v186, v117
	v_fmac_f32_e32 v15, v116, v118
	v_mov_b32_e32 v116, 0
	v_dot4c_i32_i8_e32 v116, v191, v0
	v_mov_b32_e32 v118, 0
	v_dot4c_i32_i8_e32 v116, v193, v1
	v_dot4c_i32_i8_e32 v118, v196, v4
	;; [unrolled: 1-line block ×7, first 2 shown]
	s_nop 0
	v_mul_lo_u32 v116, v116, v201
	s_nop 0
	v_mad_u64_u32 v[118:119], s[22:23], v118, v203, v[116:117]
	v_cvt_f32_i32_e32 v118, v118
	v_mul_f32_e32 v116, v197, v117
	v_fmac_f32_e32 v13, v116, v118
	v_mov_b32_e32 v116, 0
	v_dot4c_i32_i8_e32 v116, v202, v0
	v_dot4c_i32_i8_e32 v116, v204, v1
	v_mov_b32_e32 v1, 0
	v_dot4c_i32_i8_e32 v1, v207, v4
	v_dot4c_i32_i8_e32 v116, v205, v2
	;; [unrolled: 1-line block ×6, first 2 shown]
	s_nop 0
	v_mul_lo_u32 v0, v116, v212
	s_nop 0
	v_mad_u64_u32 v[0:1], s[22:23], v1, v213, v[0:1]
	v_cvt_f32_i32_e32 v0, v0
	v_mul_f32_e32 v1, v208, v117
	s_mov_b32 s22, s21
	v_fmac_f32_e32 v9, v1, v0
	s_cbranch_scc1 .LBB150_9
; %bb.10:                               ;   in Loop: Header=BB150_6 Depth=1
	s_or_b32 s19, s9, 1
	s_cmp_ge_i32 s19, s4
	s_barrier
	s_cbranch_scc1 .LBB150_5
; %bb.11:                               ;   in Loop: Header=BB150_6 Depth=1
	v_add_u32_e32 v170, s18, v141
	v_add_u32_e32 v0, v170, v91
	;; [unrolled: 1-line block ×6, first 2 shown]
	v_mad_i64_i32 v[0:1], s[20:21], v0, 36, v[112:113]
	v_mad_i64_i32 v[2:3], s[20:21], v2, 36, v[112:113]
	;; [unrolled: 1-line block ×4, first 2 shown]
	v_add_u32_e32 v116, v170, v115
	v_add_u32_e32 v118, v170, v121
	;; [unrolled: 1-line block ×4, first 2 shown]
	v_mad_u64_u32 v[172:173], s[20:21], v172, 36, s[2:3]
	v_mad_i64_i32 v[116:117], s[20:21], v116, 36, v[112:113]
	v_mad_i64_i32 v[118:119], s[20:21], v118, 36, v[112:113]
	;; [unrolled: 1-line block ×4, first 2 shown]
	global_load_dword v172, v[172:173], off
	s_nop 0
	global_load_dword v0, v[0:1], off offset:4
	s_nop 0
	global_load_dword v1, v[2:3], off offset:4
	;; [unrolled: 2-line block ×3, first 2 shown]
	global_load_dword v3, v[6:7], off offset:4
	s_nop 0
	global_load_dword v4, v[116:117], off offset:4
	global_load_dword v5, v[118:119], off offset:4
	;; [unrolled: 1-line block ×4, first 2 shown]
	s_mov_b32 s19, 16
	s_mov_b32 s22, 14
	;; [unrolled: 1-line block ×3, first 2 shown]
	v_mov_b32_e32 v168, v152
	v_mov_b32_e32 v169, v151
	s_waitcnt vmcnt(8)
	v_cvt_f32_f16_e32 v116, v172
	s_waitcnt vmcnt(7)
	ds_write_b32 v95, v0
	s_waitcnt vmcnt(6)
	ds_write_b32 v99, v1
	;; [unrolled: 2-line block ×8, first 2 shown]
	ds_write_b32 v89, v116
	s_waitcnt lgkmcnt(0)
	s_barrier
.LBB150_12:                             ;   Parent Loop BB150_6 Depth=1
                                        ; =>  This Inner Loop Header: Depth=2
	s_add_i32 s21, s22, 2
	s_lshr_b32 s26, s21, 4
	s_and_b32 s25, s21, 0x3ffffff8
	s_lshl_b32 s24, s26, 3
	s_lshl_b32 s25, s25, 2
	v_add_lshl_u32 v180, v128, s24, 2
	v_add_u32_e32 v119, s25, v129
	v_add_u32_e32 v172, 0x4200, v180
	ds_read2_b32 v[116:117], v169 offset1:32
	ds_read_b128 v[4:7], v168
	ds_read_b128 v[0:3], v168 offset:16
	ds_read2_b32 v[170:171], v119 offset1:1
	ds_read2_b32 v[172:173], v172 offset1:1
	s_and_b32 s23, s19, -16
	v_add_u32_e32 v118, s23, v127
	s_add_i32 s23, s22, -14
	s_waitcnt lgkmcnt(1)
	v_ashrrev_i32_e32 v170, s23, v170
	s_waitcnt lgkmcnt(0)
	v_ashrrev_i32_e32 v172, s20, v172
	v_lshlrev_b32_e32 v172, 2, v172
	v_and_b32_e32 v174, 0x3030303, v170
	v_bfe_u32 v170, v170, 24, 2
	v_and_b32_e32 v172, 0x4040404, v172
	v_ashrrev_i32_e32 v173, s20, v173
	v_sub_u16_e32 v175, v174, v172
	v_sub_u16_sdwa v176, v174, v172 dst_sel:BYTE_1 dst_unused:UNUSED_PAD src0_sel:BYTE_1 src1_sel:BYTE_1
	v_sub_u16_sdwa v170, v170, v172 dst_sel:BYTE_1 dst_unused:UNUSED_PAD src0_sel:DWORD src1_sel:BYTE_3
	v_sub_u16_sdwa v172, v174, v172 dst_sel:DWORD dst_unused:UNUSED_PAD src0_sel:WORD_1 src1_sel:WORD_1
	v_ashrrev_i32_e32 v171, s23, v171
	v_lshlrev_b32_e32 v173, 2, v173
	v_or_b32_sdwa v175, v175, v176 dst_sel:DWORD dst_unused:UNUSED_PAD src0_sel:BYTE_0 src1_sel:DWORD
	v_or_b32_sdwa v170, v172, v170 dst_sel:WORD_1 dst_unused:UNUSED_PAD src0_sel:BYTE_0 src1_sel:DWORD
	v_and_b32_e32 v172, 0x3030303, v171
	v_bfe_u32 v171, v171, 24, 2
	v_and_b32_e32 v173, 0x4040404, v173
	v_or_b32_sdwa v170, v175, v170 dst_sel:DWORD dst_unused:UNUSED_PAD src0_sel:WORD_0 src1_sel:DWORD
	v_sub_u16_e32 v174, v172, v173
	v_sub_u16_sdwa v175, v172, v173 dst_sel:BYTE_1 dst_unused:UNUSED_PAD src0_sel:BYTE_1 src1_sel:BYTE_1
	v_sub_u16_sdwa v171, v171, v173 dst_sel:BYTE_1 dst_unused:UNUSED_PAD src0_sel:DWORD src1_sel:BYTE_3
	v_sub_u16_sdwa v172, v172, v173 dst_sel:DWORD dst_unused:UNUSED_PAD src0_sel:WORD_1 src1_sel:WORD_1
	v_or_b32_sdwa v174, v174, v175 dst_sel:DWORD dst_unused:UNUSED_PAD src0_sel:BYTE_0 src1_sel:DWORD
	v_or_b32_sdwa v171, v172, v171 dst_sel:WORD_1 dst_unused:UNUSED_PAD src0_sel:BYTE_0 src1_sel:DWORD
	ds_read2_b32 v[172:173], v119 offset0:2 offset1:3
	v_or_b32_sdwa v171, v174, v171 dst_sel:DWORD dst_unused:UNUSED_PAD src0_sel:WORD_0 src1_sel:DWORD
	v_add_u32_e32 v174, 0x4208, v180
	ds_read2_b32 v[174:175], v174 offset1:1
	s_lshl_b32 s26, s26, 2
	s_waitcnt lgkmcnt(1)
	v_ashrrev_i32_e32 v172, s23, v172
	v_and_b32_e32 v176, 0x3030303, v172
	v_bfe_u32 v172, v172, 24, 2
	s_waitcnt lgkmcnt(0)
	v_ashrrev_i32_e32 v174, s20, v174
	v_lshlrev_b32_e32 v174, 2, v174
	v_and_b32_e32 v174, 0x4040404, v174
	v_ashrrev_i32_e32 v175, s20, v175
	v_sub_u16_e32 v177, v176, v174
	v_sub_u16_sdwa v178, v176, v174 dst_sel:BYTE_1 dst_unused:UNUSED_PAD src0_sel:BYTE_1 src1_sel:BYTE_1
	v_sub_u16_sdwa v172, v172, v174 dst_sel:BYTE_1 dst_unused:UNUSED_PAD src0_sel:DWORD src1_sel:BYTE_3
	v_sub_u16_sdwa v174, v176, v174 dst_sel:DWORD dst_unused:UNUSED_PAD src0_sel:WORD_1 src1_sel:WORD_1
	v_ashrrev_i32_e32 v173, s23, v173
	v_lshlrev_b32_e32 v175, 2, v175
	v_or_b32_sdwa v177, v177, v178 dst_sel:DWORD dst_unused:UNUSED_PAD src0_sel:BYTE_0 src1_sel:DWORD
	v_or_b32_sdwa v172, v174, v172 dst_sel:WORD_1 dst_unused:UNUSED_PAD src0_sel:BYTE_0 src1_sel:DWORD
	v_and_b32_e32 v174, 0x3030303, v173
	v_bfe_u32 v173, v173, 24, 2
	v_and_b32_e32 v175, 0x4040404, v175
	v_or_b32_sdwa v172, v177, v172 dst_sel:DWORD dst_unused:UNUSED_PAD src0_sel:WORD_0 src1_sel:DWORD
	v_sub_u16_e32 v176, v174, v175
	v_sub_u16_sdwa v177, v174, v175 dst_sel:BYTE_1 dst_unused:UNUSED_PAD src0_sel:BYTE_1 src1_sel:BYTE_1
	v_sub_u16_sdwa v173, v173, v175 dst_sel:BYTE_1 dst_unused:UNUSED_PAD src0_sel:DWORD src1_sel:BYTE_3
	v_sub_u16_sdwa v174, v174, v175 dst_sel:DWORD dst_unused:UNUSED_PAD src0_sel:WORD_1 src1_sel:WORD_1
	v_or_b32_sdwa v176, v176, v177 dst_sel:DWORD dst_unused:UNUSED_PAD src0_sel:BYTE_0 src1_sel:DWORD
	v_or_b32_sdwa v173, v174, v173 dst_sel:WORD_1 dst_unused:UNUSED_PAD src0_sel:BYTE_0 src1_sel:DWORD
	v_add_lshl_u32 v190, v131, s24, 2
	v_or_b32_sdwa v173, v176, v173 dst_sel:DWORD dst_unused:UNUSED_PAD src0_sel:WORD_0 src1_sel:DWORD
	ds_read2_b32 v[176:177], v119 offset0:4 offset1:5
	v_add_u32_e32 v184, 0x4200, v190
	v_add_lshl_u32 v212, v137, s24, 2
	v_add_lshl_u32 v202, v134, s24, 2
	v_add_u32_e32 v206, 0x4200, v212
	s_waitcnt lgkmcnt(0)
	v_ashrrev_i32_e32 v174, s23, v176
	v_add_u32_e32 v176, 0x4210, v180
	ds_read2_b32 v[178:179], v176 offset1:1
	v_and_b32_e32 v175, 0x3030303, v174
	v_bfe_u32 v174, v174, 24, 2
	s_add_i32 s19, s19, 2
	ds_read2_b32 v[184:185], v184 offset1:1
	s_waitcnt lgkmcnt(1)
	v_ashrrev_i32_e32 v176, s20, v178
	v_lshlrev_b32_e32 v176, 2, v176
	v_and_b32_e32 v176, 0x4040404, v176
	v_sub_u16_e32 v178, v175, v176
	v_sub_u16_sdwa v181, v175, v176 dst_sel:BYTE_1 dst_unused:UNUSED_PAD src0_sel:BYTE_1 src1_sel:BYTE_1
	v_sub_u16_sdwa v174, v174, v176 dst_sel:BYTE_1 dst_unused:UNUSED_PAD src0_sel:DWORD src1_sel:BYTE_3
	v_sub_u16_sdwa v175, v175, v176 dst_sel:DWORD dst_unused:UNUSED_PAD src0_sel:WORD_1 src1_sel:WORD_1
	v_or_b32_sdwa v178, v178, v181 dst_sel:DWORD dst_unused:UNUSED_PAD src0_sel:BYTE_0 src1_sel:DWORD
	v_or_b32_sdwa v174, v175, v174 dst_sel:WORD_1 dst_unused:UNUSED_PAD src0_sel:BYTE_0 src1_sel:DWORD
	s_waitcnt lgkmcnt(0)
	v_ashrrev_i32_e32 v184, s20, v184
	v_or_b32_sdwa v175, v178, v174 dst_sel:DWORD dst_unused:UNUSED_PAD src0_sel:WORD_0 src1_sel:DWORD
	v_ashrrev_i32_e32 v174, s23, v177
	v_ashrrev_i32_e32 v177, s20, v179
	v_lshlrev_b32_e32 v177, 2, v177
	v_and_b32_e32 v176, 0x3030303, v174
	v_bfe_u32 v174, v174, 24, 2
	v_and_b32_e32 v177, 0x4040404, v177
	v_sub_u16_e32 v178, v176, v177
	v_sub_u16_sdwa v179, v176, v177 dst_sel:BYTE_1 dst_unused:UNUSED_PAD src0_sel:BYTE_1 src1_sel:BYTE_1
	v_sub_u16_sdwa v174, v174, v177 dst_sel:BYTE_1 dst_unused:UNUSED_PAD src0_sel:DWORD src1_sel:BYTE_3
	v_sub_u16_sdwa v176, v176, v177 dst_sel:DWORD dst_unused:UNUSED_PAD src0_sel:WORD_1 src1_sel:WORD_1
	v_or_b32_sdwa v178, v178, v179 dst_sel:DWORD dst_unused:UNUSED_PAD src0_sel:BYTE_0 src1_sel:DWORD
	v_or_b32_sdwa v174, v176, v174 dst_sel:WORD_1 dst_unused:UNUSED_PAD src0_sel:BYTE_0 src1_sel:DWORD
	v_add_u32_e32 v177, 0x4218, v180
	v_or_b32_sdwa v176, v178, v174 dst_sel:DWORD dst_unused:UNUSED_PAD src0_sel:WORD_0 src1_sel:DWORD
	ds_read2_b32 v[178:179], v119 offset0:6 offset1:7
	ds_read2_b32 v[180:181], v177 offset1:1
	v_lshlrev_b32_e32 v184, 2, v184
	v_and_b32_e32 v184, 0x4040404, v184
	ds_read2_b32 v[206:207], v206 offset1:1
	s_waitcnt lgkmcnt(2)
	v_ashrrev_i32_e32 v119, s23, v178
	s_waitcnt lgkmcnt(1)
	v_ashrrev_i32_e32 v177, s20, v180
	v_lshlrev_b32_e32 v177, 2, v177
	v_and_b32_e32 v174, 0x3030303, v119
	v_bfe_u32 v119, v119, 24, 2
	v_and_b32_e32 v177, 0x4040404, v177
	v_sub_u16_e32 v178, v174, v177
	v_sub_u16_sdwa v180, v174, v177 dst_sel:BYTE_1 dst_unused:UNUSED_PAD src0_sel:BYTE_1 src1_sel:BYTE_1
	v_sub_u16_sdwa v119, v119, v177 dst_sel:BYTE_1 dst_unused:UNUSED_PAD src0_sel:DWORD src1_sel:BYTE_3
	v_sub_u16_sdwa v174, v174, v177 dst_sel:DWORD dst_unused:UNUSED_PAD src0_sel:WORD_1 src1_sel:WORD_1
	v_or_b32_sdwa v178, v178, v180 dst_sel:DWORD dst_unused:UNUSED_PAD src0_sel:BYTE_0 src1_sel:DWORD
	v_or_b32_sdwa v119, v174, v119 dst_sel:WORD_1 dst_unused:UNUSED_PAD src0_sel:BYTE_0 src1_sel:DWORD
	s_waitcnt lgkmcnt(0)
	v_ashrrev_i32_e32 v206, s20, v206
	v_or_b32_sdwa v177, v178, v119 dst_sel:DWORD dst_unused:UNUSED_PAD src0_sel:WORD_0 src1_sel:DWORD
	v_ashrrev_i32_e32 v178, s20, v181
	v_ashrrev_i32_e32 v119, s23, v179
	v_lshlrev_b32_e32 v178, 2, v178
	v_and_b32_e32 v174, 0x3030303, v119
	v_bfe_u32 v119, v119, 24, 2
	v_and_b32_e32 v178, 0x4040404, v178
	v_sub_u16_e32 v179, v174, v178
	v_sub_u16_sdwa v180, v174, v178 dst_sel:BYTE_1 dst_unused:UNUSED_PAD src0_sel:BYTE_1 src1_sel:BYTE_1
	v_sub_u16_sdwa v119, v119, v178 dst_sel:BYTE_1 dst_unused:UNUSED_PAD src0_sel:DWORD src1_sel:BYTE_3
	v_sub_u16_sdwa v174, v174, v178 dst_sel:DWORD dst_unused:UNUSED_PAD src0_sel:WORD_1 src1_sel:WORD_1
	v_or_b32_sdwa v179, v179, v180 dst_sel:DWORD dst_unused:UNUSED_PAD src0_sel:BYTE_0 src1_sel:DWORD
	v_or_b32_sdwa v119, v174, v119 dst_sel:WORD_1 dst_unused:UNUSED_PAD src0_sel:BYTE_0 src1_sel:DWORD
	v_add_u32_e32 v174, s26, v130
	v_or_b32_sdwa v178, v179, v119 dst_sel:DWORD dst_unused:UNUSED_PAD src0_sel:WORD_0 src1_sel:DWORD
	v_add3_u32 v119, v143, s22, v118
	ds_read_b32 v174, v174
	ds_read_u16 v119, v119 offset:33522
	v_mov_b32_e32 v180, 0
	v_dot4c_i32_i8_e32 v180, v170, v4
	v_dot4c_i32_i8_e32 v180, v171, v5
	;; [unrolled: 1-line block ×3, first 2 shown]
	s_waitcnt lgkmcnt(0)
	v_lshrrev_b16_e32 v181, 8, v119
	v_bfe_i32 v179, v119, 0, 8
	v_mov_b32_e32 v119, 0
	v_dot4c_i32_i8_e32 v119, v175, v0
	v_dot4c_i32_i8_e32 v119, v176, v1
	v_dot4c_i32_i8_e32 v180, v173, v7
	v_dot4c_i32_i8_e32 v119, v177, v2
	v_dot4c_i32_i8_e32 v119, v178, v3
	v_bfe_i32 v181, v181, 0, 8
	v_mul_lo_u32 v180, v180, v179
	v_lshlrev_b32_e32 v206, 2, v206
	v_mad_u64_u32 v[182:183], s[28:29], v119, v181, v[180:181]
	v_cvt_f32_i32_e32 v180, v182
	v_mul_f32_e32 v119, v116, v174
	v_and_b32_e32 v206, 0x4040404, v206
	v_fmac_f32_e32 v105, v119, v180
	v_add_u32_e32 v119, s25, v132
	ds_read2_b32 v[182:183], v119 offset1:1
	s_waitcnt lgkmcnt(0)
	v_ashrrev_i32_e32 v180, s23, v182
	v_and_b32_e32 v182, 0x3030303, v180
	v_bfe_u32 v180, v180, 24, 2
	v_sub_u16_e32 v186, v182, v184
	v_sub_u16_sdwa v187, v182, v184 dst_sel:BYTE_1 dst_unused:UNUSED_PAD src0_sel:BYTE_1 src1_sel:BYTE_1
	v_sub_u16_sdwa v180, v180, v184 dst_sel:BYTE_1 dst_unused:UNUSED_PAD src0_sel:DWORD src1_sel:BYTE_3
	v_sub_u16_sdwa v182, v182, v184 dst_sel:DWORD dst_unused:UNUSED_PAD src0_sel:WORD_1 src1_sel:WORD_1
	v_ashrrev_i32_e32 v184, s20, v185
	v_or_b32_sdwa v180, v182, v180 dst_sel:WORD_1 dst_unused:UNUSED_PAD src0_sel:BYTE_0 src1_sel:DWORD
	v_ashrrev_i32_e32 v182, s23, v183
	v_lshlrev_b32_e32 v184, 2, v184
	v_or_b32_sdwa v186, v186, v187 dst_sel:DWORD dst_unused:UNUSED_PAD src0_sel:BYTE_0 src1_sel:DWORD
	v_and_b32_e32 v183, 0x3030303, v182
	v_bfe_u32 v182, v182, 24, 2
	v_and_b32_e32 v184, 0x4040404, v184
	v_or_b32_sdwa v180, v186, v180 dst_sel:DWORD dst_unused:UNUSED_PAD src0_sel:WORD_0 src1_sel:DWORD
	v_sub_u16_e32 v185, v183, v184
	v_sub_u16_sdwa v186, v183, v184 dst_sel:BYTE_1 dst_unused:UNUSED_PAD src0_sel:BYTE_1 src1_sel:BYTE_1
	v_sub_u16_sdwa v182, v182, v184 dst_sel:BYTE_1 dst_unused:UNUSED_PAD src0_sel:DWORD src1_sel:BYTE_3
	v_sub_u16_sdwa v183, v183, v184 dst_sel:DWORD dst_unused:UNUSED_PAD src0_sel:WORD_1 src1_sel:WORD_1
	v_or_b32_sdwa v185, v185, v186 dst_sel:DWORD dst_unused:UNUSED_PAD src0_sel:BYTE_0 src1_sel:DWORD
	v_or_b32_sdwa v182, v183, v182 dst_sel:WORD_1 dst_unused:UNUSED_PAD src0_sel:BYTE_0 src1_sel:DWORD
	v_add_u32_e32 v186, 0x4208, v190
	v_or_b32_sdwa v182, v185, v182 dst_sel:DWORD dst_unused:UNUSED_PAD src0_sel:WORD_0 src1_sel:DWORD
	ds_read2_b32 v[184:185], v119 offset0:2 offset1:3
	ds_read2_b32 v[186:187], v186 offset1:1
	s_waitcnt lgkmcnt(1)
	v_ashrrev_i32_e32 v183, s23, v184
	s_waitcnt lgkmcnt(0)
	v_ashrrev_i32_e32 v186, s20, v186
	v_lshlrev_b32_e32 v186, 2, v186
	v_and_b32_e32 v184, 0x3030303, v183
	v_bfe_u32 v183, v183, 24, 2
	v_and_b32_e32 v186, 0x4040404, v186
	v_sub_u16_e32 v188, v184, v186
	v_sub_u16_sdwa v189, v184, v186 dst_sel:BYTE_1 dst_unused:UNUSED_PAD src0_sel:BYTE_1 src1_sel:BYTE_1
	v_sub_u16_sdwa v183, v183, v186 dst_sel:BYTE_1 dst_unused:UNUSED_PAD src0_sel:DWORD src1_sel:BYTE_3
	v_sub_u16_sdwa v184, v184, v186 dst_sel:DWORD dst_unused:UNUSED_PAD src0_sel:WORD_1 src1_sel:WORD_1
	v_ashrrev_i32_e32 v186, s20, v187
	v_or_b32_sdwa v183, v184, v183 dst_sel:WORD_1 dst_unused:UNUSED_PAD src0_sel:BYTE_0 src1_sel:DWORD
	v_ashrrev_i32_e32 v184, s23, v185
	v_lshlrev_b32_e32 v186, 2, v186
	v_or_b32_sdwa v188, v188, v189 dst_sel:DWORD dst_unused:UNUSED_PAD src0_sel:BYTE_0 src1_sel:DWORD
	v_and_b32_e32 v185, 0x3030303, v184
	v_bfe_u32 v184, v184, 24, 2
	v_and_b32_e32 v186, 0x4040404, v186
	v_or_b32_sdwa v183, v188, v183 dst_sel:DWORD dst_unused:UNUSED_PAD src0_sel:WORD_0 src1_sel:DWORD
	v_sub_u16_e32 v187, v185, v186
	v_sub_u16_sdwa v188, v185, v186 dst_sel:BYTE_1 dst_unused:UNUSED_PAD src0_sel:BYTE_1 src1_sel:BYTE_1
	v_sub_u16_sdwa v184, v184, v186 dst_sel:BYTE_1 dst_unused:UNUSED_PAD src0_sel:DWORD src1_sel:BYTE_3
	v_sub_u16_sdwa v185, v185, v186 dst_sel:DWORD dst_unused:UNUSED_PAD src0_sel:WORD_1 src1_sel:WORD_1
	v_or_b32_sdwa v187, v187, v188 dst_sel:DWORD dst_unused:UNUSED_PAD src0_sel:BYTE_0 src1_sel:DWORD
	v_or_b32_sdwa v184, v185, v184 dst_sel:WORD_1 dst_unused:UNUSED_PAD src0_sel:BYTE_0 src1_sel:DWORD
	v_add_u32_e32 v188, 0x4210, v190
	v_or_b32_sdwa v184, v187, v184 dst_sel:DWORD dst_unused:UNUSED_PAD src0_sel:WORD_0 src1_sel:DWORD
	ds_read2_b32 v[186:187], v119 offset0:4 offset1:5
	ds_read2_b32 v[188:189], v188 offset1:1
	s_waitcnt lgkmcnt(1)
	v_ashrrev_i32_e32 v185, s23, v186
	s_waitcnt lgkmcnt(0)
	v_ashrrev_i32_e32 v188, s20, v188
	v_lshlrev_b32_e32 v188, 2, v188
	v_and_b32_e32 v186, 0x3030303, v185
	v_bfe_u32 v185, v185, 24, 2
	v_and_b32_e32 v188, 0x4040404, v188
	v_sub_u16_e32 v191, v186, v188
	v_sub_u16_sdwa v192, v186, v188 dst_sel:BYTE_1 dst_unused:UNUSED_PAD src0_sel:BYTE_1 src1_sel:BYTE_1
	v_sub_u16_sdwa v185, v185, v188 dst_sel:BYTE_1 dst_unused:UNUSED_PAD src0_sel:DWORD src1_sel:BYTE_3
	v_sub_u16_sdwa v186, v186, v188 dst_sel:DWORD dst_unused:UNUSED_PAD src0_sel:WORD_1 src1_sel:WORD_1
	v_ashrrev_i32_e32 v188, s20, v189
	v_or_b32_sdwa v185, v186, v185 dst_sel:WORD_1 dst_unused:UNUSED_PAD src0_sel:BYTE_0 src1_sel:DWORD
	v_ashrrev_i32_e32 v186, s23, v187
	v_lshlrev_b32_e32 v188, 2, v188
	v_or_b32_sdwa v191, v191, v192 dst_sel:DWORD dst_unused:UNUSED_PAD src0_sel:BYTE_0 src1_sel:DWORD
	v_and_b32_e32 v187, 0x3030303, v186
	v_bfe_u32 v186, v186, 24, 2
	v_and_b32_e32 v188, 0x4040404, v188
	v_or_b32_sdwa v185, v191, v185 dst_sel:DWORD dst_unused:UNUSED_PAD src0_sel:WORD_0 src1_sel:DWORD
	v_sub_u16_e32 v189, v187, v188
	v_sub_u16_sdwa v191, v187, v188 dst_sel:BYTE_1 dst_unused:UNUSED_PAD src0_sel:BYTE_1 src1_sel:BYTE_1
	v_sub_u16_sdwa v186, v186, v188 dst_sel:BYTE_1 dst_unused:UNUSED_PAD src0_sel:DWORD src1_sel:BYTE_3
	v_sub_u16_sdwa v187, v187, v188 dst_sel:DWORD dst_unused:UNUSED_PAD src0_sel:WORD_1 src1_sel:WORD_1
	v_or_b32_sdwa v189, v189, v191 dst_sel:DWORD dst_unused:UNUSED_PAD src0_sel:BYTE_0 src1_sel:DWORD
	v_or_b32_sdwa v186, v187, v186 dst_sel:WORD_1 dst_unused:UNUSED_PAD src0_sel:BYTE_0 src1_sel:DWORD
	s_nop 0
	v_or_b32_sdwa v187, v189, v186 dst_sel:DWORD dst_unused:UNUSED_PAD src0_sel:WORD_0 src1_sel:DWORD
	ds_read2_b32 v[188:189], v119 offset0:6 offset1:7
	s_waitcnt lgkmcnt(0)
	v_ashrrev_i32_e32 v119, s23, v188
	v_add_u32_e32 v188, 0x4218, v190
	ds_read2_b32 v[190:191], v188 offset1:1
	v_and_b32_e32 v186, 0x3030303, v119
	v_bfe_u32 v119, v119, 24, 2
	s_waitcnt lgkmcnt(0)
	v_ashrrev_i32_e32 v188, s20, v190
	v_lshlrev_b32_e32 v188, 2, v188
	v_and_b32_e32 v188, 0x4040404, v188
	v_sub_u16_e32 v190, v186, v188
	v_sub_u16_sdwa v192, v186, v188 dst_sel:BYTE_1 dst_unused:UNUSED_PAD src0_sel:BYTE_1 src1_sel:BYTE_1
	v_sub_u16_sdwa v119, v119, v188 dst_sel:BYTE_1 dst_unused:UNUSED_PAD src0_sel:DWORD src1_sel:BYTE_3
	v_sub_u16_sdwa v186, v186, v188 dst_sel:DWORD dst_unused:UNUSED_PAD src0_sel:WORD_1 src1_sel:WORD_1
	v_or_b32_sdwa v190, v190, v192 dst_sel:DWORD dst_unused:UNUSED_PAD src0_sel:BYTE_0 src1_sel:DWORD
	v_or_b32_sdwa v119, v186, v119 dst_sel:WORD_1 dst_unused:UNUSED_PAD src0_sel:BYTE_0 src1_sel:DWORD
	s_nop 0
	v_or_b32_sdwa v188, v190, v119 dst_sel:DWORD dst_unused:UNUSED_PAD src0_sel:WORD_0 src1_sel:DWORD
	v_ashrrev_i32_e32 v119, s23, v189
	v_ashrrev_i32_e32 v189, s20, v191
	v_lshlrev_b32_e32 v189, 2, v189
	v_and_b32_e32 v186, 0x3030303, v119
	v_bfe_u32 v119, v119, 24, 2
	v_and_b32_e32 v189, 0x4040404, v189
	v_sub_u16_e32 v190, v186, v189
	v_sub_u16_sdwa v191, v186, v189 dst_sel:BYTE_1 dst_unused:UNUSED_PAD src0_sel:BYTE_1 src1_sel:BYTE_1
	v_sub_u16_sdwa v119, v119, v189 dst_sel:BYTE_1 dst_unused:UNUSED_PAD src0_sel:DWORD src1_sel:BYTE_3
	v_sub_u16_sdwa v186, v186, v189 dst_sel:DWORD dst_unused:UNUSED_PAD src0_sel:WORD_1 src1_sel:WORD_1
	v_or_b32_sdwa v190, v190, v191 dst_sel:DWORD dst_unused:UNUSED_PAD src0_sel:BYTE_0 src1_sel:DWORD
	v_or_b32_sdwa v119, v186, v119 dst_sel:WORD_1 dst_unused:UNUSED_PAD src0_sel:BYTE_0 src1_sel:DWORD
	v_add_u32_e32 v186, s26, v133
	v_or_b32_sdwa v189, v190, v119 dst_sel:DWORD dst_unused:UNUSED_PAD src0_sel:WORD_0 src1_sel:DWORD
	v_add3_u32 v119, v145, s22, v118
	ds_read_b32 v186, v186
	ds_read_u16 v119, v119 offset:34546
	v_mov_b32_e32 v191, 0
	v_dot4c_i32_i8_e32 v191, v180, v4
	v_dot4c_i32_i8_e32 v191, v182, v5
	;; [unrolled: 1-line block ×3, first 2 shown]
	s_waitcnt lgkmcnt(0)
	v_lshrrev_b16_e32 v192, 8, v119
	v_bfe_i32 v190, v119, 0, 8
	v_mov_b32_e32 v119, 0
	v_dot4c_i32_i8_e32 v119, v185, v0
	v_dot4c_i32_i8_e32 v119, v187, v1
	;; [unrolled: 1-line block ×5, first 2 shown]
	v_bfe_i32 v192, v192, 0, 8
	v_mul_lo_u32 v194, v191, v190
	s_nop 0
	v_mad_u64_u32 v[194:195], s[28:29], v119, v192, v[194:195]
	v_cvt_f32_i32_e32 v191, v194
	v_mul_f32_e32 v119, v116, v186
	v_fmac_f32_e32 v87, v119, v191
	v_add_u32_e32 v119, s25, v135
	ds_read2_b32 v[194:195], v119 offset1:1
	s_waitcnt lgkmcnt(0)
	v_ashrrev_i32_e32 v191, s23, v194
	v_add_u32_e32 v194, 0x4200, v202
	ds_read2_b32 v[196:197], v194 offset1:1
	v_and_b32_e32 v193, 0x3030303, v191
	v_bfe_u32 v191, v191, 24, 2
	s_waitcnt lgkmcnt(0)
	v_ashrrev_i32_e32 v194, s20, v196
	v_lshlrev_b32_e32 v194, 2, v194
	v_and_b32_e32 v194, 0x4040404, v194
	v_sub_u16_e32 v196, v193, v194
	v_sub_u16_sdwa v198, v193, v194 dst_sel:BYTE_1 dst_unused:UNUSED_PAD src0_sel:BYTE_1 src1_sel:BYTE_1
	v_sub_u16_sdwa v191, v191, v194 dst_sel:BYTE_1 dst_unused:UNUSED_PAD src0_sel:DWORD src1_sel:BYTE_3
	v_sub_u16_sdwa v193, v193, v194 dst_sel:DWORD dst_unused:UNUSED_PAD src0_sel:WORD_1 src1_sel:WORD_1
	v_or_b32_sdwa v191, v193, v191 dst_sel:WORD_1 dst_unused:UNUSED_PAD src0_sel:BYTE_0 src1_sel:DWORD
	v_ashrrev_i32_e32 v193, s23, v195
	v_ashrrev_i32_e32 v195, s20, v197
	v_lshlrev_b32_e32 v195, 2, v195
	v_or_b32_sdwa v196, v196, v198 dst_sel:DWORD dst_unused:UNUSED_PAD src0_sel:BYTE_0 src1_sel:DWORD
	v_and_b32_e32 v194, 0x3030303, v193
	v_bfe_u32 v193, v193, 24, 2
	v_and_b32_e32 v195, 0x4040404, v195
	v_or_b32_sdwa v191, v196, v191 dst_sel:DWORD dst_unused:UNUSED_PAD src0_sel:WORD_0 src1_sel:DWORD
	v_sub_u16_e32 v196, v194, v195
	v_sub_u16_sdwa v197, v194, v195 dst_sel:BYTE_1 dst_unused:UNUSED_PAD src0_sel:BYTE_1 src1_sel:BYTE_1
	v_sub_u16_sdwa v193, v193, v195 dst_sel:BYTE_1 dst_unused:UNUSED_PAD src0_sel:DWORD src1_sel:BYTE_3
	v_sub_u16_sdwa v194, v194, v195 dst_sel:DWORD dst_unused:UNUSED_PAD src0_sel:WORD_1 src1_sel:WORD_1
	v_or_b32_sdwa v196, v196, v197 dst_sel:DWORD dst_unused:UNUSED_PAD src0_sel:BYTE_0 src1_sel:DWORD
	v_or_b32_sdwa v193, v194, v193 dst_sel:WORD_1 dst_unused:UNUSED_PAD src0_sel:BYTE_0 src1_sel:DWORD
	ds_read2_b32 v[194:195], v119 offset0:2 offset1:3
	v_or_b32_sdwa v193, v196, v193 dst_sel:DWORD dst_unused:UNUSED_PAD src0_sel:WORD_0 src1_sel:DWORD
	v_add_u32_e32 v196, 0x4208, v202
	ds_read2_b32 v[196:197], v196 offset1:1
	s_waitcnt lgkmcnt(1)
	v_ashrrev_i32_e32 v194, s23, v194
	v_and_b32_e32 v198, 0x3030303, v194
	v_bfe_u32 v194, v194, 24, 2
	s_waitcnt lgkmcnt(0)
	v_ashrrev_i32_e32 v196, s20, v196
	v_lshlrev_b32_e32 v196, 2, v196
	v_and_b32_e32 v196, 0x4040404, v196
	v_ashrrev_i32_e32 v197, s20, v197
	v_sub_u16_e32 v199, v198, v196
	v_sub_u16_sdwa v200, v198, v196 dst_sel:BYTE_1 dst_unused:UNUSED_PAD src0_sel:BYTE_1 src1_sel:BYTE_1
	v_sub_u16_sdwa v194, v194, v196 dst_sel:BYTE_1 dst_unused:UNUSED_PAD src0_sel:DWORD src1_sel:BYTE_3
	v_sub_u16_sdwa v196, v198, v196 dst_sel:DWORD dst_unused:UNUSED_PAD src0_sel:WORD_1 src1_sel:WORD_1
	v_ashrrev_i32_e32 v195, s23, v195
	v_lshlrev_b32_e32 v197, 2, v197
	v_or_b32_sdwa v199, v199, v200 dst_sel:DWORD dst_unused:UNUSED_PAD src0_sel:BYTE_0 src1_sel:DWORD
	v_or_b32_sdwa v194, v196, v194 dst_sel:WORD_1 dst_unused:UNUSED_PAD src0_sel:BYTE_0 src1_sel:DWORD
	v_and_b32_e32 v196, 0x3030303, v195
	v_bfe_u32 v195, v195, 24, 2
	v_and_b32_e32 v197, 0x4040404, v197
	v_or_b32_sdwa v194, v199, v194 dst_sel:DWORD dst_unused:UNUSED_PAD src0_sel:WORD_0 src1_sel:DWORD
	v_sub_u16_e32 v198, v196, v197
	v_sub_u16_sdwa v199, v196, v197 dst_sel:BYTE_1 dst_unused:UNUSED_PAD src0_sel:BYTE_1 src1_sel:BYTE_1
	v_sub_u16_sdwa v195, v195, v197 dst_sel:BYTE_1 dst_unused:UNUSED_PAD src0_sel:DWORD src1_sel:BYTE_3
	v_sub_u16_sdwa v196, v196, v197 dst_sel:DWORD dst_unused:UNUSED_PAD src0_sel:WORD_1 src1_sel:WORD_1
	v_or_b32_sdwa v198, v198, v199 dst_sel:DWORD dst_unused:UNUSED_PAD src0_sel:BYTE_0 src1_sel:DWORD
	v_or_b32_sdwa v195, v196, v195 dst_sel:WORD_1 dst_unused:UNUSED_PAD src0_sel:BYTE_0 src1_sel:DWORD
	ds_read2_b32 v[196:197], v119 offset0:4 offset1:5
	v_or_b32_sdwa v195, v198, v195 dst_sel:DWORD dst_unused:UNUSED_PAD src0_sel:WORD_0 src1_sel:DWORD
	v_add_u32_e32 v198, 0x4210, v202
	ds_read2_b32 v[198:199], v198 offset1:1
	s_waitcnt lgkmcnt(1)
	v_ashrrev_i32_e32 v196, s23, v196
	v_and_b32_e32 v200, 0x3030303, v196
	v_bfe_u32 v196, v196, 24, 2
	s_waitcnt lgkmcnt(0)
	v_ashrrev_i32_e32 v198, s20, v198
	v_lshlrev_b32_e32 v198, 2, v198
	v_and_b32_e32 v198, 0x4040404, v198
	v_ashrrev_i32_e32 v199, s20, v199
	v_sub_u16_e32 v201, v200, v198
	v_sub_u16_sdwa v203, v200, v198 dst_sel:BYTE_1 dst_unused:UNUSED_PAD src0_sel:BYTE_1 src1_sel:BYTE_1
	v_sub_u16_sdwa v196, v196, v198 dst_sel:BYTE_1 dst_unused:UNUSED_PAD src0_sel:DWORD src1_sel:BYTE_3
	v_sub_u16_sdwa v198, v200, v198 dst_sel:DWORD dst_unused:UNUSED_PAD src0_sel:WORD_1 src1_sel:WORD_1
	v_ashrrev_i32_e32 v197, s23, v197
	v_lshlrev_b32_e32 v199, 2, v199
	v_or_b32_sdwa v201, v201, v203 dst_sel:DWORD dst_unused:UNUSED_PAD src0_sel:BYTE_0 src1_sel:DWORD
	v_or_b32_sdwa v196, v198, v196 dst_sel:WORD_1 dst_unused:UNUSED_PAD src0_sel:BYTE_0 src1_sel:DWORD
	v_and_b32_e32 v198, 0x3030303, v197
	v_bfe_u32 v197, v197, 24, 2
	v_and_b32_e32 v199, 0x4040404, v199
	v_or_b32_sdwa v196, v201, v196 dst_sel:DWORD dst_unused:UNUSED_PAD src0_sel:WORD_0 src1_sel:DWORD
	v_sub_u16_e32 v200, v198, v199
	v_sub_u16_sdwa v201, v198, v199 dst_sel:BYTE_1 dst_unused:UNUSED_PAD src0_sel:BYTE_1 src1_sel:BYTE_1
	v_sub_u16_sdwa v197, v197, v199 dst_sel:BYTE_1 dst_unused:UNUSED_PAD src0_sel:DWORD src1_sel:BYTE_3
	v_sub_u16_sdwa v198, v198, v199 dst_sel:DWORD dst_unused:UNUSED_PAD src0_sel:WORD_1 src1_sel:WORD_1
	v_or_b32_sdwa v200, v200, v201 dst_sel:DWORD dst_unused:UNUSED_PAD src0_sel:BYTE_0 src1_sel:DWORD
	v_or_b32_sdwa v197, v198, v197 dst_sel:WORD_1 dst_unused:UNUSED_PAD src0_sel:BYTE_0 src1_sel:DWORD
	v_add_u32_e32 v199, 0x4218, v202
	v_or_b32_sdwa v198, v200, v197 dst_sel:DWORD dst_unused:UNUSED_PAD src0_sel:WORD_0 src1_sel:DWORD
	ds_read2_b32 v[200:201], v119 offset0:6 offset1:7
	ds_read2_b32 v[202:203], v199 offset1:1
	s_waitcnt lgkmcnt(1)
	v_ashrrev_i32_e32 v119, s23, v200
	s_waitcnt lgkmcnt(0)
	v_ashrrev_i32_e32 v199, s20, v202
	v_lshlrev_b32_e32 v199, 2, v199
	v_and_b32_e32 v197, 0x3030303, v119
	v_bfe_u32 v119, v119, 24, 2
	v_and_b32_e32 v199, 0x4040404, v199
	v_sub_u16_e32 v200, v197, v199
	v_sub_u16_sdwa v202, v197, v199 dst_sel:BYTE_1 dst_unused:UNUSED_PAD src0_sel:BYTE_1 src1_sel:BYTE_1
	v_sub_u16_sdwa v119, v119, v199 dst_sel:BYTE_1 dst_unused:UNUSED_PAD src0_sel:DWORD src1_sel:BYTE_3
	v_sub_u16_sdwa v197, v197, v199 dst_sel:DWORD dst_unused:UNUSED_PAD src0_sel:WORD_1 src1_sel:WORD_1
	v_or_b32_sdwa v200, v200, v202 dst_sel:DWORD dst_unused:UNUSED_PAD src0_sel:BYTE_0 src1_sel:DWORD
	v_or_b32_sdwa v119, v197, v119 dst_sel:WORD_1 dst_unused:UNUSED_PAD src0_sel:BYTE_0 src1_sel:DWORD
	s_nop 0
	v_or_b32_sdwa v199, v200, v119 dst_sel:DWORD dst_unused:UNUSED_PAD src0_sel:WORD_0 src1_sel:DWORD
	v_ashrrev_i32_e32 v200, s20, v203
	v_ashrrev_i32_e32 v119, s23, v201
	v_lshlrev_b32_e32 v200, 2, v200
	v_and_b32_e32 v197, 0x3030303, v119
	v_bfe_u32 v119, v119, 24, 2
	v_and_b32_e32 v200, 0x4040404, v200
	v_sub_u16_e32 v201, v197, v200
	v_sub_u16_sdwa v202, v197, v200 dst_sel:BYTE_1 dst_unused:UNUSED_PAD src0_sel:BYTE_1 src1_sel:BYTE_1
	v_sub_u16_sdwa v119, v119, v200 dst_sel:BYTE_1 dst_unused:UNUSED_PAD src0_sel:DWORD src1_sel:BYTE_3
	v_sub_u16_sdwa v197, v197, v200 dst_sel:DWORD dst_unused:UNUSED_PAD src0_sel:WORD_1 src1_sel:WORD_1
	v_or_b32_sdwa v201, v201, v202 dst_sel:DWORD dst_unused:UNUSED_PAD src0_sel:BYTE_0 src1_sel:DWORD
	v_or_b32_sdwa v119, v197, v119 dst_sel:WORD_1 dst_unused:UNUSED_PAD src0_sel:BYTE_0 src1_sel:DWORD
	v_add_u32_e32 v197, s26, v136
	v_or_b32_sdwa v200, v201, v119 dst_sel:DWORD dst_unused:UNUSED_PAD src0_sel:WORD_0 src1_sel:DWORD
	v_add3_u32 v119, v147, s22, v118
	ds_read_b32 v197, v197
	ds_read_u16 v119, v119 offset:35570
	v_mov_b32_e32 v202, 0
	v_dot4c_i32_i8_e32 v202, v191, v4
	v_dot4c_i32_i8_e32 v202, v193, v5
	;; [unrolled: 1-line block ×3, first 2 shown]
	s_waitcnt lgkmcnt(0)
	v_lshrrev_b16_e32 v203, 8, v119
	v_bfe_i32 v201, v119, 0, 8
	v_mov_b32_e32 v119, 0
	v_dot4c_i32_i8_e32 v119, v196, v0
	v_dot4c_i32_i8_e32 v119, v198, v1
	;; [unrolled: 1-line block ×5, first 2 shown]
	v_bfe_i32 v203, v203, 0, 8
	v_mul_lo_u32 v202, v202, v201
	v_add3_u32 v118, v149, s22, v118
	v_mad_u64_u32 v[204:205], s[28:29], v119, v203, v[202:203]
	v_cvt_f32_i32_e32 v202, v204
	v_mul_f32_e32 v119, v116, v197
	v_fmac_f32_e32 v85, v119, v202
	v_add_u32_e32 v119, s25, v138
	ds_read2_b32 v[204:205], v119 offset1:1
	s_waitcnt lgkmcnt(0)
	v_ashrrev_i32_e32 v202, s23, v204
	v_and_b32_e32 v204, 0x3030303, v202
	v_bfe_u32 v202, v202, 24, 2
	v_sub_u16_e32 v208, v204, v206
	v_sub_u16_sdwa v209, v204, v206 dst_sel:BYTE_1 dst_unused:UNUSED_PAD src0_sel:BYTE_1 src1_sel:BYTE_1
	v_sub_u16_sdwa v202, v202, v206 dst_sel:BYTE_1 dst_unused:UNUSED_PAD src0_sel:DWORD src1_sel:BYTE_3
	v_sub_u16_sdwa v204, v204, v206 dst_sel:DWORD dst_unused:UNUSED_PAD src0_sel:WORD_1 src1_sel:WORD_1
	v_ashrrev_i32_e32 v206, s20, v207
	v_or_b32_sdwa v202, v204, v202 dst_sel:WORD_1 dst_unused:UNUSED_PAD src0_sel:BYTE_0 src1_sel:DWORD
	v_ashrrev_i32_e32 v204, s23, v205
	v_lshlrev_b32_e32 v206, 2, v206
	v_or_b32_sdwa v208, v208, v209 dst_sel:DWORD dst_unused:UNUSED_PAD src0_sel:BYTE_0 src1_sel:DWORD
	v_and_b32_e32 v205, 0x3030303, v204
	v_bfe_u32 v204, v204, 24, 2
	v_and_b32_e32 v206, 0x4040404, v206
	v_or_b32_sdwa v202, v208, v202 dst_sel:DWORD dst_unused:UNUSED_PAD src0_sel:WORD_0 src1_sel:DWORD
	v_sub_u16_e32 v207, v205, v206
	v_sub_u16_sdwa v208, v205, v206 dst_sel:BYTE_1 dst_unused:UNUSED_PAD src0_sel:BYTE_1 src1_sel:BYTE_1
	v_sub_u16_sdwa v204, v204, v206 dst_sel:BYTE_1 dst_unused:UNUSED_PAD src0_sel:DWORD src1_sel:BYTE_3
	v_sub_u16_sdwa v205, v205, v206 dst_sel:DWORD dst_unused:UNUSED_PAD src0_sel:WORD_1 src1_sel:WORD_1
	v_or_b32_sdwa v207, v207, v208 dst_sel:DWORD dst_unused:UNUSED_PAD src0_sel:BYTE_0 src1_sel:DWORD
	v_or_b32_sdwa v204, v205, v204 dst_sel:WORD_1 dst_unused:UNUSED_PAD src0_sel:BYTE_0 src1_sel:DWORD
	v_add_u32_e32 v208, 0x4208, v212
	v_or_b32_sdwa v204, v207, v204 dst_sel:DWORD dst_unused:UNUSED_PAD src0_sel:WORD_0 src1_sel:DWORD
	ds_read2_b32 v[206:207], v119 offset0:2 offset1:3
	ds_read2_b32 v[208:209], v208 offset1:1
	s_waitcnt lgkmcnt(1)
	v_ashrrev_i32_e32 v205, s23, v206
	s_waitcnt lgkmcnt(0)
	v_ashrrev_i32_e32 v208, s20, v208
	v_lshlrev_b32_e32 v208, 2, v208
	v_and_b32_e32 v206, 0x3030303, v205
	v_bfe_u32 v205, v205, 24, 2
	v_and_b32_e32 v208, 0x4040404, v208
	v_sub_u16_e32 v210, v206, v208
	v_sub_u16_sdwa v211, v206, v208 dst_sel:BYTE_1 dst_unused:UNUSED_PAD src0_sel:BYTE_1 src1_sel:BYTE_1
	v_sub_u16_sdwa v205, v205, v208 dst_sel:BYTE_1 dst_unused:UNUSED_PAD src0_sel:DWORD src1_sel:BYTE_3
	v_sub_u16_sdwa v206, v206, v208 dst_sel:DWORD dst_unused:UNUSED_PAD src0_sel:WORD_1 src1_sel:WORD_1
	v_ashrrev_i32_e32 v208, s20, v209
	v_or_b32_sdwa v205, v206, v205 dst_sel:WORD_1 dst_unused:UNUSED_PAD src0_sel:BYTE_0 src1_sel:DWORD
	v_ashrrev_i32_e32 v206, s23, v207
	v_lshlrev_b32_e32 v208, 2, v208
	v_or_b32_sdwa v210, v210, v211 dst_sel:DWORD dst_unused:UNUSED_PAD src0_sel:BYTE_0 src1_sel:DWORD
	v_and_b32_e32 v207, 0x3030303, v206
	v_bfe_u32 v206, v206, 24, 2
	v_and_b32_e32 v208, 0x4040404, v208
	v_or_b32_sdwa v205, v210, v205 dst_sel:DWORD dst_unused:UNUSED_PAD src0_sel:WORD_0 src1_sel:DWORD
	v_sub_u16_e32 v209, v207, v208
	v_sub_u16_sdwa v210, v207, v208 dst_sel:BYTE_1 dst_unused:UNUSED_PAD src0_sel:BYTE_1 src1_sel:BYTE_1
	v_sub_u16_sdwa v206, v206, v208 dst_sel:BYTE_1 dst_unused:UNUSED_PAD src0_sel:DWORD src1_sel:BYTE_3
	v_sub_u16_sdwa v207, v207, v208 dst_sel:DWORD dst_unused:UNUSED_PAD src0_sel:WORD_1 src1_sel:WORD_1
	v_or_b32_sdwa v209, v209, v210 dst_sel:DWORD dst_unused:UNUSED_PAD src0_sel:BYTE_0 src1_sel:DWORD
	v_or_b32_sdwa v206, v207, v206 dst_sel:WORD_1 dst_unused:UNUSED_PAD src0_sel:BYTE_0 src1_sel:DWORD
	v_add_u32_e32 v210, 0x4210, v212
	v_or_b32_sdwa v206, v209, v206 dst_sel:DWORD dst_unused:UNUSED_PAD src0_sel:WORD_0 src1_sel:DWORD
	ds_read2_b32 v[208:209], v119 offset0:4 offset1:5
	ds_read2_b32 v[210:211], v210 offset1:1
	s_waitcnt lgkmcnt(1)
	v_ashrrev_i32_e32 v207, s23, v208
	s_waitcnt lgkmcnt(0)
	v_ashrrev_i32_e32 v210, s20, v210
	v_lshlrev_b32_e32 v210, 2, v210
	v_and_b32_e32 v208, 0x3030303, v207
	v_bfe_u32 v207, v207, 24, 2
	v_and_b32_e32 v210, 0x4040404, v210
	v_sub_u16_e32 v213, v208, v210
	v_sub_u16_sdwa v214, v208, v210 dst_sel:BYTE_1 dst_unused:UNUSED_PAD src0_sel:BYTE_1 src1_sel:BYTE_1
	v_sub_u16_sdwa v207, v207, v210 dst_sel:BYTE_1 dst_unused:UNUSED_PAD src0_sel:DWORD src1_sel:BYTE_3
	v_sub_u16_sdwa v208, v208, v210 dst_sel:DWORD dst_unused:UNUSED_PAD src0_sel:WORD_1 src1_sel:WORD_1
	v_ashrrev_i32_e32 v210, s20, v211
	v_or_b32_sdwa v207, v208, v207 dst_sel:WORD_1 dst_unused:UNUSED_PAD src0_sel:BYTE_0 src1_sel:DWORD
	v_ashrrev_i32_e32 v208, s23, v209
	v_lshlrev_b32_e32 v210, 2, v210
	v_or_b32_sdwa v213, v213, v214 dst_sel:DWORD dst_unused:UNUSED_PAD src0_sel:BYTE_0 src1_sel:DWORD
	v_and_b32_e32 v209, 0x3030303, v208
	v_bfe_u32 v208, v208, 24, 2
	v_and_b32_e32 v210, 0x4040404, v210
	v_or_b32_sdwa v207, v213, v207 dst_sel:DWORD dst_unused:UNUSED_PAD src0_sel:WORD_0 src1_sel:DWORD
	v_sub_u16_e32 v211, v209, v210
	v_sub_u16_sdwa v213, v209, v210 dst_sel:BYTE_1 dst_unused:UNUSED_PAD src0_sel:BYTE_1 src1_sel:BYTE_1
	v_sub_u16_sdwa v208, v208, v210 dst_sel:BYTE_1 dst_unused:UNUSED_PAD src0_sel:DWORD src1_sel:BYTE_3
	v_sub_u16_sdwa v209, v209, v210 dst_sel:DWORD dst_unused:UNUSED_PAD src0_sel:WORD_1 src1_sel:WORD_1
	v_or_b32_sdwa v211, v211, v213 dst_sel:DWORD dst_unused:UNUSED_PAD src0_sel:BYTE_0 src1_sel:DWORD
	v_or_b32_sdwa v208, v209, v208 dst_sel:WORD_1 dst_unused:UNUSED_PAD src0_sel:BYTE_0 src1_sel:DWORD
	s_nop 0
	v_or_b32_sdwa v209, v211, v208 dst_sel:DWORD dst_unused:UNUSED_PAD src0_sel:WORD_0 src1_sel:DWORD
	ds_read2_b32 v[210:211], v119 offset0:6 offset1:7
	s_waitcnt lgkmcnt(0)
	v_ashrrev_i32_e32 v119, s23, v210
	v_add_u32_e32 v210, 0x4218, v212
	ds_read2_b32 v[212:213], v210 offset1:1
	v_and_b32_e32 v208, 0x3030303, v119
	v_bfe_u32 v119, v119, 24, 2
	s_waitcnt lgkmcnt(0)
	v_ashrrev_i32_e32 v210, s20, v212
	v_lshlrev_b32_e32 v210, 2, v210
	v_and_b32_e32 v210, 0x4040404, v210
	v_sub_u16_e32 v212, v208, v210
	v_sub_u16_sdwa v214, v208, v210 dst_sel:BYTE_1 dst_unused:UNUSED_PAD src0_sel:BYTE_1 src1_sel:BYTE_1
	v_sub_u16_sdwa v119, v119, v210 dst_sel:BYTE_1 dst_unused:UNUSED_PAD src0_sel:DWORD src1_sel:BYTE_3
	v_sub_u16_sdwa v208, v208, v210 dst_sel:DWORD dst_unused:UNUSED_PAD src0_sel:WORD_1 src1_sel:WORD_1
	v_or_b32_sdwa v212, v212, v214 dst_sel:DWORD dst_unused:UNUSED_PAD src0_sel:BYTE_0 src1_sel:DWORD
	v_or_b32_sdwa v119, v208, v119 dst_sel:WORD_1 dst_unused:UNUSED_PAD src0_sel:BYTE_0 src1_sel:DWORD
	s_nop 0
	v_or_b32_sdwa v210, v212, v119 dst_sel:DWORD dst_unused:UNUSED_PAD src0_sel:WORD_0 src1_sel:DWORD
	v_ashrrev_i32_e32 v119, s23, v211
	v_ashrrev_i32_e32 v211, s20, v213
	v_lshlrev_b32_e32 v211, 2, v211
	v_and_b32_e32 v208, 0x3030303, v119
	v_bfe_u32 v119, v119, 24, 2
	v_and_b32_e32 v211, 0x4040404, v211
	v_sub_u16_e32 v212, v208, v211
	v_sub_u16_sdwa v213, v208, v211 dst_sel:BYTE_1 dst_unused:UNUSED_PAD src0_sel:BYTE_1 src1_sel:BYTE_1
	v_sub_u16_sdwa v119, v119, v211 dst_sel:BYTE_1 dst_unused:UNUSED_PAD src0_sel:DWORD src1_sel:BYTE_3
	v_sub_u16_sdwa v208, v208, v211 dst_sel:DWORD dst_unused:UNUSED_PAD src0_sel:WORD_1 src1_sel:WORD_1
	v_or_b32_sdwa v212, v212, v213 dst_sel:DWORD dst_unused:UNUSED_PAD src0_sel:BYTE_0 src1_sel:DWORD
	v_or_b32_sdwa v119, v208, v119 dst_sel:WORD_1 dst_unused:UNUSED_PAD src0_sel:BYTE_0 src1_sel:DWORD
	s_add_i32 s20, s20, 1
	v_or_b32_sdwa v211, v212, v119 dst_sel:DWORD dst_unused:UNUSED_PAD src0_sel:WORD_0 src1_sel:DWORD
	v_add_u32_e32 v119, s26, v139
	ds_read_b32 v208, v119
	v_mov_b32_e32 v119, 0
	v_dot4c_i32_i8_e32 v119, v202, v4
	ds_read_u16 v4, v118 offset:36594
	v_dot4c_i32_i8_e32 v119, v204, v5
	v_dot4c_i32_i8_e32 v119, v205, v6
	v_mov_b32_e32 v6, 0
	v_dot4c_i32_i8_e32 v6, v207, v0
	v_dot4c_i32_i8_e32 v6, v209, v1
	;; [unrolled: 1-line block ×3, first 2 shown]
	s_waitcnt lgkmcnt(0)
	v_lshrrev_b16_e32 v5, 8, v4
	v_bfe_i32 v212, v4, 0, 8
	v_dot4c_i32_i8_e32 v6, v210, v2
	v_mul_lo_u32 v4, v119, v212
	v_dot4c_i32_i8_e32 v6, v211, v3
	v_bfe_i32 v213, v5, 0, 8
	v_mov_b32_e32 v118, 0
	s_cmp_lt_u32 s21, 22
	v_mad_u64_u32 v[0:1], s[22:23], v6, v213, v[4:5]
	v_cvt_f32_i32_e32 v0, v0
	v_mul_f32_e32 v1, v116, v208
	v_mov_b32_e32 v116, 0
	v_fmac_f32_e32 v81, v1, v0
	ds_read_b128 v[0:3], v168 offset:1024
	ds_read_b128 v[4:7], v168 offset:1040
	s_waitcnt lgkmcnt(1)
	v_dot4c_i32_i8_e32 v116, v170, v0
	v_dot4c_i32_i8_e32 v116, v171, v1
	s_waitcnt lgkmcnt(0)
	v_dot4c_i32_i8_e32 v118, v175, v4
	v_dot4c_i32_i8_e32 v116, v172, v2
	;; [unrolled: 1-line block ×6, first 2 shown]
	s_nop 0
	v_mul_lo_u32 v116, v116, v179
	s_nop 0
	v_mad_u64_u32 v[118:119], s[22:23], v118, v181, v[116:117]
	v_cvt_f32_i32_e32 v118, v118
	v_mul_f32_e32 v116, v174, v117
	v_fmac_f32_e32 v75, v116, v118
	v_mov_b32_e32 v116, 0
	v_dot4c_i32_i8_e32 v116, v180, v0
	v_mov_b32_e32 v118, 0
	v_dot4c_i32_i8_e32 v116, v182, v1
	v_dot4c_i32_i8_e32 v118, v185, v4
	;; [unrolled: 1-line block ×7, first 2 shown]
	s_nop 0
	v_mul_lo_u32 v116, v116, v190
	s_nop 0
	v_mad_u64_u32 v[118:119], s[22:23], v118, v192, v[116:117]
	v_cvt_f32_i32_e32 v118, v118
	v_mul_f32_e32 v116, v186, v117
	v_fmac_f32_e32 v71, v116, v118
	v_mov_b32_e32 v116, 0
	v_dot4c_i32_i8_e32 v116, v191, v0
	v_mov_b32_e32 v118, 0
	v_dot4c_i32_i8_e32 v116, v193, v1
	v_dot4c_i32_i8_e32 v118, v196, v4
	;; [unrolled: 1-line block ×7, first 2 shown]
	s_nop 0
	v_mul_lo_u32 v116, v116, v201
	s_nop 0
	v_mad_u64_u32 v[118:119], s[22:23], v118, v203, v[116:117]
	v_cvt_f32_i32_e32 v118, v118
	v_mul_f32_e32 v116, v197, v117
	v_mov_b32_e32 v119, 0
	v_fmac_f32_e32 v69, v116, v118
	v_mov_b32_e32 v116, 0
	v_dot4c_i32_i8_e32 v116, v202, v0
	v_dot4c_i32_i8_e32 v116, v204, v1
	v_mov_b32_e32 v1, 0
	v_dot4c_i32_i8_e32 v1, v207, v4
	v_dot4c_i32_i8_e32 v116, v205, v2
	;; [unrolled: 1-line block ×6, first 2 shown]
	v_mov_b32_e32 v118, 0
	v_mul_lo_u32 v0, v116, v212
	s_nop 0
	v_mad_u64_u32 v[0:1], s[22:23], v1, v213, v[0:1]
	v_cvt_f32_i32_e32 v0, v0
	v_mul_f32_e32 v1, v208, v117
	v_fmac_f32_e32 v67, v1, v0
	ds_read2_b32 v[116:117], v169 offset0:64 offset1:96
	ds_read_b128 v[0:3], v168 offset:2048
	ds_read_b128 v[4:7], v168 offset:2064
	s_waitcnt lgkmcnt(1)
	v_dot4c_i32_i8_e32 v118, v170, v0
	v_dot4c_i32_i8_e32 v118, v171, v1
	s_waitcnt lgkmcnt(0)
	v_dot4c_i32_i8_e32 v119, v175, v4
	v_dot4c_i32_i8_e32 v118, v172, v2
	;; [unrolled: 1-line block ×6, first 2 shown]
	s_nop 0
	v_mul_lo_u32 v118, v118, v179
	s_nop 0
	v_mad_u64_u32 v[118:119], s[22:23], v119, v181, v[118:119]
	v_cvt_f32_i32_e32 v118, v118
	v_mul_f32_e32 v119, v174, v116
	v_fmac_f32_e32 v65, v119, v118
	v_mov_b32_e32 v118, 0
	v_dot4c_i32_i8_e32 v118, v180, v0
	v_mov_b32_e32 v119, 0
	v_dot4c_i32_i8_e32 v118, v182, v1
	v_dot4c_i32_i8_e32 v119, v185, v4
	;; [unrolled: 1-line block ×7, first 2 shown]
	s_nop 0
	v_mul_lo_u32 v118, v118, v190
	s_nop 0
	v_mad_u64_u32 v[118:119], s[22:23], v119, v192, v[118:119]
	v_cvt_f32_i32_e32 v118, v118
	v_mul_f32_e32 v119, v186, v116
	v_fmac_f32_e32 v61, v119, v118
	v_mov_b32_e32 v118, 0
	v_dot4c_i32_i8_e32 v118, v191, v0
	v_mov_b32_e32 v119, 0
	v_dot4c_i32_i8_e32 v118, v193, v1
	v_dot4c_i32_i8_e32 v119, v196, v4
	;; [unrolled: 1-line block ×7, first 2 shown]
	s_nop 0
	v_mul_lo_u32 v118, v118, v201
	s_nop 0
	v_mad_u64_u32 v[118:119], s[22:23], v119, v203, v[118:119]
	v_cvt_f32_i32_e32 v118, v118
	v_mul_f32_e32 v119, v197, v116
	v_fmac_f32_e32 v57, v119, v118
	v_mov_b32_e32 v118, 0
	v_dot4c_i32_i8_e32 v118, v202, v0
	v_dot4c_i32_i8_e32 v118, v204, v1
	v_mov_b32_e32 v1, 0
	v_dot4c_i32_i8_e32 v1, v207, v4
	v_dot4c_i32_i8_e32 v118, v205, v2
	v_dot4c_i32_i8_e32 v1, v209, v5
	v_dot4c_i32_i8_e32 v118, v206, v3
	v_dot4c_i32_i8_e32 v1, v210, v6
	v_dot4c_i32_i8_e32 v1, v211, v7
	s_nop 0
	v_mul_lo_u32 v0, v118, v212
	v_mov_b32_e32 v118, 0
	v_mad_u64_u32 v[0:1], s[22:23], v1, v213, v[0:1]
	v_cvt_f32_i32_e32 v0, v0
	v_mul_f32_e32 v1, v208, v116
	v_mov_b32_e32 v116, 0
	v_fmac_f32_e32 v55, v1, v0
	ds_read_b128 v[0:3], v168 offset:3072
	ds_read_b128 v[4:7], v168 offset:3088
	s_waitcnt lgkmcnt(1)
	v_dot4c_i32_i8_e32 v116, v170, v0
	v_dot4c_i32_i8_e32 v116, v171, v1
	s_waitcnt lgkmcnt(0)
	v_dot4c_i32_i8_e32 v118, v175, v4
	v_dot4c_i32_i8_e32 v116, v172, v2
	;; [unrolled: 1-line block ×6, first 2 shown]
	s_nop 0
	v_mul_lo_u32 v116, v116, v179
	s_nop 0
	v_mad_u64_u32 v[118:119], s[22:23], v118, v181, v[116:117]
	v_cvt_f32_i32_e32 v118, v118
	v_mul_f32_e32 v116, v174, v117
	v_fmac_f32_e32 v53, v116, v118
	v_mov_b32_e32 v116, 0
	v_dot4c_i32_i8_e32 v116, v180, v0
	v_mov_b32_e32 v118, 0
	v_dot4c_i32_i8_e32 v116, v182, v1
	v_dot4c_i32_i8_e32 v118, v185, v4
	;; [unrolled: 1-line block ×7, first 2 shown]
	s_nop 0
	v_mul_lo_u32 v116, v116, v190
	s_nop 0
	v_mad_u64_u32 v[118:119], s[22:23], v118, v192, v[116:117]
	v_cvt_f32_i32_e32 v118, v118
	v_mul_f32_e32 v116, v186, v117
	v_fmac_f32_e32 v51, v116, v118
	v_mov_b32_e32 v116, 0
	v_dot4c_i32_i8_e32 v116, v191, v0
	v_mov_b32_e32 v118, 0
	v_dot4c_i32_i8_e32 v116, v193, v1
	v_dot4c_i32_i8_e32 v118, v196, v4
	;; [unrolled: 1-line block ×7, first 2 shown]
	s_nop 0
	v_mul_lo_u32 v116, v116, v201
	s_nop 0
	v_mad_u64_u32 v[118:119], s[22:23], v118, v203, v[116:117]
	v_cvt_f32_i32_e32 v118, v118
	v_mul_f32_e32 v116, v197, v117
	v_mov_b32_e32 v119, 0
	v_fmac_f32_e32 v49, v116, v118
	v_mov_b32_e32 v116, 0
	v_dot4c_i32_i8_e32 v116, v202, v0
	v_dot4c_i32_i8_e32 v116, v204, v1
	v_mov_b32_e32 v1, 0
	v_dot4c_i32_i8_e32 v1, v207, v4
	v_dot4c_i32_i8_e32 v116, v205, v2
	;; [unrolled: 1-line block ×6, first 2 shown]
	v_mov_b32_e32 v118, 0
	v_mul_lo_u32 v0, v116, v212
	s_nop 0
	v_mad_u64_u32 v[0:1], s[22:23], v1, v213, v[0:1]
	v_cvt_f32_i32_e32 v0, v0
	v_mul_f32_e32 v1, v208, v117
	v_fmac_f32_e32 v47, v1, v0
	ds_read2_b32 v[116:117], v169 offset0:128 offset1:160
	ds_read_b128 v[0:3], v168 offset:4096
	ds_read_b128 v[4:7], v168 offset:4112
	s_waitcnt lgkmcnt(1)
	v_dot4c_i32_i8_e32 v118, v170, v0
	v_dot4c_i32_i8_e32 v118, v171, v1
	s_waitcnt lgkmcnt(0)
	v_dot4c_i32_i8_e32 v119, v175, v4
	v_dot4c_i32_i8_e32 v118, v172, v2
	v_dot4c_i32_i8_e32 v119, v176, v5
	v_dot4c_i32_i8_e32 v118, v173, v3
	v_dot4c_i32_i8_e32 v119, v177, v6
	v_dot4c_i32_i8_e32 v119, v178, v7
	s_nop 0
	v_mul_lo_u32 v118, v118, v179
	s_nop 0
	v_mad_u64_u32 v[118:119], s[22:23], v119, v181, v[118:119]
	v_cvt_f32_i32_e32 v118, v118
	v_mul_f32_e32 v119, v174, v116
	v_fmac_f32_e32 v45, v119, v118
	v_mov_b32_e32 v118, 0
	v_dot4c_i32_i8_e32 v118, v180, v0
	v_mov_b32_e32 v119, 0
	v_dot4c_i32_i8_e32 v118, v182, v1
	v_dot4c_i32_i8_e32 v119, v185, v4
	;; [unrolled: 1-line block ×7, first 2 shown]
	s_nop 0
	v_mul_lo_u32 v118, v118, v190
	s_nop 0
	v_mad_u64_u32 v[118:119], s[22:23], v119, v192, v[118:119]
	v_cvt_f32_i32_e32 v118, v118
	v_mul_f32_e32 v119, v186, v116
	v_fmac_f32_e32 v43, v119, v118
	v_mov_b32_e32 v118, 0
	v_dot4c_i32_i8_e32 v118, v191, v0
	v_mov_b32_e32 v119, 0
	v_dot4c_i32_i8_e32 v118, v193, v1
	v_dot4c_i32_i8_e32 v119, v196, v4
	;; [unrolled: 1-line block ×7, first 2 shown]
	s_nop 0
	v_mul_lo_u32 v118, v118, v201
	s_nop 0
	v_mad_u64_u32 v[118:119], s[22:23], v119, v203, v[118:119]
	v_cvt_f32_i32_e32 v118, v118
	v_mul_f32_e32 v119, v197, v116
	v_fmac_f32_e32 v41, v119, v118
	v_mov_b32_e32 v118, 0
	v_dot4c_i32_i8_e32 v118, v202, v0
	v_dot4c_i32_i8_e32 v118, v204, v1
	v_mov_b32_e32 v1, 0
	v_dot4c_i32_i8_e32 v1, v207, v4
	v_dot4c_i32_i8_e32 v118, v205, v2
	;; [unrolled: 1-line block ×6, first 2 shown]
	s_nop 0
	v_mul_lo_u32 v0, v118, v212
	v_mov_b32_e32 v118, 0
	v_mad_u64_u32 v[0:1], s[22:23], v1, v213, v[0:1]
	v_cvt_f32_i32_e32 v0, v0
	v_mul_f32_e32 v1, v208, v116
	v_mov_b32_e32 v116, 0
	v_fmac_f32_e32 v39, v1, v0
	ds_read_b128 v[0:3], v168 offset:5120
	ds_read_b128 v[4:7], v168 offset:5136
	s_waitcnt lgkmcnt(1)
	v_dot4c_i32_i8_e32 v116, v170, v0
	v_dot4c_i32_i8_e32 v116, v171, v1
	s_waitcnt lgkmcnt(0)
	v_dot4c_i32_i8_e32 v118, v175, v4
	v_dot4c_i32_i8_e32 v116, v172, v2
	;; [unrolled: 1-line block ×6, first 2 shown]
	s_nop 0
	v_mul_lo_u32 v116, v116, v179
	s_nop 0
	v_mad_u64_u32 v[118:119], s[22:23], v118, v181, v[116:117]
	v_cvt_f32_i32_e32 v118, v118
	v_mul_f32_e32 v116, v174, v117
	v_fmac_f32_e32 v35, v116, v118
	v_mov_b32_e32 v116, 0
	v_dot4c_i32_i8_e32 v116, v180, v0
	v_mov_b32_e32 v118, 0
	v_dot4c_i32_i8_e32 v116, v182, v1
	v_dot4c_i32_i8_e32 v118, v185, v4
	;; [unrolled: 1-line block ×7, first 2 shown]
	s_nop 0
	v_mul_lo_u32 v116, v116, v190
	s_nop 0
	v_mad_u64_u32 v[118:119], s[22:23], v118, v192, v[116:117]
	v_cvt_f32_i32_e32 v118, v118
	v_mul_f32_e32 v116, v186, v117
	v_fmac_f32_e32 v31, v116, v118
	v_mov_b32_e32 v116, 0
	v_dot4c_i32_i8_e32 v116, v191, v0
	v_mov_b32_e32 v118, 0
	v_dot4c_i32_i8_e32 v116, v193, v1
	v_dot4c_i32_i8_e32 v118, v196, v4
	v_dot4c_i32_i8_e32 v116, v194, v2
	v_dot4c_i32_i8_e32 v118, v198, v5
	v_dot4c_i32_i8_e32 v116, v195, v3
	v_dot4c_i32_i8_e32 v118, v199, v6
	v_dot4c_i32_i8_e32 v118, v200, v7
	s_nop 0
	v_mul_lo_u32 v116, v116, v201
	s_nop 0
	v_mad_u64_u32 v[118:119], s[22:23], v118, v203, v[116:117]
	v_cvt_f32_i32_e32 v118, v118
	v_mul_f32_e32 v116, v197, v117
	v_mov_b32_e32 v119, 0
	v_fmac_f32_e32 v29, v116, v118
	v_mov_b32_e32 v116, 0
	v_dot4c_i32_i8_e32 v116, v202, v0
	v_dot4c_i32_i8_e32 v116, v204, v1
	v_mov_b32_e32 v1, 0
	v_dot4c_i32_i8_e32 v1, v207, v4
	v_dot4c_i32_i8_e32 v116, v205, v2
	;; [unrolled: 1-line block ×6, first 2 shown]
	v_mov_b32_e32 v118, 0
	v_mul_lo_u32 v0, v116, v212
	s_nop 0
	v_mad_u64_u32 v[0:1], s[22:23], v1, v213, v[0:1]
	v_cvt_f32_i32_e32 v0, v0
	v_mul_f32_e32 v1, v208, v117
	v_fmac_f32_e32 v27, v1, v0
	ds_read2_b32 v[116:117], v169 offset0:192 offset1:224
	ds_read_b128 v[4:7], v168 offset:6144
	ds_read_b128 v[0:3], v168 offset:6160
	v_add_u32_e32 v169, 4, v169
	s_waitcnt lgkmcnt(1)
	v_dot4c_i32_i8_e32 v118, v170, v4
	v_dot4c_i32_i8_e32 v118, v171, v5
	s_waitcnt lgkmcnt(0)
	v_dot4c_i32_i8_e32 v119, v175, v0
	v_dot4c_i32_i8_e32 v118, v172, v6
	v_dot4c_i32_i8_e32 v119, v176, v1
	v_dot4c_i32_i8_e32 v118, v173, v7
	v_dot4c_i32_i8_e32 v119, v177, v2
	v_dot4c_i32_i8_e32 v119, v178, v3
	s_nop 0
	v_mul_lo_u32 v118, v118, v179
	s_nop 0
	v_mad_u64_u32 v[118:119], s[22:23], v119, v181, v[118:119]
	v_cvt_f32_i32_e32 v118, v118
	v_mul_f32_e32 v119, v174, v116
	v_fmac_f32_e32 v25, v119, v118
	v_mov_b32_e32 v118, 0
	v_dot4c_i32_i8_e32 v118, v180, v4
	v_mov_b32_e32 v119, 0
	v_dot4c_i32_i8_e32 v118, v182, v5
	v_dot4c_i32_i8_e32 v119, v185, v0
	;; [unrolled: 1-line block ×7, first 2 shown]
	s_nop 0
	v_mul_lo_u32 v118, v118, v190
	s_nop 0
	v_mad_u64_u32 v[118:119], s[22:23], v119, v192, v[118:119]
	v_cvt_f32_i32_e32 v118, v118
	v_mul_f32_e32 v119, v186, v116
	v_fmac_f32_e32 v23, v119, v118
	v_mov_b32_e32 v118, 0
	v_dot4c_i32_i8_e32 v118, v191, v4
	v_mov_b32_e32 v119, 0
	v_dot4c_i32_i8_e32 v118, v193, v5
	v_dot4c_i32_i8_e32 v119, v196, v0
	;; [unrolled: 1-line block ×7, first 2 shown]
	s_nop 0
	v_mul_lo_u32 v118, v118, v201
	s_nop 0
	v_mad_u64_u32 v[118:119], s[22:23], v119, v203, v[118:119]
	v_cvt_f32_i32_e32 v118, v118
	v_mul_f32_e32 v119, v197, v116
	v_fmac_f32_e32 v21, v119, v118
	v_mov_b32_e32 v118, 0
	v_dot4c_i32_i8_e32 v118, v202, v4
	v_dot4c_i32_i8_e32 v118, v204, v5
	v_mov_b32_e32 v5, 0
	v_dot4c_i32_i8_e32 v5, v207, v0
	v_dot4c_i32_i8_e32 v118, v205, v6
	;; [unrolled: 1-line block ×6, first 2 shown]
	s_nop 0
	v_mul_lo_u32 v4, v118, v212
	v_mov_b32_e32 v118, 0
	v_mad_u64_u32 v[0:1], s[22:23], v5, v213, v[4:5]
	v_cvt_f32_i32_e32 v0, v0
	v_mul_f32_e32 v1, v208, v116
	v_mov_b32_e32 v116, 0
	v_fmac_f32_e32 v19, v1, v0
	ds_read_b128 v[0:3], v168 offset:7168
	ds_read_b128 v[4:7], v168 offset:7184
	v_add_u32_e32 v168, 32, v168
	s_waitcnt lgkmcnt(1)
	v_dot4c_i32_i8_e32 v116, v170, v0
	v_dot4c_i32_i8_e32 v116, v171, v1
	s_waitcnt lgkmcnt(0)
	v_dot4c_i32_i8_e32 v118, v175, v4
	v_dot4c_i32_i8_e32 v116, v172, v2
	v_dot4c_i32_i8_e32 v118, v176, v5
	v_dot4c_i32_i8_e32 v116, v173, v3
	v_dot4c_i32_i8_e32 v118, v177, v6
	v_dot4c_i32_i8_e32 v118, v178, v7
	s_nop 0
	v_mul_lo_u32 v116, v116, v179
	s_nop 0
	v_mad_u64_u32 v[118:119], s[22:23], v118, v181, v[116:117]
	v_cvt_f32_i32_e32 v118, v118
	v_mul_f32_e32 v116, v174, v117
	v_fmac_f32_e32 v17, v116, v118
	v_mov_b32_e32 v116, 0
	v_dot4c_i32_i8_e32 v116, v180, v0
	v_mov_b32_e32 v118, 0
	v_dot4c_i32_i8_e32 v116, v182, v1
	v_dot4c_i32_i8_e32 v118, v185, v4
	v_dot4c_i32_i8_e32 v116, v183, v2
	v_dot4c_i32_i8_e32 v118, v187, v5
	v_dot4c_i32_i8_e32 v116, v184, v3
	v_dot4c_i32_i8_e32 v118, v188, v6
	v_dot4c_i32_i8_e32 v118, v189, v7
	s_nop 0
	v_mul_lo_u32 v116, v116, v190
	s_nop 0
	v_mad_u64_u32 v[118:119], s[22:23], v118, v192, v[116:117]
	v_cvt_f32_i32_e32 v118, v118
	v_mul_f32_e32 v116, v186, v117
	v_fmac_f32_e32 v15, v116, v118
	v_mov_b32_e32 v116, 0
	v_dot4c_i32_i8_e32 v116, v191, v0
	v_mov_b32_e32 v118, 0
	v_dot4c_i32_i8_e32 v116, v193, v1
	v_dot4c_i32_i8_e32 v118, v196, v4
	v_dot4c_i32_i8_e32 v116, v194, v2
	v_dot4c_i32_i8_e32 v118, v198, v5
	v_dot4c_i32_i8_e32 v116, v195, v3
	v_dot4c_i32_i8_e32 v118, v199, v6
	v_dot4c_i32_i8_e32 v118, v200, v7
	s_nop 0
	v_mul_lo_u32 v116, v116, v201
	s_nop 0
	v_mad_u64_u32 v[118:119], s[22:23], v118, v203, v[116:117]
	v_cvt_f32_i32_e32 v118, v118
	v_mul_f32_e32 v116, v197, v117
	v_fmac_f32_e32 v13, v116, v118
	v_mov_b32_e32 v116, 0
	v_dot4c_i32_i8_e32 v116, v202, v0
	v_dot4c_i32_i8_e32 v116, v204, v1
	v_mov_b32_e32 v1, 0
	v_dot4c_i32_i8_e32 v1, v207, v4
	v_dot4c_i32_i8_e32 v116, v205, v2
	;; [unrolled: 1-line block ×6, first 2 shown]
	s_nop 0
	v_mul_lo_u32 v0, v116, v212
	s_nop 0
	v_mad_u64_u32 v[0:1], s[22:23], v1, v213, v[0:1]
	v_cvt_f32_i32_e32 v0, v0
	v_mul_f32_e32 v1, v208, v117
	s_mov_b32 s22, s21
	v_fmac_f32_e32 v9, v1, v0
	s_cbranch_scc1 .LBB150_12
; %bb.13:                               ;   in Loop: Header=BB150_6 Depth=1
	v_add_u32_e32 v170, s18, v142
	v_add_u32_e32 v0, v170, v91
	;; [unrolled: 1-line block ×6, first 2 shown]
	v_mad_i64_i32 v[0:1], s[18:19], v0, 36, v[112:113]
	v_mad_i64_i32 v[2:3], s[18:19], v2, 36, v[112:113]
	;; [unrolled: 1-line block ×4, first 2 shown]
	v_add_u32_e32 v116, v170, v115
	v_add_u32_e32 v118, v170, v121
	;; [unrolled: 1-line block ×4, first 2 shown]
	v_mad_u64_u32 v[172:173], s[18:19], v167, 36, s[2:3]
	s_barrier
	v_mad_i64_i32 v[116:117], s[18:19], v116, 36, v[112:113]
	v_mad_i64_i32 v[118:119], s[18:19], v118, 36, v[112:113]
	;; [unrolled: 1-line block ×4, first 2 shown]
	global_load_dword v172, v[172:173], off
	s_nop 0
	global_load_dword v0, v[0:1], off offset:4
	s_nop 0
	global_load_dword v1, v[2:3], off offset:4
	;; [unrolled: 2-line block ×3, first 2 shown]
	global_load_dword v3, v[6:7], off offset:4
	s_nop 0
	global_load_dword v4, v[116:117], off offset:4
	global_load_dword v5, v[118:119], off offset:4
	;; [unrolled: 1-line block ×4, first 2 shown]
	s_mov_b32 s18, 24
	s_mov_b32 s21, 22
	;; [unrolled: 1-line block ×3, first 2 shown]
	v_mov_b32_e32 v167, v152
	v_mov_b32_e32 v168, v151
	s_waitcnt vmcnt(8)
	v_cvt_f32_f16_e32 v116, v172
	s_waitcnt vmcnt(7)
	ds_write_b32 v95, v0
	s_waitcnt vmcnt(6)
	ds_write_b32 v99, v1
	;; [unrolled: 2-line block ×8, first 2 shown]
	ds_write_b32 v89, v116
	s_waitcnt lgkmcnt(0)
	s_barrier
.LBB150_14:                             ;   Parent Loop BB150_6 Depth=1
                                        ; =>  This Inner Loop Header: Depth=2
	s_add_i32 s20, s21, 2
	s_lshr_b32 s25, s20, 4
	s_and_b32 s24, s20, 0x3ffffff8
	s_lshl_b32 s23, s25, 3
	s_lshl_b32 s24, s24, 2
	v_add_lshl_u32 v178, v128, s23, 2
	v_add_u32_e32 v119, s24, v129
	v_add_u32_e32 v172, 0x4200, v178
	ds_read2_b32 v[116:117], v168 offset1:32
	ds_read_b128 v[4:7], v167
	ds_read_b128 v[0:3], v167 offset:16
	ds_read2_b32 v[170:171], v119 offset1:1
	ds_read2_b32 v[172:173], v172 offset1:1
	s_and_b32 s22, s18, -16
	v_add_u32_e32 v118, s22, v127
	s_sub_i32 s22, s21, 22
	s_waitcnt lgkmcnt(1)
	v_ashrrev_i32_e32 v169, s22, v170
	s_waitcnt lgkmcnt(0)
	v_ashrrev_i32_e32 v172, s19, v172
	v_lshlrev_b32_e32 v172, 2, v172
	v_and_b32_e32 v170, 0x3030303, v169
	v_bfe_u32 v169, v169, 24, 2
	v_and_b32_e32 v172, 0x4040404, v172
	v_sub_u16_e32 v174, v170, v172
	v_sub_u16_sdwa v175, v170, v172 dst_sel:BYTE_1 dst_unused:UNUSED_PAD src0_sel:BYTE_1 src1_sel:BYTE_1
	v_sub_u16_sdwa v169, v169, v172 dst_sel:BYTE_1 dst_unused:UNUSED_PAD src0_sel:DWORD src1_sel:BYTE_3
	v_sub_u16_sdwa v170, v170, v172 dst_sel:DWORD dst_unused:UNUSED_PAD src0_sel:WORD_1 src1_sel:WORD_1
	v_ashrrev_i32_e32 v172, s19, v173
	v_or_b32_sdwa v169, v170, v169 dst_sel:WORD_1 dst_unused:UNUSED_PAD src0_sel:BYTE_0 src1_sel:DWORD
	v_ashrrev_i32_e32 v170, s22, v171
	v_lshlrev_b32_e32 v172, 2, v172
	v_or_b32_sdwa v174, v174, v175 dst_sel:DWORD dst_unused:UNUSED_PAD src0_sel:BYTE_0 src1_sel:DWORD
	v_and_b32_e32 v171, 0x3030303, v170
	v_bfe_u32 v170, v170, 24, 2
	v_and_b32_e32 v172, 0x4040404, v172
	v_or_b32_sdwa v169, v174, v169 dst_sel:DWORD dst_unused:UNUSED_PAD src0_sel:WORD_0 src1_sel:DWORD
	v_sub_u16_e32 v173, v171, v172
	v_sub_u16_sdwa v174, v171, v172 dst_sel:BYTE_1 dst_unused:UNUSED_PAD src0_sel:BYTE_1 src1_sel:BYTE_1
	v_sub_u16_sdwa v170, v170, v172 dst_sel:BYTE_1 dst_unused:UNUSED_PAD src0_sel:DWORD src1_sel:BYTE_3
	v_sub_u16_sdwa v171, v171, v172 dst_sel:DWORD dst_unused:UNUSED_PAD src0_sel:WORD_1 src1_sel:WORD_1
	v_or_b32_sdwa v173, v173, v174 dst_sel:DWORD dst_unused:UNUSED_PAD src0_sel:BYTE_0 src1_sel:DWORD
	v_or_b32_sdwa v170, v171, v170 dst_sel:WORD_1 dst_unused:UNUSED_PAD src0_sel:BYTE_0 src1_sel:DWORD
	v_add_u32_e32 v174, 0x4208, v178
	v_or_b32_sdwa v170, v173, v170 dst_sel:DWORD dst_unused:UNUSED_PAD src0_sel:WORD_0 src1_sel:DWORD
	ds_read2_b32 v[172:173], v119 offset0:2 offset1:3
	ds_read2_b32 v[174:175], v174 offset1:1
	s_lshl_b32 s25, s25, 2
	v_add_lshl_u32 v200, v134, s23, 2
	v_add_lshl_u32 v190, v131, s23, 2
	s_waitcnt lgkmcnt(1)
	v_ashrrev_i32_e32 v171, s22, v172
	s_waitcnt lgkmcnt(0)
	v_ashrrev_i32_e32 v174, s19, v174
	v_lshlrev_b32_e32 v174, 2, v174
	v_and_b32_e32 v172, 0x3030303, v171
	v_bfe_u32 v171, v171, 24, 2
	v_and_b32_e32 v174, 0x4040404, v174
	v_sub_u16_e32 v176, v172, v174
	v_sub_u16_sdwa v177, v172, v174 dst_sel:BYTE_1 dst_unused:UNUSED_PAD src0_sel:BYTE_1 src1_sel:BYTE_1
	v_sub_u16_sdwa v171, v171, v174 dst_sel:BYTE_1 dst_unused:UNUSED_PAD src0_sel:DWORD src1_sel:BYTE_3
	v_sub_u16_sdwa v172, v172, v174 dst_sel:DWORD dst_unused:UNUSED_PAD src0_sel:WORD_1 src1_sel:WORD_1
	v_ashrrev_i32_e32 v174, s19, v175
	v_or_b32_sdwa v171, v172, v171 dst_sel:WORD_1 dst_unused:UNUSED_PAD src0_sel:BYTE_0 src1_sel:DWORD
	v_ashrrev_i32_e32 v172, s22, v173
	v_lshlrev_b32_e32 v174, 2, v174
	v_or_b32_sdwa v176, v176, v177 dst_sel:DWORD dst_unused:UNUSED_PAD src0_sel:BYTE_0 src1_sel:DWORD
	v_and_b32_e32 v173, 0x3030303, v172
	v_bfe_u32 v172, v172, 24, 2
	v_and_b32_e32 v174, 0x4040404, v174
	v_or_b32_sdwa v171, v176, v171 dst_sel:DWORD dst_unused:UNUSED_PAD src0_sel:WORD_0 src1_sel:DWORD
	v_sub_u16_e32 v175, v173, v174
	v_sub_u16_sdwa v176, v173, v174 dst_sel:BYTE_1 dst_unused:UNUSED_PAD src0_sel:BYTE_1 src1_sel:BYTE_1
	v_sub_u16_sdwa v172, v172, v174 dst_sel:BYTE_1 dst_unused:UNUSED_PAD src0_sel:DWORD src1_sel:BYTE_3
	v_sub_u16_sdwa v173, v173, v174 dst_sel:DWORD dst_unused:UNUSED_PAD src0_sel:WORD_1 src1_sel:WORD_1
	v_or_b32_sdwa v175, v175, v176 dst_sel:DWORD dst_unused:UNUSED_PAD src0_sel:BYTE_0 src1_sel:DWORD
	v_or_b32_sdwa v172, v173, v172 dst_sel:WORD_1 dst_unused:UNUSED_PAD src0_sel:BYTE_0 src1_sel:DWORD
	v_add_u32_e32 v176, 0x4210, v178
	v_or_b32_sdwa v172, v175, v172 dst_sel:DWORD dst_unused:UNUSED_PAD src0_sel:WORD_0 src1_sel:DWORD
	ds_read2_b32 v[174:175], v119 offset0:4 offset1:5
	ds_read2_b32 v[176:177], v176 offset1:1
	v_add_u32_e32 v194, 0x4200, v200
	v_add_lshl_u32 v212, v137, s23, 2
	s_add_i32 s18, s18, 2
	s_waitcnt lgkmcnt(1)
	v_ashrrev_i32_e32 v173, s22, v174
	s_waitcnt lgkmcnt(0)
	v_ashrrev_i32_e32 v176, s19, v176
	v_lshlrev_b32_e32 v176, 2, v176
	v_and_b32_e32 v174, 0x3030303, v173
	v_bfe_u32 v173, v173, 24, 2
	v_and_b32_e32 v176, 0x4040404, v176
	v_sub_u16_e32 v179, v174, v176
	v_sub_u16_sdwa v180, v174, v176 dst_sel:BYTE_1 dst_unused:UNUSED_PAD src0_sel:BYTE_1 src1_sel:BYTE_1
	v_sub_u16_sdwa v173, v173, v176 dst_sel:BYTE_1 dst_unused:UNUSED_PAD src0_sel:DWORD src1_sel:BYTE_3
	v_sub_u16_sdwa v174, v174, v176 dst_sel:DWORD dst_unused:UNUSED_PAD src0_sel:WORD_1 src1_sel:WORD_1
	v_or_b32_sdwa v179, v179, v180 dst_sel:DWORD dst_unused:UNUSED_PAD src0_sel:BYTE_0 src1_sel:DWORD
	v_or_b32_sdwa v173, v174, v173 dst_sel:WORD_1 dst_unused:UNUSED_PAD src0_sel:BYTE_0 src1_sel:DWORD
	v_ashrrev_i32_e32 v176, s19, v177
	v_or_b32_sdwa v174, v179, v173 dst_sel:DWORD dst_unused:UNUSED_PAD src0_sel:WORD_0 src1_sel:DWORD
	v_ashrrev_i32_e32 v173, s22, v175
	v_lshlrev_b32_e32 v176, 2, v176
	v_and_b32_e32 v175, 0x3030303, v173
	v_bfe_u32 v173, v173, 24, 2
	v_and_b32_e32 v176, 0x4040404, v176
	v_sub_u16_e32 v177, v175, v176
	v_sub_u16_sdwa v179, v175, v176 dst_sel:BYTE_1 dst_unused:UNUSED_PAD src0_sel:BYTE_1 src1_sel:BYTE_1
	v_sub_u16_sdwa v173, v173, v176 dst_sel:BYTE_1 dst_unused:UNUSED_PAD src0_sel:DWORD src1_sel:BYTE_3
	v_sub_u16_sdwa v175, v175, v176 dst_sel:DWORD dst_unused:UNUSED_PAD src0_sel:WORD_1 src1_sel:WORD_1
	v_or_b32_sdwa v177, v177, v179 dst_sel:DWORD dst_unused:UNUSED_PAD src0_sel:BYTE_0 src1_sel:DWORD
	v_or_b32_sdwa v173, v175, v173 dst_sel:WORD_1 dst_unused:UNUSED_PAD src0_sel:BYTE_0 src1_sel:DWORD
	ds_read2_b32 v[194:195], v194 offset1:1
	v_or_b32_sdwa v175, v177, v173 dst_sel:DWORD dst_unused:UNUSED_PAD src0_sel:WORD_0 src1_sel:DWORD
	ds_read2_b32 v[176:177], v119 offset0:6 offset1:7
	s_waitcnt lgkmcnt(1)
	v_ashrrev_i32_e32 v194, s19, v194
	v_lshlrev_b32_e32 v194, 2, v194
	s_waitcnt lgkmcnt(0)
	v_ashrrev_i32_e32 v119, s22, v176
	v_add_u32_e32 v176, 0x4218, v178
	ds_read2_b32 v[178:179], v176 offset1:1
	v_and_b32_e32 v173, 0x3030303, v119
	v_bfe_u32 v119, v119, 24, 2
	v_and_b32_e32 v194, 0x4040404, v194
	s_waitcnt lgkmcnt(0)
	v_ashrrev_i32_e32 v176, s19, v178
	v_lshlrev_b32_e32 v176, 2, v176
	v_and_b32_e32 v176, 0x4040404, v176
	v_sub_u16_e32 v178, v173, v176
	v_sub_u16_sdwa v180, v173, v176 dst_sel:BYTE_1 dst_unused:UNUSED_PAD src0_sel:BYTE_1 src1_sel:BYTE_1
	v_sub_u16_sdwa v119, v119, v176 dst_sel:BYTE_1 dst_unused:UNUSED_PAD src0_sel:DWORD src1_sel:BYTE_3
	v_sub_u16_sdwa v173, v173, v176 dst_sel:DWORD dst_unused:UNUSED_PAD src0_sel:WORD_1 src1_sel:WORD_1
	v_or_b32_sdwa v178, v178, v180 dst_sel:DWORD dst_unused:UNUSED_PAD src0_sel:BYTE_0 src1_sel:DWORD
	v_or_b32_sdwa v119, v173, v119 dst_sel:WORD_1 dst_unused:UNUSED_PAD src0_sel:BYTE_0 src1_sel:DWORD
	s_nop 0
	v_or_b32_sdwa v176, v178, v119 dst_sel:DWORD dst_unused:UNUSED_PAD src0_sel:WORD_0 src1_sel:DWORD
	v_ashrrev_i32_e32 v119, s22, v177
	v_ashrrev_i32_e32 v177, s19, v179
	v_lshlrev_b32_e32 v177, 2, v177
	v_and_b32_e32 v173, 0x3030303, v119
	v_bfe_u32 v119, v119, 24, 2
	v_and_b32_e32 v177, 0x4040404, v177
	v_sub_u16_e32 v178, v173, v177
	v_sub_u16_sdwa v179, v173, v177 dst_sel:BYTE_1 dst_unused:UNUSED_PAD src0_sel:BYTE_1 src1_sel:BYTE_1
	v_sub_u16_sdwa v119, v119, v177 dst_sel:BYTE_1 dst_unused:UNUSED_PAD src0_sel:DWORD src1_sel:BYTE_3
	v_sub_u16_sdwa v173, v173, v177 dst_sel:DWORD dst_unused:UNUSED_PAD src0_sel:WORD_1 src1_sel:WORD_1
	v_or_b32_sdwa v178, v178, v179 dst_sel:DWORD dst_unused:UNUSED_PAD src0_sel:BYTE_0 src1_sel:DWORD
	v_or_b32_sdwa v119, v173, v119 dst_sel:WORD_1 dst_unused:UNUSED_PAD src0_sel:BYTE_0 src1_sel:DWORD
	v_add_u32_e32 v173, s25, v130
	v_or_b32_sdwa v177, v178, v119 dst_sel:DWORD dst_unused:UNUSED_PAD src0_sel:WORD_0 src1_sel:DWORD
	v_add3_u32 v119, v143, s21, v118
	ds_read_b32 v173, v173
	ds_read_u16 v119, v119 offset:33522
	v_mov_b32_e32 v179, 0
	v_dot4c_i32_i8_e32 v179, v169, v4
	v_dot4c_i32_i8_e32 v179, v170, v5
	;; [unrolled: 1-line block ×3, first 2 shown]
	s_waitcnt lgkmcnt(0)
	v_lshrrev_b16_e32 v180, 8, v119
	v_bfe_i32 v178, v119, 0, 8
	v_mov_b32_e32 v119, 0
	v_dot4c_i32_i8_e32 v119, v174, v0
	v_dot4c_i32_i8_e32 v119, v175, v1
	;; [unrolled: 1-line block ×5, first 2 shown]
	v_bfe_i32 v180, v180, 0, 8
	v_mul_lo_u32 v182, v179, v178
	s_nop 0
	v_mad_u64_u32 v[182:183], s[26:27], v119, v180, v[182:183]
	v_cvt_f32_i32_e32 v179, v182
	v_mul_f32_e32 v119, v116, v173
	v_fmac_f32_e32 v105, v119, v179
	v_add_u32_e32 v119, s24, v132
	ds_read2_b32 v[182:183], v119 offset1:1
	s_waitcnt lgkmcnt(0)
	v_ashrrev_i32_e32 v179, s22, v182
	v_add_u32_e32 v182, 0x4200, v190
	ds_read2_b32 v[184:185], v182 offset1:1
	v_and_b32_e32 v181, 0x3030303, v179
	v_bfe_u32 v179, v179, 24, 2
	s_waitcnt lgkmcnt(0)
	v_ashrrev_i32_e32 v182, s19, v184
	v_lshlrev_b32_e32 v182, 2, v182
	v_and_b32_e32 v182, 0x4040404, v182
	v_sub_u16_e32 v184, v181, v182
	v_sub_u16_sdwa v186, v181, v182 dst_sel:BYTE_1 dst_unused:UNUSED_PAD src0_sel:BYTE_1 src1_sel:BYTE_1
	v_sub_u16_sdwa v179, v179, v182 dst_sel:BYTE_1 dst_unused:UNUSED_PAD src0_sel:DWORD src1_sel:BYTE_3
	v_sub_u16_sdwa v181, v181, v182 dst_sel:DWORD dst_unused:UNUSED_PAD src0_sel:WORD_1 src1_sel:WORD_1
	v_or_b32_sdwa v179, v181, v179 dst_sel:WORD_1 dst_unused:UNUSED_PAD src0_sel:BYTE_0 src1_sel:DWORD
	v_ashrrev_i32_e32 v181, s22, v183
	v_ashrrev_i32_e32 v183, s19, v185
	v_lshlrev_b32_e32 v183, 2, v183
	v_or_b32_sdwa v184, v184, v186 dst_sel:DWORD dst_unused:UNUSED_PAD src0_sel:BYTE_0 src1_sel:DWORD
	v_and_b32_e32 v182, 0x3030303, v181
	v_bfe_u32 v181, v181, 24, 2
	v_and_b32_e32 v183, 0x4040404, v183
	v_or_b32_sdwa v179, v184, v179 dst_sel:DWORD dst_unused:UNUSED_PAD src0_sel:WORD_0 src1_sel:DWORD
	v_sub_u16_e32 v184, v182, v183
	v_sub_u16_sdwa v185, v182, v183 dst_sel:BYTE_1 dst_unused:UNUSED_PAD src0_sel:BYTE_1 src1_sel:BYTE_1
	v_sub_u16_sdwa v181, v181, v183 dst_sel:BYTE_1 dst_unused:UNUSED_PAD src0_sel:DWORD src1_sel:BYTE_3
	v_sub_u16_sdwa v182, v182, v183 dst_sel:DWORD dst_unused:UNUSED_PAD src0_sel:WORD_1 src1_sel:WORD_1
	v_or_b32_sdwa v184, v184, v185 dst_sel:DWORD dst_unused:UNUSED_PAD src0_sel:BYTE_0 src1_sel:DWORD
	v_or_b32_sdwa v181, v182, v181 dst_sel:WORD_1 dst_unused:UNUSED_PAD src0_sel:BYTE_0 src1_sel:DWORD
	ds_read2_b32 v[182:183], v119 offset0:2 offset1:3
	v_or_b32_sdwa v181, v184, v181 dst_sel:DWORD dst_unused:UNUSED_PAD src0_sel:WORD_0 src1_sel:DWORD
	v_add_u32_e32 v184, 0x4208, v190
	ds_read2_b32 v[184:185], v184 offset1:1
	s_waitcnt lgkmcnt(1)
	v_ashrrev_i32_e32 v182, s22, v182
	v_and_b32_e32 v186, 0x3030303, v182
	v_bfe_u32 v182, v182, 24, 2
	s_waitcnt lgkmcnt(0)
	v_ashrrev_i32_e32 v184, s19, v184
	v_lshlrev_b32_e32 v184, 2, v184
	v_and_b32_e32 v184, 0x4040404, v184
	v_ashrrev_i32_e32 v185, s19, v185
	v_sub_u16_e32 v187, v186, v184
	v_sub_u16_sdwa v188, v186, v184 dst_sel:BYTE_1 dst_unused:UNUSED_PAD src0_sel:BYTE_1 src1_sel:BYTE_1
	v_sub_u16_sdwa v182, v182, v184 dst_sel:BYTE_1 dst_unused:UNUSED_PAD src0_sel:DWORD src1_sel:BYTE_3
	v_sub_u16_sdwa v184, v186, v184 dst_sel:DWORD dst_unused:UNUSED_PAD src0_sel:WORD_1 src1_sel:WORD_1
	v_ashrrev_i32_e32 v183, s22, v183
	v_lshlrev_b32_e32 v185, 2, v185
	v_or_b32_sdwa v187, v187, v188 dst_sel:DWORD dst_unused:UNUSED_PAD src0_sel:BYTE_0 src1_sel:DWORD
	v_or_b32_sdwa v182, v184, v182 dst_sel:WORD_1 dst_unused:UNUSED_PAD src0_sel:BYTE_0 src1_sel:DWORD
	v_and_b32_e32 v184, 0x3030303, v183
	v_bfe_u32 v183, v183, 24, 2
	v_and_b32_e32 v185, 0x4040404, v185
	v_or_b32_sdwa v182, v187, v182 dst_sel:DWORD dst_unused:UNUSED_PAD src0_sel:WORD_0 src1_sel:DWORD
	v_sub_u16_e32 v186, v184, v185
	v_sub_u16_sdwa v187, v184, v185 dst_sel:BYTE_1 dst_unused:UNUSED_PAD src0_sel:BYTE_1 src1_sel:BYTE_1
	v_sub_u16_sdwa v183, v183, v185 dst_sel:BYTE_1 dst_unused:UNUSED_PAD src0_sel:DWORD src1_sel:BYTE_3
	v_sub_u16_sdwa v184, v184, v185 dst_sel:DWORD dst_unused:UNUSED_PAD src0_sel:WORD_1 src1_sel:WORD_1
	v_or_b32_sdwa v186, v186, v187 dst_sel:DWORD dst_unused:UNUSED_PAD src0_sel:BYTE_0 src1_sel:DWORD
	v_or_b32_sdwa v183, v184, v183 dst_sel:WORD_1 dst_unused:UNUSED_PAD src0_sel:BYTE_0 src1_sel:DWORD
	ds_read2_b32 v[184:185], v119 offset0:4 offset1:5
	v_or_b32_sdwa v183, v186, v183 dst_sel:DWORD dst_unused:UNUSED_PAD src0_sel:WORD_0 src1_sel:DWORD
	v_add_u32_e32 v186, 0x4210, v190
	ds_read2_b32 v[186:187], v186 offset1:1
	s_waitcnt lgkmcnt(1)
	v_ashrrev_i32_e32 v184, s22, v184
	v_and_b32_e32 v188, 0x3030303, v184
	v_bfe_u32 v184, v184, 24, 2
	s_waitcnt lgkmcnt(0)
	v_ashrrev_i32_e32 v186, s19, v186
	v_lshlrev_b32_e32 v186, 2, v186
	v_and_b32_e32 v186, 0x4040404, v186
	v_ashrrev_i32_e32 v187, s19, v187
	v_sub_u16_e32 v189, v188, v186
	v_sub_u16_sdwa v191, v188, v186 dst_sel:BYTE_1 dst_unused:UNUSED_PAD src0_sel:BYTE_1 src1_sel:BYTE_1
	v_sub_u16_sdwa v184, v184, v186 dst_sel:BYTE_1 dst_unused:UNUSED_PAD src0_sel:DWORD src1_sel:BYTE_3
	v_sub_u16_sdwa v186, v188, v186 dst_sel:DWORD dst_unused:UNUSED_PAD src0_sel:WORD_1 src1_sel:WORD_1
	v_ashrrev_i32_e32 v185, s22, v185
	v_lshlrev_b32_e32 v187, 2, v187
	v_or_b32_sdwa v189, v189, v191 dst_sel:DWORD dst_unused:UNUSED_PAD src0_sel:BYTE_0 src1_sel:DWORD
	v_or_b32_sdwa v184, v186, v184 dst_sel:WORD_1 dst_unused:UNUSED_PAD src0_sel:BYTE_0 src1_sel:DWORD
	v_and_b32_e32 v186, 0x3030303, v185
	v_bfe_u32 v185, v185, 24, 2
	v_and_b32_e32 v187, 0x4040404, v187
	v_or_b32_sdwa v184, v189, v184 dst_sel:DWORD dst_unused:UNUSED_PAD src0_sel:WORD_0 src1_sel:DWORD
	v_sub_u16_e32 v188, v186, v187
	v_sub_u16_sdwa v189, v186, v187 dst_sel:BYTE_1 dst_unused:UNUSED_PAD src0_sel:BYTE_1 src1_sel:BYTE_1
	v_sub_u16_sdwa v185, v185, v187 dst_sel:BYTE_1 dst_unused:UNUSED_PAD src0_sel:DWORD src1_sel:BYTE_3
	v_sub_u16_sdwa v186, v186, v187 dst_sel:DWORD dst_unused:UNUSED_PAD src0_sel:WORD_1 src1_sel:WORD_1
	v_or_b32_sdwa v188, v188, v189 dst_sel:DWORD dst_unused:UNUSED_PAD src0_sel:BYTE_0 src1_sel:DWORD
	v_or_b32_sdwa v185, v186, v185 dst_sel:WORD_1 dst_unused:UNUSED_PAD src0_sel:BYTE_0 src1_sel:DWORD
	v_add_u32_e32 v187, 0x4218, v190
	v_or_b32_sdwa v186, v188, v185 dst_sel:DWORD dst_unused:UNUSED_PAD src0_sel:WORD_0 src1_sel:DWORD
	ds_read2_b32 v[188:189], v119 offset0:6 offset1:7
	ds_read2_b32 v[190:191], v187 offset1:1
	s_waitcnt lgkmcnt(1)
	v_ashrrev_i32_e32 v119, s22, v188
	s_waitcnt lgkmcnt(0)
	v_ashrrev_i32_e32 v187, s19, v190
	v_lshlrev_b32_e32 v187, 2, v187
	v_and_b32_e32 v185, 0x3030303, v119
	v_bfe_u32 v119, v119, 24, 2
	v_and_b32_e32 v187, 0x4040404, v187
	v_sub_u16_e32 v188, v185, v187
	v_sub_u16_sdwa v190, v185, v187 dst_sel:BYTE_1 dst_unused:UNUSED_PAD src0_sel:BYTE_1 src1_sel:BYTE_1
	v_sub_u16_sdwa v119, v119, v187 dst_sel:BYTE_1 dst_unused:UNUSED_PAD src0_sel:DWORD src1_sel:BYTE_3
	v_sub_u16_sdwa v185, v185, v187 dst_sel:DWORD dst_unused:UNUSED_PAD src0_sel:WORD_1 src1_sel:WORD_1
	v_or_b32_sdwa v188, v188, v190 dst_sel:DWORD dst_unused:UNUSED_PAD src0_sel:BYTE_0 src1_sel:DWORD
	v_or_b32_sdwa v119, v185, v119 dst_sel:WORD_1 dst_unused:UNUSED_PAD src0_sel:BYTE_0 src1_sel:DWORD
	s_nop 0
	v_or_b32_sdwa v187, v188, v119 dst_sel:DWORD dst_unused:UNUSED_PAD src0_sel:WORD_0 src1_sel:DWORD
	v_ashrrev_i32_e32 v188, s19, v191
	v_ashrrev_i32_e32 v119, s22, v189
	v_lshlrev_b32_e32 v188, 2, v188
	v_and_b32_e32 v185, 0x3030303, v119
	v_bfe_u32 v119, v119, 24, 2
	v_and_b32_e32 v188, 0x4040404, v188
	v_sub_u16_e32 v189, v185, v188
	v_sub_u16_sdwa v190, v185, v188 dst_sel:BYTE_1 dst_unused:UNUSED_PAD src0_sel:BYTE_1 src1_sel:BYTE_1
	v_sub_u16_sdwa v119, v119, v188 dst_sel:BYTE_1 dst_unused:UNUSED_PAD src0_sel:DWORD src1_sel:BYTE_3
	v_sub_u16_sdwa v185, v185, v188 dst_sel:DWORD dst_unused:UNUSED_PAD src0_sel:WORD_1 src1_sel:WORD_1
	v_or_b32_sdwa v189, v189, v190 dst_sel:DWORD dst_unused:UNUSED_PAD src0_sel:BYTE_0 src1_sel:DWORD
	v_or_b32_sdwa v119, v185, v119 dst_sel:WORD_1 dst_unused:UNUSED_PAD src0_sel:BYTE_0 src1_sel:DWORD
	v_add_u32_e32 v185, s25, v133
	v_or_b32_sdwa v188, v189, v119 dst_sel:DWORD dst_unused:UNUSED_PAD src0_sel:WORD_0 src1_sel:DWORD
	v_add3_u32 v119, v145, s21, v118
	ds_read_b32 v185, v185
	ds_read_u16 v119, v119 offset:34546
	v_mov_b32_e32 v190, 0
	v_dot4c_i32_i8_e32 v190, v179, v4
	v_dot4c_i32_i8_e32 v190, v181, v5
	;; [unrolled: 1-line block ×3, first 2 shown]
	s_waitcnt lgkmcnt(0)
	v_lshrrev_b16_e32 v191, 8, v119
	v_bfe_i32 v189, v119, 0, 8
	v_mov_b32_e32 v119, 0
	v_dot4c_i32_i8_e32 v119, v184, v0
	v_dot4c_i32_i8_e32 v119, v186, v1
	;; [unrolled: 1-line block ×5, first 2 shown]
	v_bfe_i32 v191, v191, 0, 8
	v_mul_lo_u32 v190, v190, v189
	s_nop 0
	v_mad_u64_u32 v[192:193], s[26:27], v119, v191, v[190:191]
	v_cvt_f32_i32_e32 v190, v192
	v_mul_f32_e32 v119, v116, v185
	v_fmac_f32_e32 v87, v119, v190
	v_add_u32_e32 v119, s24, v135
	ds_read2_b32 v[192:193], v119 offset1:1
	s_waitcnt lgkmcnt(0)
	v_ashrrev_i32_e32 v190, s22, v192
	v_and_b32_e32 v192, 0x3030303, v190
	v_bfe_u32 v190, v190, 24, 2
	v_sub_u16_e32 v196, v192, v194
	v_sub_u16_sdwa v197, v192, v194 dst_sel:BYTE_1 dst_unused:UNUSED_PAD src0_sel:BYTE_1 src1_sel:BYTE_1
	v_sub_u16_sdwa v190, v190, v194 dst_sel:BYTE_1 dst_unused:UNUSED_PAD src0_sel:DWORD src1_sel:BYTE_3
	v_sub_u16_sdwa v192, v192, v194 dst_sel:DWORD dst_unused:UNUSED_PAD src0_sel:WORD_1 src1_sel:WORD_1
	v_ashrrev_i32_e32 v194, s19, v195
	v_or_b32_sdwa v190, v192, v190 dst_sel:WORD_1 dst_unused:UNUSED_PAD src0_sel:BYTE_0 src1_sel:DWORD
	v_ashrrev_i32_e32 v192, s22, v193
	v_lshlrev_b32_e32 v194, 2, v194
	v_or_b32_sdwa v196, v196, v197 dst_sel:DWORD dst_unused:UNUSED_PAD src0_sel:BYTE_0 src1_sel:DWORD
	v_and_b32_e32 v193, 0x3030303, v192
	v_bfe_u32 v192, v192, 24, 2
	v_and_b32_e32 v194, 0x4040404, v194
	v_or_b32_sdwa v190, v196, v190 dst_sel:DWORD dst_unused:UNUSED_PAD src0_sel:WORD_0 src1_sel:DWORD
	v_sub_u16_e32 v195, v193, v194
	v_sub_u16_sdwa v196, v193, v194 dst_sel:BYTE_1 dst_unused:UNUSED_PAD src0_sel:BYTE_1 src1_sel:BYTE_1
	v_sub_u16_sdwa v192, v192, v194 dst_sel:BYTE_1 dst_unused:UNUSED_PAD src0_sel:DWORD src1_sel:BYTE_3
	v_sub_u16_sdwa v193, v193, v194 dst_sel:DWORD dst_unused:UNUSED_PAD src0_sel:WORD_1 src1_sel:WORD_1
	v_or_b32_sdwa v195, v195, v196 dst_sel:DWORD dst_unused:UNUSED_PAD src0_sel:BYTE_0 src1_sel:DWORD
	v_or_b32_sdwa v192, v193, v192 dst_sel:WORD_1 dst_unused:UNUSED_PAD src0_sel:BYTE_0 src1_sel:DWORD
	v_add_u32_e32 v196, 0x4208, v200
	v_or_b32_sdwa v192, v195, v192 dst_sel:DWORD dst_unused:UNUSED_PAD src0_sel:WORD_0 src1_sel:DWORD
	ds_read2_b32 v[194:195], v119 offset0:2 offset1:3
	ds_read2_b32 v[196:197], v196 offset1:1
	s_waitcnt lgkmcnt(1)
	v_ashrrev_i32_e32 v193, s22, v194
	s_waitcnt lgkmcnt(0)
	v_ashrrev_i32_e32 v196, s19, v196
	v_lshlrev_b32_e32 v196, 2, v196
	v_and_b32_e32 v194, 0x3030303, v193
	v_bfe_u32 v193, v193, 24, 2
	v_and_b32_e32 v196, 0x4040404, v196
	v_sub_u16_e32 v198, v194, v196
	v_sub_u16_sdwa v199, v194, v196 dst_sel:BYTE_1 dst_unused:UNUSED_PAD src0_sel:BYTE_1 src1_sel:BYTE_1
	v_sub_u16_sdwa v193, v193, v196 dst_sel:BYTE_1 dst_unused:UNUSED_PAD src0_sel:DWORD src1_sel:BYTE_3
	v_sub_u16_sdwa v194, v194, v196 dst_sel:DWORD dst_unused:UNUSED_PAD src0_sel:WORD_1 src1_sel:WORD_1
	v_ashrrev_i32_e32 v196, s19, v197
	v_or_b32_sdwa v193, v194, v193 dst_sel:WORD_1 dst_unused:UNUSED_PAD src0_sel:BYTE_0 src1_sel:DWORD
	v_ashrrev_i32_e32 v194, s22, v195
	v_lshlrev_b32_e32 v196, 2, v196
	v_or_b32_sdwa v198, v198, v199 dst_sel:DWORD dst_unused:UNUSED_PAD src0_sel:BYTE_0 src1_sel:DWORD
	v_and_b32_e32 v195, 0x3030303, v194
	v_bfe_u32 v194, v194, 24, 2
	v_and_b32_e32 v196, 0x4040404, v196
	v_or_b32_sdwa v193, v198, v193 dst_sel:DWORD dst_unused:UNUSED_PAD src0_sel:WORD_0 src1_sel:DWORD
	v_sub_u16_e32 v197, v195, v196
	v_sub_u16_sdwa v198, v195, v196 dst_sel:BYTE_1 dst_unused:UNUSED_PAD src0_sel:BYTE_1 src1_sel:BYTE_1
	v_sub_u16_sdwa v194, v194, v196 dst_sel:BYTE_1 dst_unused:UNUSED_PAD src0_sel:DWORD src1_sel:BYTE_3
	v_sub_u16_sdwa v195, v195, v196 dst_sel:DWORD dst_unused:UNUSED_PAD src0_sel:WORD_1 src1_sel:WORD_1
	v_or_b32_sdwa v197, v197, v198 dst_sel:DWORD dst_unused:UNUSED_PAD src0_sel:BYTE_0 src1_sel:DWORD
	v_or_b32_sdwa v194, v195, v194 dst_sel:WORD_1 dst_unused:UNUSED_PAD src0_sel:BYTE_0 src1_sel:DWORD
	v_add_u32_e32 v198, 0x4210, v200
	v_or_b32_sdwa v194, v197, v194 dst_sel:DWORD dst_unused:UNUSED_PAD src0_sel:WORD_0 src1_sel:DWORD
	ds_read2_b32 v[196:197], v119 offset0:4 offset1:5
	ds_read2_b32 v[198:199], v198 offset1:1
	s_waitcnt lgkmcnt(1)
	v_ashrrev_i32_e32 v195, s22, v196
	s_waitcnt lgkmcnt(0)
	v_ashrrev_i32_e32 v198, s19, v198
	v_lshlrev_b32_e32 v198, 2, v198
	v_and_b32_e32 v196, 0x3030303, v195
	v_bfe_u32 v195, v195, 24, 2
	v_and_b32_e32 v198, 0x4040404, v198
	v_sub_u16_e32 v201, v196, v198
	v_sub_u16_sdwa v202, v196, v198 dst_sel:BYTE_1 dst_unused:UNUSED_PAD src0_sel:BYTE_1 src1_sel:BYTE_1
	v_sub_u16_sdwa v195, v195, v198 dst_sel:BYTE_1 dst_unused:UNUSED_PAD src0_sel:DWORD src1_sel:BYTE_3
	v_sub_u16_sdwa v196, v196, v198 dst_sel:DWORD dst_unused:UNUSED_PAD src0_sel:WORD_1 src1_sel:WORD_1
	v_ashrrev_i32_e32 v198, s19, v199
	v_or_b32_sdwa v195, v196, v195 dst_sel:WORD_1 dst_unused:UNUSED_PAD src0_sel:BYTE_0 src1_sel:DWORD
	v_ashrrev_i32_e32 v196, s22, v197
	v_lshlrev_b32_e32 v198, 2, v198
	v_or_b32_sdwa v201, v201, v202 dst_sel:DWORD dst_unused:UNUSED_PAD src0_sel:BYTE_0 src1_sel:DWORD
	v_and_b32_e32 v197, 0x3030303, v196
	v_bfe_u32 v196, v196, 24, 2
	v_and_b32_e32 v198, 0x4040404, v198
	v_or_b32_sdwa v195, v201, v195 dst_sel:DWORD dst_unused:UNUSED_PAD src0_sel:WORD_0 src1_sel:DWORD
	v_sub_u16_e32 v199, v197, v198
	v_sub_u16_sdwa v201, v197, v198 dst_sel:BYTE_1 dst_unused:UNUSED_PAD src0_sel:BYTE_1 src1_sel:BYTE_1
	v_sub_u16_sdwa v196, v196, v198 dst_sel:BYTE_1 dst_unused:UNUSED_PAD src0_sel:DWORD src1_sel:BYTE_3
	v_sub_u16_sdwa v197, v197, v198 dst_sel:DWORD dst_unused:UNUSED_PAD src0_sel:WORD_1 src1_sel:WORD_1
	v_or_b32_sdwa v199, v199, v201 dst_sel:DWORD dst_unused:UNUSED_PAD src0_sel:BYTE_0 src1_sel:DWORD
	v_or_b32_sdwa v196, v197, v196 dst_sel:WORD_1 dst_unused:UNUSED_PAD src0_sel:BYTE_0 src1_sel:DWORD
	s_nop 0
	v_or_b32_sdwa v197, v199, v196 dst_sel:DWORD dst_unused:UNUSED_PAD src0_sel:WORD_0 src1_sel:DWORD
	ds_read2_b32 v[198:199], v119 offset0:6 offset1:7
	s_waitcnt lgkmcnt(0)
	v_ashrrev_i32_e32 v119, s22, v198
	v_add_u32_e32 v198, 0x4218, v200
	ds_read2_b32 v[200:201], v198 offset1:1
	v_and_b32_e32 v196, 0x3030303, v119
	v_bfe_u32 v119, v119, 24, 2
	s_waitcnt lgkmcnt(0)
	v_ashrrev_i32_e32 v198, s19, v200
	v_lshlrev_b32_e32 v198, 2, v198
	v_and_b32_e32 v198, 0x4040404, v198
	v_sub_u16_e32 v200, v196, v198
	v_sub_u16_sdwa v202, v196, v198 dst_sel:BYTE_1 dst_unused:UNUSED_PAD src0_sel:BYTE_1 src1_sel:BYTE_1
	v_sub_u16_sdwa v119, v119, v198 dst_sel:BYTE_1 dst_unused:UNUSED_PAD src0_sel:DWORD src1_sel:BYTE_3
	v_sub_u16_sdwa v196, v196, v198 dst_sel:DWORD dst_unused:UNUSED_PAD src0_sel:WORD_1 src1_sel:WORD_1
	v_or_b32_sdwa v200, v200, v202 dst_sel:DWORD dst_unused:UNUSED_PAD src0_sel:BYTE_0 src1_sel:DWORD
	v_or_b32_sdwa v119, v196, v119 dst_sel:WORD_1 dst_unused:UNUSED_PAD src0_sel:BYTE_0 src1_sel:DWORD
	s_nop 0
	v_or_b32_sdwa v198, v200, v119 dst_sel:DWORD dst_unused:UNUSED_PAD src0_sel:WORD_0 src1_sel:DWORD
	v_ashrrev_i32_e32 v119, s22, v199
	v_ashrrev_i32_e32 v199, s19, v201
	v_lshlrev_b32_e32 v199, 2, v199
	v_and_b32_e32 v196, 0x3030303, v119
	v_bfe_u32 v119, v119, 24, 2
	v_and_b32_e32 v199, 0x4040404, v199
	v_sub_u16_e32 v200, v196, v199
	v_sub_u16_sdwa v201, v196, v199 dst_sel:BYTE_1 dst_unused:UNUSED_PAD src0_sel:BYTE_1 src1_sel:BYTE_1
	v_sub_u16_sdwa v119, v119, v199 dst_sel:BYTE_1 dst_unused:UNUSED_PAD src0_sel:DWORD src1_sel:BYTE_3
	v_sub_u16_sdwa v196, v196, v199 dst_sel:DWORD dst_unused:UNUSED_PAD src0_sel:WORD_1 src1_sel:WORD_1
	v_or_b32_sdwa v200, v200, v201 dst_sel:DWORD dst_unused:UNUSED_PAD src0_sel:BYTE_0 src1_sel:DWORD
	v_or_b32_sdwa v119, v196, v119 dst_sel:WORD_1 dst_unused:UNUSED_PAD src0_sel:BYTE_0 src1_sel:DWORD
	v_add_u32_e32 v196, s25, v136
	v_or_b32_sdwa v199, v200, v119 dst_sel:DWORD dst_unused:UNUSED_PAD src0_sel:WORD_0 src1_sel:DWORD
	v_add3_u32 v119, v147, s21, v118
	ds_read_b32 v196, v196
	ds_read_u16 v119, v119 offset:35570
	v_mov_b32_e32 v201, 0
	v_dot4c_i32_i8_e32 v201, v190, v4
	v_dot4c_i32_i8_e32 v201, v192, v5
	;; [unrolled: 1-line block ×3, first 2 shown]
	s_waitcnt lgkmcnt(0)
	v_lshrrev_b16_e32 v202, 8, v119
	v_bfe_i32 v200, v119, 0, 8
	v_mov_b32_e32 v119, 0
	v_dot4c_i32_i8_e32 v119, v195, v0
	v_dot4c_i32_i8_e32 v119, v197, v1
	;; [unrolled: 1-line block ×5, first 2 shown]
	v_bfe_i32 v202, v202, 0, 8
	v_mul_lo_u32 v204, v201, v200
	v_add3_u32 v118, v149, s21, v118
	v_mad_u64_u32 v[204:205], s[26:27], v119, v202, v[204:205]
	v_cvt_f32_i32_e32 v201, v204
	v_mul_f32_e32 v119, v116, v196
	s_mov_b32 s21, s20
	v_fmac_f32_e32 v85, v119, v201
	v_add_u32_e32 v119, s24, v138
	ds_read2_b32 v[204:205], v119 offset1:1
	s_waitcnt lgkmcnt(0)
	v_ashrrev_i32_e32 v201, s22, v204
	v_add_u32_e32 v204, 0x4200, v212
	ds_read2_b32 v[206:207], v204 offset1:1
	v_and_b32_e32 v203, 0x3030303, v201
	v_bfe_u32 v201, v201, 24, 2
	s_waitcnt lgkmcnt(0)
	v_ashrrev_i32_e32 v204, s19, v206
	v_lshlrev_b32_e32 v204, 2, v204
	v_and_b32_e32 v204, 0x4040404, v204
	v_sub_u16_e32 v206, v203, v204
	v_sub_u16_sdwa v208, v203, v204 dst_sel:BYTE_1 dst_unused:UNUSED_PAD src0_sel:BYTE_1 src1_sel:BYTE_1
	v_sub_u16_sdwa v201, v201, v204 dst_sel:BYTE_1 dst_unused:UNUSED_PAD src0_sel:DWORD src1_sel:BYTE_3
	v_sub_u16_sdwa v203, v203, v204 dst_sel:DWORD dst_unused:UNUSED_PAD src0_sel:WORD_1 src1_sel:WORD_1
	v_or_b32_sdwa v201, v203, v201 dst_sel:WORD_1 dst_unused:UNUSED_PAD src0_sel:BYTE_0 src1_sel:DWORD
	v_ashrrev_i32_e32 v203, s22, v205
	v_ashrrev_i32_e32 v205, s19, v207
	v_lshlrev_b32_e32 v205, 2, v205
	v_or_b32_sdwa v206, v206, v208 dst_sel:DWORD dst_unused:UNUSED_PAD src0_sel:BYTE_0 src1_sel:DWORD
	v_and_b32_e32 v204, 0x3030303, v203
	v_bfe_u32 v203, v203, 24, 2
	v_and_b32_e32 v205, 0x4040404, v205
	v_or_b32_sdwa v201, v206, v201 dst_sel:DWORD dst_unused:UNUSED_PAD src0_sel:WORD_0 src1_sel:DWORD
	v_sub_u16_e32 v206, v204, v205
	v_sub_u16_sdwa v207, v204, v205 dst_sel:BYTE_1 dst_unused:UNUSED_PAD src0_sel:BYTE_1 src1_sel:BYTE_1
	v_sub_u16_sdwa v203, v203, v205 dst_sel:BYTE_1 dst_unused:UNUSED_PAD src0_sel:DWORD src1_sel:BYTE_3
	v_sub_u16_sdwa v204, v204, v205 dst_sel:DWORD dst_unused:UNUSED_PAD src0_sel:WORD_1 src1_sel:WORD_1
	v_or_b32_sdwa v206, v206, v207 dst_sel:DWORD dst_unused:UNUSED_PAD src0_sel:BYTE_0 src1_sel:DWORD
	v_or_b32_sdwa v203, v204, v203 dst_sel:WORD_1 dst_unused:UNUSED_PAD src0_sel:BYTE_0 src1_sel:DWORD
	ds_read2_b32 v[204:205], v119 offset0:2 offset1:3
	v_or_b32_sdwa v203, v206, v203 dst_sel:DWORD dst_unused:UNUSED_PAD src0_sel:WORD_0 src1_sel:DWORD
	v_add_u32_e32 v206, 0x4208, v212
	ds_read2_b32 v[206:207], v206 offset1:1
	s_waitcnt lgkmcnt(1)
	v_ashrrev_i32_e32 v204, s22, v204
	v_and_b32_e32 v208, 0x3030303, v204
	v_bfe_u32 v204, v204, 24, 2
	s_waitcnt lgkmcnt(0)
	v_ashrrev_i32_e32 v206, s19, v206
	v_lshlrev_b32_e32 v206, 2, v206
	v_and_b32_e32 v206, 0x4040404, v206
	v_ashrrev_i32_e32 v207, s19, v207
	v_sub_u16_e32 v209, v208, v206
	v_sub_u16_sdwa v210, v208, v206 dst_sel:BYTE_1 dst_unused:UNUSED_PAD src0_sel:BYTE_1 src1_sel:BYTE_1
	v_sub_u16_sdwa v204, v204, v206 dst_sel:BYTE_1 dst_unused:UNUSED_PAD src0_sel:DWORD src1_sel:BYTE_3
	v_sub_u16_sdwa v206, v208, v206 dst_sel:DWORD dst_unused:UNUSED_PAD src0_sel:WORD_1 src1_sel:WORD_1
	v_ashrrev_i32_e32 v205, s22, v205
	v_lshlrev_b32_e32 v207, 2, v207
	v_or_b32_sdwa v209, v209, v210 dst_sel:DWORD dst_unused:UNUSED_PAD src0_sel:BYTE_0 src1_sel:DWORD
	v_or_b32_sdwa v204, v206, v204 dst_sel:WORD_1 dst_unused:UNUSED_PAD src0_sel:BYTE_0 src1_sel:DWORD
	v_and_b32_e32 v206, 0x3030303, v205
	v_bfe_u32 v205, v205, 24, 2
	v_and_b32_e32 v207, 0x4040404, v207
	v_or_b32_sdwa v204, v209, v204 dst_sel:DWORD dst_unused:UNUSED_PAD src0_sel:WORD_0 src1_sel:DWORD
	v_sub_u16_e32 v208, v206, v207
	v_sub_u16_sdwa v209, v206, v207 dst_sel:BYTE_1 dst_unused:UNUSED_PAD src0_sel:BYTE_1 src1_sel:BYTE_1
	v_sub_u16_sdwa v205, v205, v207 dst_sel:BYTE_1 dst_unused:UNUSED_PAD src0_sel:DWORD src1_sel:BYTE_3
	v_sub_u16_sdwa v206, v206, v207 dst_sel:DWORD dst_unused:UNUSED_PAD src0_sel:WORD_1 src1_sel:WORD_1
	v_or_b32_sdwa v208, v208, v209 dst_sel:DWORD dst_unused:UNUSED_PAD src0_sel:BYTE_0 src1_sel:DWORD
	v_or_b32_sdwa v205, v206, v205 dst_sel:WORD_1 dst_unused:UNUSED_PAD src0_sel:BYTE_0 src1_sel:DWORD
	ds_read2_b32 v[206:207], v119 offset0:4 offset1:5
	v_or_b32_sdwa v205, v208, v205 dst_sel:DWORD dst_unused:UNUSED_PAD src0_sel:WORD_0 src1_sel:DWORD
	v_add_u32_e32 v208, 0x4210, v212
	ds_read2_b32 v[208:209], v208 offset1:1
	s_waitcnt lgkmcnt(1)
	v_ashrrev_i32_e32 v206, s22, v206
	v_and_b32_e32 v210, 0x3030303, v206
	v_bfe_u32 v206, v206, 24, 2
	s_waitcnt lgkmcnt(0)
	v_ashrrev_i32_e32 v208, s19, v208
	v_lshlrev_b32_e32 v208, 2, v208
	v_and_b32_e32 v208, 0x4040404, v208
	v_ashrrev_i32_e32 v209, s19, v209
	v_sub_u16_e32 v211, v210, v208
	v_sub_u16_sdwa v213, v210, v208 dst_sel:BYTE_1 dst_unused:UNUSED_PAD src0_sel:BYTE_1 src1_sel:BYTE_1
	v_sub_u16_sdwa v206, v206, v208 dst_sel:BYTE_1 dst_unused:UNUSED_PAD src0_sel:DWORD src1_sel:BYTE_3
	v_sub_u16_sdwa v208, v210, v208 dst_sel:DWORD dst_unused:UNUSED_PAD src0_sel:WORD_1 src1_sel:WORD_1
	v_ashrrev_i32_e32 v207, s22, v207
	v_lshlrev_b32_e32 v209, 2, v209
	v_or_b32_sdwa v211, v211, v213 dst_sel:DWORD dst_unused:UNUSED_PAD src0_sel:BYTE_0 src1_sel:DWORD
	v_or_b32_sdwa v206, v208, v206 dst_sel:WORD_1 dst_unused:UNUSED_PAD src0_sel:BYTE_0 src1_sel:DWORD
	v_and_b32_e32 v208, 0x3030303, v207
	v_bfe_u32 v207, v207, 24, 2
	v_and_b32_e32 v209, 0x4040404, v209
	v_or_b32_sdwa v206, v211, v206 dst_sel:DWORD dst_unused:UNUSED_PAD src0_sel:WORD_0 src1_sel:DWORD
	v_sub_u16_e32 v210, v208, v209
	v_sub_u16_sdwa v211, v208, v209 dst_sel:BYTE_1 dst_unused:UNUSED_PAD src0_sel:BYTE_1 src1_sel:BYTE_1
	v_sub_u16_sdwa v207, v207, v209 dst_sel:BYTE_1 dst_unused:UNUSED_PAD src0_sel:DWORD src1_sel:BYTE_3
	v_sub_u16_sdwa v208, v208, v209 dst_sel:DWORD dst_unused:UNUSED_PAD src0_sel:WORD_1 src1_sel:WORD_1
	v_or_b32_sdwa v210, v210, v211 dst_sel:DWORD dst_unused:UNUSED_PAD src0_sel:BYTE_0 src1_sel:DWORD
	v_or_b32_sdwa v207, v208, v207 dst_sel:WORD_1 dst_unused:UNUSED_PAD src0_sel:BYTE_0 src1_sel:DWORD
	v_add_u32_e32 v209, 0x4218, v212
	v_or_b32_sdwa v208, v210, v207 dst_sel:DWORD dst_unused:UNUSED_PAD src0_sel:WORD_0 src1_sel:DWORD
	ds_read2_b32 v[210:211], v119 offset0:6 offset1:7
	ds_read2_b32 v[212:213], v209 offset1:1
	s_waitcnt lgkmcnt(1)
	v_ashrrev_i32_e32 v119, s22, v210
	s_waitcnt lgkmcnt(0)
	v_ashrrev_i32_e32 v209, s19, v212
	v_lshlrev_b32_e32 v209, 2, v209
	v_and_b32_e32 v207, 0x3030303, v119
	v_bfe_u32 v119, v119, 24, 2
	v_and_b32_e32 v209, 0x4040404, v209
	v_sub_u16_e32 v210, v207, v209
	v_sub_u16_sdwa v212, v207, v209 dst_sel:BYTE_1 dst_unused:UNUSED_PAD src0_sel:BYTE_1 src1_sel:BYTE_1
	v_sub_u16_sdwa v119, v119, v209 dst_sel:BYTE_1 dst_unused:UNUSED_PAD src0_sel:DWORD src1_sel:BYTE_3
	v_sub_u16_sdwa v207, v207, v209 dst_sel:DWORD dst_unused:UNUSED_PAD src0_sel:WORD_1 src1_sel:WORD_1
	v_or_b32_sdwa v210, v210, v212 dst_sel:DWORD dst_unused:UNUSED_PAD src0_sel:BYTE_0 src1_sel:DWORD
	v_or_b32_sdwa v119, v207, v119 dst_sel:WORD_1 dst_unused:UNUSED_PAD src0_sel:BYTE_0 src1_sel:DWORD
	s_nop 0
	v_or_b32_sdwa v209, v210, v119 dst_sel:DWORD dst_unused:UNUSED_PAD src0_sel:WORD_0 src1_sel:DWORD
	v_ashrrev_i32_e32 v210, s19, v213
	v_ashrrev_i32_e32 v119, s22, v211
	v_lshlrev_b32_e32 v210, 2, v210
	v_and_b32_e32 v207, 0x3030303, v119
	v_bfe_u32 v119, v119, 24, 2
	v_and_b32_e32 v210, 0x4040404, v210
	v_sub_u16_e32 v211, v207, v210
	v_sub_u16_sdwa v212, v207, v210 dst_sel:BYTE_1 dst_unused:UNUSED_PAD src0_sel:BYTE_1 src1_sel:BYTE_1
	v_sub_u16_sdwa v119, v119, v210 dst_sel:BYTE_1 dst_unused:UNUSED_PAD src0_sel:DWORD src1_sel:BYTE_3
	v_sub_u16_sdwa v207, v207, v210 dst_sel:DWORD dst_unused:UNUSED_PAD src0_sel:WORD_1 src1_sel:WORD_1
	v_or_b32_sdwa v211, v211, v212 dst_sel:DWORD dst_unused:UNUSED_PAD src0_sel:BYTE_0 src1_sel:DWORD
	v_or_b32_sdwa v119, v207, v119 dst_sel:WORD_1 dst_unused:UNUSED_PAD src0_sel:BYTE_0 src1_sel:DWORD
	s_add_i32 s19, s19, 1
	v_or_b32_sdwa v210, v211, v119 dst_sel:DWORD dst_unused:UNUSED_PAD src0_sel:WORD_0 src1_sel:DWORD
	v_add_u32_e32 v119, s25, v139
	ds_read_b32 v207, v119
	v_mov_b32_e32 v119, 0
	v_dot4c_i32_i8_e32 v119, v201, v4
	ds_read_u16 v4, v118 offset:36594
	v_dot4c_i32_i8_e32 v119, v203, v5
	v_dot4c_i32_i8_e32 v119, v204, v6
	v_mov_b32_e32 v6, 0
	v_dot4c_i32_i8_e32 v6, v206, v0
	v_dot4c_i32_i8_e32 v6, v208, v1
	;; [unrolled: 1-line block ×3, first 2 shown]
	s_waitcnt lgkmcnt(0)
	v_lshrrev_b16_e32 v5, 8, v4
	v_bfe_i32 v211, v4, 0, 8
	v_dot4c_i32_i8_e32 v6, v209, v2
	v_mul_lo_u32 v4, v119, v211
	v_dot4c_i32_i8_e32 v6, v210, v3
	v_bfe_i32 v212, v5, 0, 8
	v_mov_b32_e32 v118, 0
	s_cmp_lt_u32 s20, 30
	v_mad_u64_u32 v[0:1], s[22:23], v6, v212, v[4:5]
	v_cvt_f32_i32_e32 v0, v0
	v_mul_f32_e32 v1, v116, v207
	v_mov_b32_e32 v116, 0
	v_fmac_f32_e32 v81, v1, v0
	ds_read_b128 v[0:3], v167 offset:1024
	ds_read_b128 v[4:7], v167 offset:1040
	s_waitcnt lgkmcnt(1)
	v_dot4c_i32_i8_e32 v116, v169, v0
	v_dot4c_i32_i8_e32 v116, v170, v1
	s_waitcnt lgkmcnt(0)
	v_dot4c_i32_i8_e32 v118, v174, v4
	v_dot4c_i32_i8_e32 v116, v171, v2
	;; [unrolled: 1-line block ×6, first 2 shown]
	s_nop 0
	v_mul_lo_u32 v116, v116, v178
	s_nop 0
	v_mad_u64_u32 v[118:119], s[22:23], v118, v180, v[116:117]
	v_cvt_f32_i32_e32 v118, v118
	v_mul_f32_e32 v116, v173, v117
	v_fmac_f32_e32 v75, v116, v118
	v_mov_b32_e32 v116, 0
	v_dot4c_i32_i8_e32 v116, v179, v0
	v_mov_b32_e32 v118, 0
	v_dot4c_i32_i8_e32 v116, v181, v1
	v_dot4c_i32_i8_e32 v118, v184, v4
	;; [unrolled: 1-line block ×7, first 2 shown]
	s_nop 0
	v_mul_lo_u32 v116, v116, v189
	s_nop 0
	v_mad_u64_u32 v[118:119], s[22:23], v118, v191, v[116:117]
	v_cvt_f32_i32_e32 v118, v118
	v_mul_f32_e32 v116, v185, v117
	v_fmac_f32_e32 v71, v116, v118
	v_mov_b32_e32 v116, 0
	v_dot4c_i32_i8_e32 v116, v190, v0
	v_mov_b32_e32 v118, 0
	v_dot4c_i32_i8_e32 v116, v192, v1
	v_dot4c_i32_i8_e32 v118, v195, v4
	;; [unrolled: 1-line block ×7, first 2 shown]
	s_nop 0
	v_mul_lo_u32 v116, v116, v200
	s_nop 0
	v_mad_u64_u32 v[118:119], s[22:23], v118, v202, v[116:117]
	v_cvt_f32_i32_e32 v118, v118
	v_mul_f32_e32 v116, v196, v117
	v_mov_b32_e32 v119, 0
	v_fmac_f32_e32 v69, v116, v118
	v_mov_b32_e32 v116, 0
	v_dot4c_i32_i8_e32 v116, v201, v0
	v_dot4c_i32_i8_e32 v116, v203, v1
	v_mov_b32_e32 v1, 0
	v_dot4c_i32_i8_e32 v1, v206, v4
	v_dot4c_i32_i8_e32 v116, v204, v2
	;; [unrolled: 1-line block ×6, first 2 shown]
	v_mov_b32_e32 v118, 0
	v_mul_lo_u32 v0, v116, v211
	s_nop 0
	v_mad_u64_u32 v[0:1], s[22:23], v1, v212, v[0:1]
	v_cvt_f32_i32_e32 v0, v0
	v_mul_f32_e32 v1, v207, v117
	v_fmac_f32_e32 v67, v1, v0
	ds_read2_b32 v[116:117], v168 offset0:64 offset1:96
	ds_read_b128 v[0:3], v167 offset:2048
	ds_read_b128 v[4:7], v167 offset:2064
	s_waitcnt lgkmcnt(1)
	v_dot4c_i32_i8_e32 v118, v169, v0
	v_dot4c_i32_i8_e32 v118, v170, v1
	s_waitcnt lgkmcnt(0)
	v_dot4c_i32_i8_e32 v119, v174, v4
	v_dot4c_i32_i8_e32 v118, v171, v2
	;; [unrolled: 1-line block ×6, first 2 shown]
	s_nop 0
	v_mul_lo_u32 v118, v118, v178
	s_nop 0
	v_mad_u64_u32 v[118:119], s[22:23], v119, v180, v[118:119]
	v_cvt_f32_i32_e32 v118, v118
	v_mul_f32_e32 v119, v173, v116
	v_fmac_f32_e32 v65, v119, v118
	v_mov_b32_e32 v118, 0
	v_dot4c_i32_i8_e32 v118, v179, v0
	v_mov_b32_e32 v119, 0
	v_dot4c_i32_i8_e32 v118, v181, v1
	v_dot4c_i32_i8_e32 v119, v184, v4
	;; [unrolled: 1-line block ×7, first 2 shown]
	s_nop 0
	v_mul_lo_u32 v118, v118, v189
	s_nop 0
	v_mad_u64_u32 v[118:119], s[22:23], v119, v191, v[118:119]
	v_cvt_f32_i32_e32 v118, v118
	v_mul_f32_e32 v119, v185, v116
	v_fmac_f32_e32 v61, v119, v118
	v_mov_b32_e32 v118, 0
	v_dot4c_i32_i8_e32 v118, v190, v0
	v_mov_b32_e32 v119, 0
	v_dot4c_i32_i8_e32 v118, v192, v1
	v_dot4c_i32_i8_e32 v119, v195, v4
	;; [unrolled: 1-line block ×7, first 2 shown]
	s_nop 0
	v_mul_lo_u32 v118, v118, v200
	s_nop 0
	v_mad_u64_u32 v[118:119], s[22:23], v119, v202, v[118:119]
	v_cvt_f32_i32_e32 v118, v118
	v_mul_f32_e32 v119, v196, v116
	v_fmac_f32_e32 v57, v119, v118
	v_mov_b32_e32 v118, 0
	v_dot4c_i32_i8_e32 v118, v201, v0
	v_dot4c_i32_i8_e32 v118, v203, v1
	v_mov_b32_e32 v1, 0
	v_dot4c_i32_i8_e32 v1, v206, v4
	v_dot4c_i32_i8_e32 v118, v204, v2
	;; [unrolled: 1-line block ×6, first 2 shown]
	s_nop 0
	v_mul_lo_u32 v0, v118, v211
	v_mov_b32_e32 v118, 0
	v_mad_u64_u32 v[0:1], s[22:23], v1, v212, v[0:1]
	v_cvt_f32_i32_e32 v0, v0
	v_mul_f32_e32 v1, v207, v116
	v_mov_b32_e32 v116, 0
	v_fmac_f32_e32 v55, v1, v0
	ds_read_b128 v[0:3], v167 offset:3072
	ds_read_b128 v[4:7], v167 offset:3088
	s_waitcnt lgkmcnt(1)
	v_dot4c_i32_i8_e32 v116, v169, v0
	v_dot4c_i32_i8_e32 v116, v170, v1
	s_waitcnt lgkmcnt(0)
	v_dot4c_i32_i8_e32 v118, v174, v4
	v_dot4c_i32_i8_e32 v116, v171, v2
	;; [unrolled: 1-line block ×6, first 2 shown]
	s_nop 0
	v_mul_lo_u32 v116, v116, v178
	s_nop 0
	v_mad_u64_u32 v[118:119], s[22:23], v118, v180, v[116:117]
	v_cvt_f32_i32_e32 v118, v118
	v_mul_f32_e32 v116, v173, v117
	v_fmac_f32_e32 v53, v116, v118
	v_mov_b32_e32 v116, 0
	v_dot4c_i32_i8_e32 v116, v179, v0
	v_mov_b32_e32 v118, 0
	v_dot4c_i32_i8_e32 v116, v181, v1
	v_dot4c_i32_i8_e32 v118, v184, v4
	;; [unrolled: 1-line block ×7, first 2 shown]
	s_nop 0
	v_mul_lo_u32 v116, v116, v189
	s_nop 0
	v_mad_u64_u32 v[118:119], s[22:23], v118, v191, v[116:117]
	v_cvt_f32_i32_e32 v118, v118
	v_mul_f32_e32 v116, v185, v117
	v_fmac_f32_e32 v51, v116, v118
	v_mov_b32_e32 v116, 0
	v_dot4c_i32_i8_e32 v116, v190, v0
	v_mov_b32_e32 v118, 0
	v_dot4c_i32_i8_e32 v116, v192, v1
	v_dot4c_i32_i8_e32 v118, v195, v4
	;; [unrolled: 1-line block ×7, first 2 shown]
	s_nop 0
	v_mul_lo_u32 v116, v116, v200
	s_nop 0
	v_mad_u64_u32 v[118:119], s[22:23], v118, v202, v[116:117]
	v_cvt_f32_i32_e32 v118, v118
	v_mul_f32_e32 v116, v196, v117
	v_mov_b32_e32 v119, 0
	v_fmac_f32_e32 v49, v116, v118
	v_mov_b32_e32 v116, 0
	v_dot4c_i32_i8_e32 v116, v201, v0
	v_dot4c_i32_i8_e32 v116, v203, v1
	v_mov_b32_e32 v1, 0
	v_dot4c_i32_i8_e32 v1, v206, v4
	v_dot4c_i32_i8_e32 v116, v204, v2
	;; [unrolled: 1-line block ×6, first 2 shown]
	v_mov_b32_e32 v118, 0
	v_mul_lo_u32 v0, v116, v211
	s_nop 0
	v_mad_u64_u32 v[0:1], s[22:23], v1, v212, v[0:1]
	v_cvt_f32_i32_e32 v0, v0
	v_mul_f32_e32 v1, v207, v117
	v_fmac_f32_e32 v47, v1, v0
	ds_read2_b32 v[116:117], v168 offset0:128 offset1:160
	ds_read_b128 v[0:3], v167 offset:4096
	ds_read_b128 v[4:7], v167 offset:4112
	s_waitcnt lgkmcnt(1)
	v_dot4c_i32_i8_e32 v118, v169, v0
	v_dot4c_i32_i8_e32 v118, v170, v1
	s_waitcnt lgkmcnt(0)
	v_dot4c_i32_i8_e32 v119, v174, v4
	v_dot4c_i32_i8_e32 v118, v171, v2
	;; [unrolled: 1-line block ×6, first 2 shown]
	s_nop 0
	v_mul_lo_u32 v118, v118, v178
	s_nop 0
	v_mad_u64_u32 v[118:119], s[22:23], v119, v180, v[118:119]
	v_cvt_f32_i32_e32 v118, v118
	v_mul_f32_e32 v119, v173, v116
	v_fmac_f32_e32 v45, v119, v118
	v_mov_b32_e32 v118, 0
	v_dot4c_i32_i8_e32 v118, v179, v0
	v_mov_b32_e32 v119, 0
	v_dot4c_i32_i8_e32 v118, v181, v1
	v_dot4c_i32_i8_e32 v119, v184, v4
	;; [unrolled: 1-line block ×7, first 2 shown]
	s_nop 0
	v_mul_lo_u32 v118, v118, v189
	s_nop 0
	v_mad_u64_u32 v[118:119], s[22:23], v119, v191, v[118:119]
	v_cvt_f32_i32_e32 v118, v118
	v_mul_f32_e32 v119, v185, v116
	v_fmac_f32_e32 v43, v119, v118
	v_mov_b32_e32 v118, 0
	v_dot4c_i32_i8_e32 v118, v190, v0
	v_mov_b32_e32 v119, 0
	v_dot4c_i32_i8_e32 v118, v192, v1
	v_dot4c_i32_i8_e32 v119, v195, v4
	;; [unrolled: 1-line block ×7, first 2 shown]
	s_nop 0
	v_mul_lo_u32 v118, v118, v200
	s_nop 0
	v_mad_u64_u32 v[118:119], s[22:23], v119, v202, v[118:119]
	v_cvt_f32_i32_e32 v118, v118
	v_mul_f32_e32 v119, v196, v116
	v_fmac_f32_e32 v41, v119, v118
	v_mov_b32_e32 v118, 0
	v_dot4c_i32_i8_e32 v118, v201, v0
	v_dot4c_i32_i8_e32 v118, v203, v1
	v_mov_b32_e32 v1, 0
	v_dot4c_i32_i8_e32 v1, v206, v4
	v_dot4c_i32_i8_e32 v118, v204, v2
	;; [unrolled: 1-line block ×6, first 2 shown]
	s_nop 0
	v_mul_lo_u32 v0, v118, v211
	v_mov_b32_e32 v118, 0
	v_mad_u64_u32 v[0:1], s[22:23], v1, v212, v[0:1]
	v_cvt_f32_i32_e32 v0, v0
	v_mul_f32_e32 v1, v207, v116
	v_mov_b32_e32 v116, 0
	v_fmac_f32_e32 v39, v1, v0
	ds_read_b128 v[0:3], v167 offset:5120
	ds_read_b128 v[4:7], v167 offset:5136
	s_waitcnt lgkmcnt(1)
	v_dot4c_i32_i8_e32 v116, v169, v0
	v_dot4c_i32_i8_e32 v116, v170, v1
	s_waitcnt lgkmcnt(0)
	v_dot4c_i32_i8_e32 v118, v174, v4
	v_dot4c_i32_i8_e32 v116, v171, v2
	;; [unrolled: 1-line block ×6, first 2 shown]
	s_nop 0
	v_mul_lo_u32 v116, v116, v178
	s_nop 0
	v_mad_u64_u32 v[118:119], s[22:23], v118, v180, v[116:117]
	v_cvt_f32_i32_e32 v118, v118
	v_mul_f32_e32 v116, v173, v117
	v_fmac_f32_e32 v35, v116, v118
	v_mov_b32_e32 v116, 0
	v_dot4c_i32_i8_e32 v116, v179, v0
	v_mov_b32_e32 v118, 0
	v_dot4c_i32_i8_e32 v116, v181, v1
	v_dot4c_i32_i8_e32 v118, v184, v4
	;; [unrolled: 1-line block ×7, first 2 shown]
	s_nop 0
	v_mul_lo_u32 v116, v116, v189
	s_nop 0
	v_mad_u64_u32 v[118:119], s[22:23], v118, v191, v[116:117]
	v_cvt_f32_i32_e32 v118, v118
	v_mul_f32_e32 v116, v185, v117
	v_fmac_f32_e32 v31, v116, v118
	v_mov_b32_e32 v116, 0
	v_dot4c_i32_i8_e32 v116, v190, v0
	v_mov_b32_e32 v118, 0
	v_dot4c_i32_i8_e32 v116, v192, v1
	v_dot4c_i32_i8_e32 v118, v195, v4
	;; [unrolled: 1-line block ×7, first 2 shown]
	s_nop 0
	v_mul_lo_u32 v116, v116, v200
	s_nop 0
	v_mad_u64_u32 v[118:119], s[22:23], v118, v202, v[116:117]
	v_cvt_f32_i32_e32 v118, v118
	v_mul_f32_e32 v116, v196, v117
	v_mov_b32_e32 v119, 0
	v_fmac_f32_e32 v29, v116, v118
	v_mov_b32_e32 v116, 0
	v_dot4c_i32_i8_e32 v116, v201, v0
	v_dot4c_i32_i8_e32 v116, v203, v1
	v_mov_b32_e32 v1, 0
	v_dot4c_i32_i8_e32 v1, v206, v4
	v_dot4c_i32_i8_e32 v116, v204, v2
	;; [unrolled: 1-line block ×6, first 2 shown]
	v_mov_b32_e32 v118, 0
	v_mul_lo_u32 v0, v116, v211
	s_nop 0
	v_mad_u64_u32 v[0:1], s[22:23], v1, v212, v[0:1]
	v_cvt_f32_i32_e32 v0, v0
	v_mul_f32_e32 v1, v207, v117
	v_fmac_f32_e32 v27, v1, v0
	ds_read2_b32 v[116:117], v168 offset0:192 offset1:224
	ds_read_b128 v[4:7], v167 offset:6144
	ds_read_b128 v[0:3], v167 offset:6160
	v_add_u32_e32 v168, 4, v168
	s_waitcnt lgkmcnt(1)
	v_dot4c_i32_i8_e32 v118, v169, v4
	v_dot4c_i32_i8_e32 v118, v170, v5
	s_waitcnt lgkmcnt(0)
	v_dot4c_i32_i8_e32 v119, v174, v0
	v_dot4c_i32_i8_e32 v118, v171, v6
	v_dot4c_i32_i8_e32 v119, v175, v1
	v_dot4c_i32_i8_e32 v118, v172, v7
	v_dot4c_i32_i8_e32 v119, v176, v2
	v_dot4c_i32_i8_e32 v119, v177, v3
	s_nop 0
	v_mul_lo_u32 v118, v118, v178
	s_nop 0
	v_mad_u64_u32 v[118:119], s[22:23], v119, v180, v[118:119]
	v_cvt_f32_i32_e32 v118, v118
	v_mul_f32_e32 v119, v173, v116
	v_fmac_f32_e32 v25, v119, v118
	v_mov_b32_e32 v118, 0
	v_dot4c_i32_i8_e32 v118, v179, v4
	v_mov_b32_e32 v119, 0
	v_dot4c_i32_i8_e32 v118, v181, v5
	v_dot4c_i32_i8_e32 v119, v184, v0
	;; [unrolled: 1-line block ×7, first 2 shown]
	s_nop 0
	v_mul_lo_u32 v118, v118, v189
	s_nop 0
	v_mad_u64_u32 v[118:119], s[22:23], v119, v191, v[118:119]
	v_cvt_f32_i32_e32 v118, v118
	v_mul_f32_e32 v119, v185, v116
	v_fmac_f32_e32 v23, v119, v118
	v_mov_b32_e32 v118, 0
	v_dot4c_i32_i8_e32 v118, v190, v4
	v_mov_b32_e32 v119, 0
	v_dot4c_i32_i8_e32 v118, v192, v5
	v_dot4c_i32_i8_e32 v119, v195, v0
	;; [unrolled: 1-line block ×7, first 2 shown]
	s_nop 0
	v_mul_lo_u32 v118, v118, v200
	s_nop 0
	v_mad_u64_u32 v[118:119], s[22:23], v119, v202, v[118:119]
	v_cvt_f32_i32_e32 v118, v118
	v_mul_f32_e32 v119, v196, v116
	v_fmac_f32_e32 v21, v119, v118
	v_mov_b32_e32 v118, 0
	v_dot4c_i32_i8_e32 v118, v201, v4
	v_dot4c_i32_i8_e32 v118, v203, v5
	v_mov_b32_e32 v5, 0
	v_dot4c_i32_i8_e32 v5, v206, v0
	v_dot4c_i32_i8_e32 v118, v204, v6
	;; [unrolled: 1-line block ×6, first 2 shown]
	s_nop 0
	v_mul_lo_u32 v4, v118, v211
	v_mov_b32_e32 v118, 0
	v_mad_u64_u32 v[0:1], s[22:23], v5, v212, v[4:5]
	v_cvt_f32_i32_e32 v0, v0
	v_mul_f32_e32 v1, v207, v116
	v_mov_b32_e32 v116, 0
	v_fmac_f32_e32 v19, v1, v0
	ds_read_b128 v[0:3], v167 offset:7168
	ds_read_b128 v[4:7], v167 offset:7184
	v_add_u32_e32 v167, 32, v167
	s_waitcnt lgkmcnt(1)
	v_dot4c_i32_i8_e32 v116, v169, v0
	v_dot4c_i32_i8_e32 v116, v170, v1
	s_waitcnt lgkmcnt(0)
	v_dot4c_i32_i8_e32 v118, v174, v4
	v_dot4c_i32_i8_e32 v116, v171, v2
	;; [unrolled: 1-line block ×6, first 2 shown]
	s_nop 0
	v_mul_lo_u32 v116, v116, v178
	s_nop 0
	v_mad_u64_u32 v[118:119], s[22:23], v118, v180, v[116:117]
	v_cvt_f32_i32_e32 v118, v118
	v_mul_f32_e32 v116, v173, v117
	v_fmac_f32_e32 v17, v116, v118
	v_mov_b32_e32 v116, 0
	v_dot4c_i32_i8_e32 v116, v179, v0
	v_mov_b32_e32 v118, 0
	v_dot4c_i32_i8_e32 v116, v181, v1
	v_dot4c_i32_i8_e32 v118, v184, v4
	;; [unrolled: 1-line block ×7, first 2 shown]
	s_nop 0
	v_mul_lo_u32 v116, v116, v189
	s_nop 0
	v_mad_u64_u32 v[118:119], s[22:23], v118, v191, v[116:117]
	v_cvt_f32_i32_e32 v118, v118
	v_mul_f32_e32 v116, v185, v117
	v_fmac_f32_e32 v15, v116, v118
	v_mov_b32_e32 v116, 0
	v_dot4c_i32_i8_e32 v116, v190, v0
	v_mov_b32_e32 v118, 0
	v_dot4c_i32_i8_e32 v116, v192, v1
	v_dot4c_i32_i8_e32 v118, v195, v4
	;; [unrolled: 1-line block ×7, first 2 shown]
	s_nop 0
	v_mul_lo_u32 v116, v116, v200
	s_nop 0
	v_mad_u64_u32 v[118:119], s[22:23], v118, v202, v[116:117]
	v_cvt_f32_i32_e32 v118, v118
	v_mul_f32_e32 v116, v196, v117
	v_fmac_f32_e32 v13, v116, v118
	v_mov_b32_e32 v116, 0
	v_dot4c_i32_i8_e32 v116, v201, v0
	v_dot4c_i32_i8_e32 v116, v203, v1
	v_mov_b32_e32 v1, 0
	v_dot4c_i32_i8_e32 v1, v206, v4
	v_dot4c_i32_i8_e32 v116, v204, v2
	;; [unrolled: 1-line block ×6, first 2 shown]
	s_nop 0
	v_mul_lo_u32 v0, v116, v211
	s_nop 0
	v_mad_u64_u32 v[0:1], s[22:23], v1, v212, v[0:1]
	v_cvt_f32_i32_e32 v0, v0
	v_mul_f32_e32 v1, v207, v117
	v_fmac_f32_e32 v9, v1, v0
	s_cbranch_scc1 .LBB150_14
; %bb.15:                               ;   in Loop: Header=BB150_6 Depth=1
	s_barrier
	s_branch .LBB150_5
.LBB150_16:
	v_mov_b32_e32 v1, v37
.LBB150_17:
	v_cmp_gt_u32_e32 vcc, s10, v63
	s_and_saveexec_b64 s[0:1], vcc
	s_cbranch_execz .LBB150_68
; %bb.18:
	v_add_u32_e32 v0, s6, v33
	v_mul_lo_u32 v5, v63, s14
	v_cmp_gt_u32_e32 vcc, s14, v0
	s_and_saveexec_b64 s[0:1], vcc
	s_cbranch_execz .LBB150_20
; %bb.19:
	v_cvt_f16_f32_e32 v4, v105
	v_add_u32_e32 v2, v0, v5
	v_mov_b32_e32 v3, 0
	s_waitcnt lgkmcnt(0)
	v_lshl_add_u64 v[2:3], v[2:3], 1, s[12:13]
	global_store_short v[2:3], v4, off
.LBB150_20:
	s_or_b64 exec, exec, s[0:1]
	v_add_u32_e32 v2, 32, v0
	v_cmp_gt_u32_e64 s[0:1], s14, v2
	s_and_saveexec_b64 s[2:3], s[0:1]
	s_cbranch_execz .LBB150_22
; %bb.21:
	v_cvt_f16_f32_e32 v3, v87
	v_add_u32_e32 v6, v2, v5
	v_mov_b32_e32 v7, 0
	s_waitcnt lgkmcnt(0)
	v_lshl_add_u64 v[6:7], v[6:7], 1, s[12:13]
	global_store_short v[6:7], v3, off
.LBB150_22:
	s_or_b64 exec, exec, s[2:3]
	v_add_u32_e32 v3, 64, v0
	v_cmp_gt_u32_e64 s[2:3], s14, v3
	s_and_saveexec_b64 s[4:5], s[2:3]
	;; [unrolled: 13-line block ×3, first 2 shown]
	s_cbranch_execz .LBB150_26
; %bb.25:
	v_cvt_f16_f32_e32 v8, v81
	v_add_u32_e32 v6, v4, v5
	v_mov_b32_e32 v7, 0
	s_waitcnt lgkmcnt(0)
	v_lshl_add_u64 v[6:7], v[6:7], 1, s[12:13]
	global_store_short v[6:7], v8, off
.LBB150_26:
	s_or_b64 exec, exec, s[6:7]
	v_add3_u32 v5, v1, s15, 8
	v_cmp_gt_u32_e64 s[6:7], s10, v5
	s_and_b64 exec, exec, s[6:7]
	s_cbranch_execz .LBB150_68
; %bb.27:
	v_mul_lo_u32 v5, v5, s14
	s_and_saveexec_b64 s[6:7], vcc
	s_cbranch_execnz .LBB150_69
; %bb.28:
	s_or_b64 exec, exec, s[6:7]
	s_and_saveexec_b64 s[6:7], s[0:1]
	s_cbranch_execnz .LBB150_70
.LBB150_29:
	s_or_b64 exec, exec, s[6:7]
	s_and_saveexec_b64 s[6:7], s[2:3]
	s_cbranch_execnz .LBB150_71
.LBB150_30:
	s_or_b64 exec, exec, s[6:7]
	s_and_saveexec_b64 s[6:7], s[4:5]
	s_cbranch_execz .LBB150_32
.LBB150_31:
	v_cvt_f16_f32_e32 v8, v67
	v_add_u32_e32 v6, v5, v4
	v_mov_b32_e32 v7, 0
	s_waitcnt lgkmcnt(0)
	v_lshl_add_u64 v[6:7], v[6:7], 1, s[12:13]
	global_store_short v[6:7], v8, off
.LBB150_32:
	s_or_b64 exec, exec, s[6:7]
	v_add3_u32 v5, v1, s15, 16
	v_cmp_gt_u32_e64 s[6:7], s10, v5
	s_and_b64 exec, exec, s[6:7]
	s_cbranch_execz .LBB150_68
; %bb.33:
	v_mul_lo_u32 v5, v5, s14
	s_and_saveexec_b64 s[6:7], vcc
	s_cbranch_execnz .LBB150_72
; %bb.34:
	s_or_b64 exec, exec, s[6:7]
	s_and_saveexec_b64 s[6:7], s[0:1]
	s_cbranch_execnz .LBB150_73
.LBB150_35:
	s_or_b64 exec, exec, s[6:7]
	s_and_saveexec_b64 s[6:7], s[2:3]
	s_cbranch_execnz .LBB150_74
.LBB150_36:
	s_or_b64 exec, exec, s[6:7]
	s_and_saveexec_b64 s[6:7], s[4:5]
	s_cbranch_execz .LBB150_38
.LBB150_37:
	v_cvt_f16_f32_e32 v8, v55
	v_add_u32_e32 v6, v5, v4
	v_mov_b32_e32 v7, 0
	s_waitcnt lgkmcnt(0)
	v_lshl_add_u64 v[6:7], v[6:7], 1, s[12:13]
	global_store_short v[6:7], v8, off
.LBB150_38:
	s_or_b64 exec, exec, s[6:7]
	v_add3_u32 v5, v1, s15, 24
	v_cmp_gt_u32_e64 s[6:7], s10, v5
	s_and_b64 exec, exec, s[6:7]
	s_cbranch_execz .LBB150_68
; %bb.39:
	v_mul_lo_u32 v5, v5, s14
	s_and_saveexec_b64 s[6:7], vcc
	s_cbranch_execnz .LBB150_75
; %bb.40:
	s_or_b64 exec, exec, s[6:7]
	s_and_saveexec_b64 s[6:7], s[0:1]
	s_cbranch_execnz .LBB150_76
.LBB150_41:
	s_or_b64 exec, exec, s[6:7]
	s_and_saveexec_b64 s[6:7], s[2:3]
	s_cbranch_execnz .LBB150_77
.LBB150_42:
	s_or_b64 exec, exec, s[6:7]
	s_and_saveexec_b64 s[6:7], s[4:5]
	s_cbranch_execz .LBB150_44
.LBB150_43:
	v_cvt_f16_f32_e32 v8, v47
	v_add_u32_e32 v6, v5, v4
	v_mov_b32_e32 v7, 0
	s_waitcnt lgkmcnt(0)
	v_lshl_add_u64 v[6:7], v[6:7], 1, s[12:13]
	global_store_short v[6:7], v8, off
.LBB150_44:
	s_or_b64 exec, exec, s[6:7]
	v_add3_u32 v5, v1, s15, 32
	v_cmp_gt_u32_e64 s[6:7], s10, v5
	s_and_b64 exec, exec, s[6:7]
	s_cbranch_execz .LBB150_68
; %bb.45:
	v_mul_lo_u32 v5, v5, s14
	s_and_saveexec_b64 s[6:7], vcc
	s_cbranch_execnz .LBB150_78
; %bb.46:
	s_or_b64 exec, exec, s[6:7]
	s_and_saveexec_b64 s[6:7], s[0:1]
	s_cbranch_execnz .LBB150_79
.LBB150_47:
	s_or_b64 exec, exec, s[6:7]
	s_and_saveexec_b64 s[6:7], s[2:3]
	s_cbranch_execnz .LBB150_80
.LBB150_48:
	s_or_b64 exec, exec, s[6:7]
	s_and_saveexec_b64 s[6:7], s[4:5]
	s_cbranch_execz .LBB150_50
.LBB150_49:
	v_cvt_f16_f32_e32 v8, v39
	v_add_u32_e32 v6, v5, v4
	v_mov_b32_e32 v7, 0
	s_waitcnt lgkmcnt(0)
	v_lshl_add_u64 v[6:7], v[6:7], 1, s[12:13]
	global_store_short v[6:7], v8, off
.LBB150_50:
	s_or_b64 exec, exec, s[6:7]
	v_add3_u32 v5, v1, s15, 40
	v_cmp_gt_u32_e64 s[6:7], s10, v5
	s_and_b64 exec, exec, s[6:7]
	s_cbranch_execz .LBB150_68
; %bb.51:
	v_mul_lo_u32 v5, v5, s14
	s_and_saveexec_b64 s[6:7], vcc
	s_cbranch_execnz .LBB150_81
; %bb.52:
	s_or_b64 exec, exec, s[6:7]
	s_and_saveexec_b64 s[6:7], s[0:1]
	s_cbranch_execnz .LBB150_82
.LBB150_53:
	s_or_b64 exec, exec, s[6:7]
	s_and_saveexec_b64 s[6:7], s[2:3]
	s_cbranch_execnz .LBB150_83
.LBB150_54:
	s_or_b64 exec, exec, s[6:7]
	s_and_saveexec_b64 s[6:7], s[4:5]
	s_cbranch_execz .LBB150_56
.LBB150_55:
	v_cvt_f16_f32_e32 v8, v27
	v_add_u32_e32 v6, v5, v4
	v_mov_b32_e32 v7, 0
	s_waitcnt lgkmcnt(0)
	v_lshl_add_u64 v[6:7], v[6:7], 1, s[12:13]
	global_store_short v[6:7], v8, off
.LBB150_56:
	s_or_b64 exec, exec, s[6:7]
	v_add3_u32 v5, v1, s15, 48
	v_cmp_gt_u32_e64 s[6:7], s10, v5
	s_and_b64 exec, exec, s[6:7]
	s_cbranch_execz .LBB150_68
; %bb.57:
	v_mul_lo_u32 v5, v5, s14
	s_and_saveexec_b64 s[6:7], vcc
	s_cbranch_execnz .LBB150_84
; %bb.58:
	s_or_b64 exec, exec, s[6:7]
	s_and_saveexec_b64 s[6:7], s[0:1]
	s_cbranch_execnz .LBB150_85
.LBB150_59:
	s_or_b64 exec, exec, s[6:7]
	s_and_saveexec_b64 s[6:7], s[2:3]
	s_cbranch_execnz .LBB150_86
.LBB150_60:
	s_or_b64 exec, exec, s[6:7]
	s_and_saveexec_b64 s[6:7], s[4:5]
	s_cbranch_execz .LBB150_62
.LBB150_61:
	v_cvt_f16_f32_e32 v8, v19
	v_add_u32_e32 v6, v5, v4
	v_mov_b32_e32 v7, 0
	s_waitcnt lgkmcnt(0)
	v_lshl_add_u64 v[6:7], v[6:7], 1, s[12:13]
	global_store_short v[6:7], v8, off
.LBB150_62:
	s_or_b64 exec, exec, s[6:7]
	v_add3_u32 v1, v1, s15, 56
	v_cmp_gt_u32_e64 s[6:7], s10, v1
	s_and_b64 exec, exec, s[6:7]
	s_cbranch_execz .LBB150_68
; %bb.63:
	v_mul_lo_u32 v1, v1, s14
	s_and_saveexec_b64 s[6:7], vcc
	s_cbranch_execnz .LBB150_87
; %bb.64:
	s_or_b64 exec, exec, s[6:7]
	s_and_saveexec_b64 s[6:7], s[0:1]
	s_cbranch_execnz .LBB150_88
.LBB150_65:
	s_or_b64 exec, exec, s[6:7]
	s_and_saveexec_b64 s[0:1], s[2:3]
	s_cbranch_execnz .LBB150_89
.LBB150_66:
	s_or_b64 exec, exec, s[0:1]
	s_and_b64 exec, exec, s[4:5]
	s_cbranch_execz .LBB150_68
.LBB150_67:
	v_cvt_f16_f32_e32 v2, v9
	v_add_u32_e32 v0, v1, v4
	v_mov_b32_e32 v1, 0
	s_waitcnt lgkmcnt(0)
	v_lshl_add_u64 v[0:1], v[0:1], 1, s[12:13]
	global_store_short v[0:1], v2, off
.LBB150_68:
	s_endpgm
.LBB150_69:
	v_cvt_f16_f32_e32 v8, v75
	v_add_u32_e32 v6, v5, v0
	v_mov_b32_e32 v7, 0
	s_waitcnt lgkmcnt(0)
	v_lshl_add_u64 v[6:7], v[6:7], 1, s[12:13]
	global_store_short v[6:7], v8, off
	s_or_b64 exec, exec, s[6:7]
	s_and_saveexec_b64 s[6:7], s[0:1]
	s_cbranch_execz .LBB150_29
.LBB150_70:
	v_cvt_f16_f32_e32 v8, v71
	v_add_u32_e32 v6, v5, v2
	v_mov_b32_e32 v7, 0
	s_waitcnt lgkmcnt(0)
	v_lshl_add_u64 v[6:7], v[6:7], 1, s[12:13]
	global_store_short v[6:7], v8, off
	s_or_b64 exec, exec, s[6:7]
	s_and_saveexec_b64 s[6:7], s[2:3]
	s_cbranch_execz .LBB150_30
.LBB150_71:
	v_cvt_f16_f32_e32 v8, v69
	v_add_u32_e32 v6, v5, v3
	v_mov_b32_e32 v7, 0
	s_waitcnt lgkmcnt(0)
	v_lshl_add_u64 v[6:7], v[6:7], 1, s[12:13]
	global_store_short v[6:7], v8, off
	s_or_b64 exec, exec, s[6:7]
	s_and_saveexec_b64 s[6:7], s[4:5]
	s_cbranch_execnz .LBB150_31
	s_branch .LBB150_32
.LBB150_72:
	v_cvt_f16_f32_e32 v8, v65
	v_add_u32_e32 v6, v5, v0
	v_mov_b32_e32 v7, 0
	s_waitcnt lgkmcnt(0)
	v_lshl_add_u64 v[6:7], v[6:7], 1, s[12:13]
	global_store_short v[6:7], v8, off
	s_or_b64 exec, exec, s[6:7]
	s_and_saveexec_b64 s[6:7], s[0:1]
	s_cbranch_execz .LBB150_35
.LBB150_73:
	v_cvt_f16_f32_e32 v8, v61
	v_add_u32_e32 v6, v5, v2
	v_mov_b32_e32 v7, 0
	s_waitcnt lgkmcnt(0)
	v_lshl_add_u64 v[6:7], v[6:7], 1, s[12:13]
	global_store_short v[6:7], v8, off
	s_or_b64 exec, exec, s[6:7]
	s_and_saveexec_b64 s[6:7], s[2:3]
	s_cbranch_execz .LBB150_36
.LBB150_74:
	v_cvt_f16_f32_e32 v8, v57
	v_add_u32_e32 v6, v5, v3
	v_mov_b32_e32 v7, 0
	s_waitcnt lgkmcnt(0)
	v_lshl_add_u64 v[6:7], v[6:7], 1, s[12:13]
	global_store_short v[6:7], v8, off
	s_or_b64 exec, exec, s[6:7]
	s_and_saveexec_b64 s[6:7], s[4:5]
	s_cbranch_execnz .LBB150_37
	s_branch .LBB150_38
.LBB150_75:
	v_cvt_f16_f32_e32 v8, v53
	v_add_u32_e32 v6, v5, v0
	v_mov_b32_e32 v7, 0
	s_waitcnt lgkmcnt(0)
	v_lshl_add_u64 v[6:7], v[6:7], 1, s[12:13]
	global_store_short v[6:7], v8, off
	s_or_b64 exec, exec, s[6:7]
	s_and_saveexec_b64 s[6:7], s[0:1]
	s_cbranch_execz .LBB150_41
.LBB150_76:
	v_cvt_f16_f32_e32 v8, v51
	v_add_u32_e32 v6, v5, v2
	v_mov_b32_e32 v7, 0
	s_waitcnt lgkmcnt(0)
	v_lshl_add_u64 v[6:7], v[6:7], 1, s[12:13]
	global_store_short v[6:7], v8, off
	s_or_b64 exec, exec, s[6:7]
	s_and_saveexec_b64 s[6:7], s[2:3]
	s_cbranch_execz .LBB150_42
.LBB150_77:
	v_cvt_f16_f32_e32 v8, v49
	v_add_u32_e32 v6, v5, v3
	v_mov_b32_e32 v7, 0
	s_waitcnt lgkmcnt(0)
	v_lshl_add_u64 v[6:7], v[6:7], 1, s[12:13]
	global_store_short v[6:7], v8, off
	s_or_b64 exec, exec, s[6:7]
	s_and_saveexec_b64 s[6:7], s[4:5]
	s_cbranch_execnz .LBB150_43
	s_branch .LBB150_44
.LBB150_78:
	v_cvt_f16_f32_e32 v8, v45
	v_add_u32_e32 v6, v5, v0
	v_mov_b32_e32 v7, 0
	s_waitcnt lgkmcnt(0)
	v_lshl_add_u64 v[6:7], v[6:7], 1, s[12:13]
	global_store_short v[6:7], v8, off
	s_or_b64 exec, exec, s[6:7]
	s_and_saveexec_b64 s[6:7], s[0:1]
	s_cbranch_execz .LBB150_47
.LBB150_79:
	v_cvt_f16_f32_e32 v8, v43
	v_add_u32_e32 v6, v5, v2
	v_mov_b32_e32 v7, 0
	s_waitcnt lgkmcnt(0)
	v_lshl_add_u64 v[6:7], v[6:7], 1, s[12:13]
	global_store_short v[6:7], v8, off
	s_or_b64 exec, exec, s[6:7]
	s_and_saveexec_b64 s[6:7], s[2:3]
	s_cbranch_execz .LBB150_48
.LBB150_80:
	v_cvt_f16_f32_e32 v8, v41
	v_add_u32_e32 v6, v5, v3
	v_mov_b32_e32 v7, 0
	s_waitcnt lgkmcnt(0)
	v_lshl_add_u64 v[6:7], v[6:7], 1, s[12:13]
	global_store_short v[6:7], v8, off
	s_or_b64 exec, exec, s[6:7]
	s_and_saveexec_b64 s[6:7], s[4:5]
	s_cbranch_execnz .LBB150_49
	s_branch .LBB150_50
.LBB150_81:
	v_cvt_f16_f32_e32 v8, v35
	v_add_u32_e32 v6, v5, v0
	v_mov_b32_e32 v7, 0
	s_waitcnt lgkmcnt(0)
	v_lshl_add_u64 v[6:7], v[6:7], 1, s[12:13]
	global_store_short v[6:7], v8, off
	s_or_b64 exec, exec, s[6:7]
	s_and_saveexec_b64 s[6:7], s[0:1]
	s_cbranch_execz .LBB150_53
.LBB150_82:
	v_cvt_f16_f32_e32 v8, v31
	v_add_u32_e32 v6, v5, v2
	v_mov_b32_e32 v7, 0
	s_waitcnt lgkmcnt(0)
	v_lshl_add_u64 v[6:7], v[6:7], 1, s[12:13]
	global_store_short v[6:7], v8, off
	s_or_b64 exec, exec, s[6:7]
	s_and_saveexec_b64 s[6:7], s[2:3]
	s_cbranch_execz .LBB150_54
.LBB150_83:
	v_cvt_f16_f32_e32 v8, v29
	v_add_u32_e32 v6, v5, v3
	v_mov_b32_e32 v7, 0
	s_waitcnt lgkmcnt(0)
	v_lshl_add_u64 v[6:7], v[6:7], 1, s[12:13]
	global_store_short v[6:7], v8, off
	s_or_b64 exec, exec, s[6:7]
	s_and_saveexec_b64 s[6:7], s[4:5]
	s_cbranch_execnz .LBB150_55
	s_branch .LBB150_56
.LBB150_84:
	v_cvt_f16_f32_e32 v8, v25
	v_add_u32_e32 v6, v5, v0
	v_mov_b32_e32 v7, 0
	s_waitcnt lgkmcnt(0)
	v_lshl_add_u64 v[6:7], v[6:7], 1, s[12:13]
	global_store_short v[6:7], v8, off
	s_or_b64 exec, exec, s[6:7]
	s_and_saveexec_b64 s[6:7], s[0:1]
	s_cbranch_execz .LBB150_59
.LBB150_85:
	v_cvt_f16_f32_e32 v8, v23
	v_add_u32_e32 v6, v5, v2
	v_mov_b32_e32 v7, 0
	s_waitcnt lgkmcnt(0)
	v_lshl_add_u64 v[6:7], v[6:7], 1, s[12:13]
	global_store_short v[6:7], v8, off
	s_or_b64 exec, exec, s[6:7]
	s_and_saveexec_b64 s[6:7], s[2:3]
	s_cbranch_execz .LBB150_60
.LBB150_86:
	v_cvt_f16_f32_e32 v8, v21
	v_add_u32_e32 v6, v5, v3
	v_mov_b32_e32 v7, 0
	s_waitcnt lgkmcnt(0)
	v_lshl_add_u64 v[6:7], v[6:7], 1, s[12:13]
	global_store_short v[6:7], v8, off
	s_or_b64 exec, exec, s[6:7]
	s_and_saveexec_b64 s[6:7], s[4:5]
	s_cbranch_execnz .LBB150_61
	s_branch .LBB150_62
.LBB150_87:
	v_cvt_f16_f32_e32 v5, v17
	v_add_u32_e32 v6, v1, v0
	v_mov_b32_e32 v7, 0
	s_waitcnt lgkmcnt(0)
	v_lshl_add_u64 v[6:7], v[6:7], 1, s[12:13]
	global_store_short v[6:7], v5, off
	s_or_b64 exec, exec, s[6:7]
	s_and_saveexec_b64 s[6:7], s[0:1]
	s_cbranch_execz .LBB150_65
.LBB150_88:
	v_cvt_f16_f32_e32 v0, v15
	v_add_u32_e32 v6, v1, v2
	v_mov_b32_e32 v7, 0
	s_waitcnt lgkmcnt(0)
	v_lshl_add_u64 v[6:7], v[6:7], 1, s[12:13]
	global_store_short v[6:7], v0, off
	s_or_b64 exec, exec, s[6:7]
	s_and_saveexec_b64 s[0:1], s[2:3]
	s_cbranch_execz .LBB150_66
.LBB150_89:
	v_cvt_f16_f32_e32 v0, v13
	v_add_u32_e32 v2, v1, v3
	v_mov_b32_e32 v3, 0
	s_waitcnt lgkmcnt(0)
	v_lshl_add_u64 v[2:3], v[2:3], 1, s[12:13]
	global_store_short v[2:3], v0, off
	s_or_b64 exec, exec, s[0:1]
	s_and_b64 exec, exec, s[4:5]
	s_cbranch_execnz .LBB150_67
	s_branch .LBB150_68
	.section	.rodata,"a",@progbits
	.p2align	6, 0x0
	.amdhsa_kernel _ZL12mul_mat_q3_KIN3c104HalfELb1EEvPKvS3_PT_iiiii
		.amdhsa_group_segment_fixed_size 39840
		.amdhsa_private_segment_fixed_size 0
		.amdhsa_kernarg_size 44
		.amdhsa_user_sgpr_count 2
		.amdhsa_user_sgpr_dispatch_ptr 0
		.amdhsa_user_sgpr_queue_ptr 0
		.amdhsa_user_sgpr_kernarg_segment_ptr 1
		.amdhsa_user_sgpr_dispatch_id 0
		.amdhsa_user_sgpr_kernarg_preload_length 0
		.amdhsa_user_sgpr_kernarg_preload_offset 0
		.amdhsa_user_sgpr_private_segment_size 0
		.amdhsa_uses_dynamic_stack 0
		.amdhsa_enable_private_segment 0
		.amdhsa_system_sgpr_workgroup_id_x 1
		.amdhsa_system_sgpr_workgroup_id_y 1
		.amdhsa_system_sgpr_workgroup_id_z 0
		.amdhsa_system_sgpr_workgroup_info 0
		.amdhsa_system_vgpr_workitem_id 1
		.amdhsa_next_free_vgpr 216
		.amdhsa_next_free_sgpr 30
		.amdhsa_accum_offset 216
		.amdhsa_reserve_vcc 1
		.amdhsa_float_round_mode_32 0
		.amdhsa_float_round_mode_16_64 0
		.amdhsa_float_denorm_mode_32 3
		.amdhsa_float_denorm_mode_16_64 3
		.amdhsa_dx10_clamp 1
		.amdhsa_ieee_mode 1
		.amdhsa_fp16_overflow 0
		.amdhsa_tg_split 0
		.amdhsa_exception_fp_ieee_invalid_op 0
		.amdhsa_exception_fp_denorm_src 0
		.amdhsa_exception_fp_ieee_div_zero 0
		.amdhsa_exception_fp_ieee_overflow 0
		.amdhsa_exception_fp_ieee_underflow 0
		.amdhsa_exception_fp_ieee_inexact 0
		.amdhsa_exception_int_div_zero 0
	.end_amdhsa_kernel
	.section	.text._ZL12mul_mat_q3_KIN3c104HalfELb1EEvPKvS3_PT_iiiii,"axG",@progbits,_ZL12mul_mat_q3_KIN3c104HalfELb1EEvPKvS3_PT_iiiii,comdat
.Lfunc_end150:
	.size	_ZL12mul_mat_q3_KIN3c104HalfELb1EEvPKvS3_PT_iiiii, .Lfunc_end150-_ZL12mul_mat_q3_KIN3c104HalfELb1EEvPKvS3_PT_iiiii
                                        ; -- End function
	.section	.AMDGPU.csdata,"",@progbits
; Kernel info:
; codeLenInByte = 32424
; NumSgprs: 36
; NumVgprs: 216
; NumAgprs: 0
; TotalNumVgprs: 216
; ScratchSize: 0
; MemoryBound: 0
; FloatMode: 240
; IeeeMode: 1
; LDSByteSize: 39840 bytes/workgroup (compile time only)
; SGPRBlocks: 4
; VGPRBlocks: 26
; NumSGPRsForWavesPerEU: 36
; NumVGPRsForWavesPerEU: 216
; AccumOffset: 216
; Occupancy: 1
; WaveLimiterHint : 0
; COMPUTE_PGM_RSRC2:SCRATCH_EN: 0
; COMPUTE_PGM_RSRC2:USER_SGPR: 2
; COMPUTE_PGM_RSRC2:TRAP_HANDLER: 0
; COMPUTE_PGM_RSRC2:TGID_X_EN: 1
; COMPUTE_PGM_RSRC2:TGID_Y_EN: 1
; COMPUTE_PGM_RSRC2:TGID_Z_EN: 0
; COMPUTE_PGM_RSRC2:TIDIG_COMP_CNT: 1
; COMPUTE_PGM_RSRC3_GFX90A:ACCUM_OFFSET: 53
; COMPUTE_PGM_RSRC3_GFX90A:TG_SPLIT: 0
	.section	.text._ZL12mul_mat_q4_KIN3c104HalfELb0EEvPKvS3_PT_iiiii,"axG",@progbits,_ZL12mul_mat_q4_KIN3c104HalfELb0EEvPKvS3_PT_iiiii,comdat
	.globl	_ZL12mul_mat_q4_KIN3c104HalfELb0EEvPKvS3_PT_iiiii ; -- Begin function _ZL12mul_mat_q4_KIN3c104HalfELb0EEvPKvS3_PT_iiiii
	.p2align	8
	.type	_ZL12mul_mat_q4_KIN3c104HalfELb0EEvPKvS3_PT_iiiii,@function
_ZL12mul_mat_q4_KIN3c104HalfELb0EEvPKvS3_PT_iiiii: ; @_ZL12mul_mat_q4_KIN3c104HalfELb0EEvPKvS3_PT_iiiii
; %bb.0:
	s_load_dword s7, s[0:1], 0x18
	s_load_dwordx4 s[8:11], s[0:1], 0x20
	s_waitcnt lgkmcnt(0)
	s_lshl_b32 s11, s3, 6
	v_bfe_u32 v12, v0, 10, 10
	s_cmpk_gt_i32 s7, 0xff
	s_cbranch_scc1 .LBB151_2
; %bb.1:
	v_bfe_u32 v1, v0, 10, 10
	v_and_b32_e32 v53, 0x3ff, v0
	v_add_u32_e32 v2, s11, v1
	s_mov_b64 s[4:5], 0
	s_mov_b32 s3, 0
	s_branch .LBB151_3
.LBB151_2:
	s_mov_b64 s[4:5], -1
                                        ; implicit-def: $sgpr3
                                        ; implicit-def: $vgpr1
                                        ; implicit-def: $vgpr53
                                        ; implicit-def: $vgpr2
.LBB151_3:
	s_load_dwordx2 s[12:13], s[0:1], 0x10
	s_lshl_b32 s6, s2, 7
	s_andn2_b64 vcc, exec, s[4:5]
	v_mov_b32_e32 v21, s3
	v_mov_b32_e32 v20, s3
	;; [unrolled: 1-line block ×32, first 2 shown]
	s_cbranch_vccnz .LBB151_11
; %bb.4:
	s_ashr_i32 s4, s7, 31
	s_lshr_b32 s4, s4, 24
	s_load_dwordx4 s[0:3], s[0:1], 0x0
	s_add_i32 s7, s7, s4
	s_ashr_i32 s4, s9, 31
	s_lshr_b32 s4, s4, 27
	s_ashr_i32 s7, s7, 8
	s_add_i32 s4, s9, s4
	s_ashr_i32 s16, s4, 5
	s_mul_i32 s4, s7, s6
	s_mul_hi_i32 s5, s4, 0x90
	s_mulk_i32 s4, 0x90
	s_waitcnt lgkmcnt(0)
	s_add_u32 s14, s0, s4
	s_addc_u32 s15, s1, s5
	v_and_b32_e32 v53, 0x3ff, v0
	v_mul_i32_i24_e32 v0, s7, v12
	s_lshl_b32 s4, s7, 3
	scratch_store_dwordx2 off, v[0:1], off  ; 8-byte Folded Spill
	v_mov_b32_e32 v0, s4
	v_mad_i32_i24 v58, s7, v12, v0
	v_add_u32_e32 v60, s4, v58
	v_add_u32_e32 v62, s4, v60
	;; [unrolled: 1-line block ×14, first 2 shown]
	v_lshlrev_b32_e32 v93, 5, v12
	scratch_store_dwordx2 off, v[0:1], off offset:8 ; 8-byte Folded Spill
	v_add_u32_e32 v0, v93, v53
	v_and_b32_e32 v1, 0x7f, v0
	v_lshrrev_b32_e32 v0, 3, v0
	v_mul_i32_i24_e32 v2, s7, v1
	v_and_b32_e32 v0, 12, v0
	v_lshlrev_b32_e32 v1, 2, v1
	s_movk_i32 s17, 0x6e40
	v_lshlrev_b32_e32 v3, 2, v53
	v_add3_u32 v119, v1, v0, s17
	v_and_b32_e32 v0, 3, v53
	scratch_store_dwordx2 off, v[2:3], off offset:16 ; 8-byte Folded Spill
	v_add_u32_e32 v2, 0xfe, v0
	v_cmp_gt_u32_e32 vcc, 2, v0
	v_lshlrev_b32_e32 v1, 3, v12
	v_lshrrev_b32_e32 v5, 2, v53
	v_cndmask_b32_e32 v2, v2, v0, vcc
	v_add_u32_e32 v10, v5, v1
	v_and_b32_e32 v6, 0xff, v2
	v_cmp_ne_u32_e32 vcc, 0, v0
	v_add_u16_e32 v1, v5, v1
	v_lshlrev_b32_e32 v123, 1, v6
	v_addc_co_u32_e32 v2, vcc, 0, v6, vcc
	v_and_b32_e32 v6, 0x7f, v10
	v_lshlrev_b32_e32 v11, 2, v0
	v_lshrrev_b16_e32 v1, 1, v1
	v_lshl_or_b32 v7, v6, 4, v11
	v_and_b32_e32 v1, 60, v1
	s_movk_i32 s4, 0x6200
	v_add3_u32 v125, v7, v1, s4
	v_xor_b32_e32 v1, 64, v6
	v_mul_i32_i24_e32 v92, s7, v1
	v_lshl_or_b32 v5, v1, 4, v11
	v_lshrrev_b32_e32 v1, 1, v1
	v_mov_b32_e32 v55, 0
	v_and_b32_e32 v1, 60, v1
	v_add3_u32 v127, v5, v1, s4
	v_and_b32_e32 v8, 28, v3
	v_mov_b32_e32 v9, v55
	v_and_b32_e32 v1, 63, v10
	s_add_i32 s4, s8, -1
	v_lshl_add_u64 v[94:95], s[2:3], 0, v[8:9]
	v_or_b32_e32 v8, s11, v1
	v_min_i32_e32 v8, s4, v8
	v_cmp_lt_u32_e32 vcc, 1, v0
	v_mul_i32_i24_e32 v90, s7, v6
	v_add_u32_e32 v13, s11, v12
	v_cvt_f64_i32_e32 v[6:7], s4
	v_mad_u64_u32 v[96:97], s[4:5], v8, s16, v[0:1]
	v_lshl_or_b32 v0, v1, 4, v11
	v_add_u32_e32 v97, 0x6a40, v0
	v_cvt_f64_u32_e32 v[0:1], v13
	v_min_f64 v[0:1], v[0:1], v[6:7]
	v_and_b32_e32 v5, 31, v53
	v_cvt_i32_f64_e32 v0, v[0:1]
	v_mul_lo_u32 v140, s16, v0
	v_or_b32_e32 v0, v93, v5
	v_mov_b32_e32 v8, 0x4200
	v_lshl_add_u32 v141, v0, 2, v8
	v_add_u32_e32 v0, 8, v13
	v_cvt_f64_u32_e32 v[0:1], v0
	v_min_f64 v[0:1], v[0:1], v[6:7]
	v_cvt_i32_f64_e32 v0, v[0:1]
	v_add_u32_e32 v143, 0x100, v93
	v_mul_lo_u32 v142, s16, v0
	v_or_b32_e32 v0, v143, v5
	v_lshl_add_u32 v144, v0, 2, v8
	v_add_u32_e32 v0, 16, v13
	v_cvt_f64_u32_e32 v[0:1], v0
	v_min_f64 v[0:1], v[0:1], v[6:7]
	v_cvt_i32_f64_e32 v0, v[0:1]
	v_add_u32_e32 v146, 0x200, v93
	v_mul_lo_u32 v145, s16, v0
	v_or_b32_e32 v0, v146, v5
	;; [unrolled: 8-line block ×6, first 2 shown]
	v_lshl_add_u32 v159, v0, 2, v8
	v_add_u32_e32 v0, 56, v13
	v_cvt_f64_u32_e32 v[0:1], v0
	v_min_f64 v[0:1], v[0:1], v[6:7]
	v_cvt_i32_f64_e32 v0, v[0:1]
	v_add_u32_e32 v161, 0x700, v93
	v_lshrrev_b32_e32 v52, 5, v53
	v_mul_lo_u32 v160, s16, v0
	v_or_b32_e32 v0, v161, v5
	v_lshl_add_u32 v162, v0, 2, v8
	v_lshlrev_b32_e32 v0, 2, v52
	v_add3_u32 v163, v0, v3, s17
	v_add_u32_e32 v0, 32, v53
	v_lshrrev_b32_e32 v164, 3, v0
	v_lshlrev_b32_e32 v1, 2, v0
	v_and_b32_e32 v0, 60, v164
	v_add3_u32 v165, v3, v0, s17
	v_add_u32_e32 v0, 64, v53
	v_lshlrev_b32_e32 v5, 2, v0
	v_lshrrev_b32_e32 v0, 3, v0
	v_and_b32_e32 v6, 60, v0
	v_add3_u32 v166, v3, v6, s17
	v_add_u32_e32 v6, 0x60, v53
	v_lshlrev_b32_e32 v7, 2, v6
	v_lshrrev_b32_e32 v6, 3, v6
	v_and_b32_e32 v9, 60, v6
	s_movk_i32 s1, 0x84
	v_add3_u32 v167, v3, v9, s17
	v_mov_b32_e32 v9, 0x1080
	v_mad_u32_u24 v169, v53, s1, v9
	v_mov_b32_e32 v9, 0x2100
	s_mov_b32 s0, 0
	v_mad_u32_u24 v170, v53, s1, v9
	v_mov_b32_e32 v9, 0x3180
	v_mad_u32_u24 v61, v12, s1, v3
	v_and_b32_e32 v4, 4, v3
	v_mad_u32_u24 v171, v53, s1, v9
	v_mad_u32_u24 v172, v53, s1, 64
	s_mov_b32 s1, s0
	v_cndmask_b32_e32 v121, 0, v4, vcc
	v_cndmask_b32_e64 v4, 0, 1, vcc
	v_lshrrev_b32_e32 v129, 3, v53
	v_mov_b32_e32 v9, 0x6a40
	v_mov_b64_e32 v[50:51], s[0:1]
	s_movk_i32 s9, 0x90
	v_and_b32_e32 v54, 0x7c, v3
	v_add_u32_e32 v79, 0x2520, v61
	v_add_u32_e32 v81, 0x2940, v61
	;; [unrolled: 1-line block ×7, first 2 shown]
	v_mul_u32_u24_e32 v168, 0x84, v53
	v_lshl_add_u32 v173, v12, 4, v9
	v_lshl_add_u32 v174, v12, 7, v8
	v_lshlrev_b32_e32 v175, 4, v53
	v_lshlrev_b32_e32 v176, 2, v6
	;; [unrolled: 1-line block ×7, first 2 shown]
	s_mov_b32 s1, 0x30303030
	v_lshlrev_b32_e32 v180, 2, v1
	v_lshlrev_b32_e32 v181, 2, v5
	;; [unrolled: 1-line block ×3, first 2 shown]
	v_mov_b32_e32 v99, v55
	v_mov_b32_e32 v101, v55
	v_lshlrev_b32_e32 v183, 2, v3
	v_mov_b64_e32 v[42:43], v[50:51]
	v_mov_b64_e32 v[34:35], v[50:51]
	;; [unrolled: 1-line block ×15, first 2 shown]
	scratch_store_dword off, v13, off offset:28 ; 4-byte Folded Spill
	scratch_store_dword off, v12, off offset:24 ; 4-byte Folded Spill
.LBB151_5:                              ; =>This Loop Header: Depth=1
                                        ;     Child Loop BB151_6 Depth 2
                                        ;     Child Loop BB151_8 Depth 2
	scratch_load_dwordx2 v[4:5], off, off   ; 8-byte Folded Reload
	s_mul_i32 s4, s0, 0x90
	s_mul_hi_u32 s5, s0, 0x90
	s_add_u32 s4, s14, s4
	s_addc_u32 s5, s15, s5
	v_mov_b64_e32 v[0:1], s[4:5]
	v_mad_u64_u32 v[2:3], s[4:5], v52, s9, v[0:1]
	v_lshl_add_u64 v[2:3], v[2:3], 0, v[54:55]
	v_lshl_add_u64 v[2:3], v[2:3], 0, 16
	v_mad_u64_u32 v[18:19], s[4:5], v70, s9, v[2:3]
	v_mad_u64_u32 v[6:7], s[4:5], v58, s9, v[2:3]
	;; [unrolled: 1-line block ×7, first 2 shown]
	s_lshl_b32 s16, s0, 3
	v_add_u32_e32 v115, s16, v96
	s_mov_b32 s18, 0
	s_waitcnt vmcnt(0)
	v_mad_u64_u32 v[4:5], s[4:5], v4, s9, v[2:3]
	global_load_dword v56, v[4:5], off
	global_load_dword v57, v[6:7], off
	;; [unrolled: 1-line block ×7, first 2 shown]
	s_nop 0
	global_load_dword v18, v[18:19], off
	v_mad_u64_u32 v[4:5], s[4:5], v72, s9, v[2:3]
	scratch_load_dwordx2 v[86:87], off, off offset:8 ; 8-byte Folded Reload
	v_mad_u64_u32 v[6:7], s[4:5], v74, s9, v[2:3]
	v_mad_u64_u32 v[8:9], s[4:5], v76, s9, v[2:3]
	;; [unrolled: 1-line block ×6, first 2 shown]
	s_waitcnt vmcnt(0)
	v_mad_u64_u32 v[2:3], s[4:5], v86, s9, v[2:3]
	global_load_dword v19, v[4:5], off
	global_load_dword v71, v[6:7], off
	;; [unrolled: 1-line block ×6, first 2 shown]
	s_nop 0
	global_load_dword v16, v[16:17], off
	s_nop 0
	global_load_dword v17, v[2:3], off
	s_nop 0
	scratch_load_dwordx2 v[2:3], off, off offset:16 ; 8-byte Folded Reload
	v_mad_u64_u32 v[4:5], s[4:5], v90, s9, v[0:1]
	v_lshl_add_u64 v[4:5], v[4:5], 0, 4
	v_lshl_add_u64 v[6:7], v[4:5], 0, v[98:99]
	;; [unrolled: 1-line block ×3, first 2 shown]
	v_add_u32_e32 v14, s16, v129
	v_add_u32_e32 v10, v14, v154
	;; [unrolled: 1-line block ×3, first 2 shown]
	v_mad_i64_i32 v[10:11], s[4:5], v10, 36, v[94:95]
	v_mad_i64_i32 v[12:13], s[4:5], v12, 36, v[94:95]
	s_waitcnt vmcnt(0)
	v_mad_u64_u32 v[2:3], s[4:5], v2, s9, v[0:1]
	v_mad_u64_u32 v[0:1], s[4:5], v92, s9, v[0:1]
	v_lshl_add_u64 v[0:1], v[0:1], 0, 4
	v_lshl_add_u64 v[8:9], v[0:1], 0, v[98:99]
	;; [unrolled: 1-line block ×3, first 2 shown]
	global_load_dword v89, v[2:3], off
	global_load_dword v102, v[6:7], off
	;; [unrolled: 1-line block ×5, first 2 shown]
	v_add_u32_e32 v0, v14, v140
	v_add_u32_e32 v2, v14, v142
	v_add_u32_e32 v4, v14, v145
	v_add_u32_e32 v6, v14, v148
	v_add_u32_e32 v8, v14, v151
	v_mad_i64_i32 v[0:1], s[4:5], v0, 36, v[94:95]
	v_mad_i64_i32 v[2:3], s[4:5], v2, 36, v[94:95]
	;; [unrolled: 1-line block ×5, first 2 shown]
	v_add_u32_e32 v14, v14, v160
	v_mad_i64_i32 v[14:15], s[4:5], v14, 36, v[94:95]
	global_load_dword v106, v[0:1], off offset:4
	s_nop 0
	global_load_dword v2, v[2:3], off offset:4
	s_nop 0
	;; [unrolled: 2-line block ×3, first 2 shown]
	global_load_dword v4, v[6:7], off offset:4
	global_load_dword v5, v[8:9], off offset:4
	s_nop 0
	global_load_dword v6, v[10:11], off offset:4
	global_load_dword v7, v[12:13], off offset:4
	;; [unrolled: 1-line block ×3, first 2 shown]
	v_mad_u64_u32 v[0:1], s[4:5], v115, 36, s[2:3]
	global_load_dword v0, v[0:1], off
	v_add_u32_e32 v1, 0x420, v61
	ds_write_b32 v1, v57
	v_add_u32_e32 v1, 0x840, v61
	ds_write_b32 v1, v59
	;; [unrolled: 2-line block ×5, first 2 shown]
	ds_write_b32 v1, v67
	v_add_u32_e32 v1, 0x18c0, v61
	ds_write_b32 v1, v69
	v_add_u32_e32 v1, 0x1ce0, v61
	;; [unrolled: 2-line block ×3, first 2 shown]
	s_mov_b64 s[4:5], -1
	ds_write_b32 v1, v19
	ds_write_b32 v79, v71
	;; [unrolled: 1-line block ×8, first 2 shown]
	s_waitcnt vmcnt(13)
	ds_write_b32 v119, v89
	s_waitcnt vmcnt(12)
	v_ashrrev_i32_e32 v1, v121, v102
	v_and_b32_e32 v1, 0xf0f0f0f, v1
	s_waitcnt vmcnt(11)
	v_ashrrev_i32_e32 v9, v123, v103
	v_and_or_b32 v1, v9, s1, v1
	ds_write_b32 v125, v1
	s_waitcnt vmcnt(10)
	v_ashrrev_i32_e32 v1, v121, v104
	v_and_b32_e32 v1, 0xf0f0f0f, v1
	s_waitcnt vmcnt(9)
	v_ashrrev_i32_e32 v9, v123, v105
	v_and_or_b32 v1, v9, s1, v1
	ds_write_b32 v127, v1
	s_waitcnt vmcnt(8)
	ds_write_b32 v141, v106
	s_waitcnt vmcnt(7)
	;; [unrolled: 2-line block ×9, first 2 shown]
	ds_write_b32 v97, v0
	s_waitcnt lgkmcnt(0)
	s_barrier
	ds_read_b32 v0, v163
	ds_read_b32 v1, v165 offset:128
	ds_read_b32 v2, v166 offset:256
	;; [unrolled: 1-line block ×3, first 2 shown]
	s_waitcnt lgkmcnt(3)
	v_cvt_f32_f16_e32 v16, v0
	v_cvt_f32_f16_sdwa v18, v0 dst_sel:DWORD dst_unused:UNUSED_PAD src0_sel:WORD_1
	s_waitcnt lgkmcnt(2)
	v_cvt_f32_f16_e32 v102, v1
	v_cvt_f32_f16_sdwa v104, v1 dst_sel:DWORD dst_unused:UNUSED_PAD src0_sel:WORD_1
	;; [unrolled: 3-line block ×4, first 2 shown]
	v_mov_b32_e32 v17, v16
	v_mov_b32_e32 v19, v18
	;; [unrolled: 1-line block ×8, first 2 shown]
.LBB151_6:                              ;   Parent Loop BB151_5 Depth=1
                                        ; =>  This Inner Loop Header: Depth=2
	s_lshl_b32 s17, s18, 1
	s_lshr_b32 s19, s18, 2
	v_or_b32_e32 v0, s17, v93
	s_lshl_b32 s18, s18, 2
	s_addk_i32 s19, 0x6200
	v_lshlrev_b32_e32 v1, 2, v0
	v_add_u32_e32 v59, s18, v168
	v_lshrrev_b32_e32 v56, 1, v0
	ds_read_b128 v[12:15], v1 offset:16896
	ds_read_b128 v[8:11], v1 offset:16912
	;; [unrolled: 1-line block ×4, first 2 shown]
	ds_read_b64 v[130:131], v56 offset:27200
	v_add3_u32 v57, s19, v179, v183
	ds_read2_b32 v[116:117], v59 offset1:1
	ds_read2_b32 v[132:133], v59 offset0:2 offset1:3
	ds_read2_b32 v[134:135], v59 offset0:4 offset1:5
	;; [unrolled: 1-line block ×3, first 2 shown]
	ds_read_u16 v59, v57
	ds_read_u8 v63, v57 offset:8
	ds_read_u8 v57, v57 offset:9
	s_waitcnt lgkmcnt(6)
	v_and_b32_e32 v196, 0xf0f0f0f, v116
	v_and_b32_e32 v197, 0xf0f0f0f, v117
	s_waitcnt lgkmcnt(5)
	v_and_b32_e32 v198, 0xf0f0f0f, v132
	s_waitcnt lgkmcnt(1)
	v_cvt_f32_ubyte0_e32 v118, v63
	v_lshrrev_b32_e32 v63, 4, v116
	v_and_b32_e32 v195, 0xf0f0f0f, v63
	v_lshrrev_b32_e32 v63, 4, v117
	v_and_b32_e32 v214, 0xf0f0f0f, v63
	;; [unrolled: 2-line block ×8, first 2 shown]
	s_waitcnt lgkmcnt(0)
	v_cvt_f32_ubyte0_e32 v122, v57
	v_add3_u32 v57, s19, v178, v180
	v_add_u32_e32 v63, s18, v169
	v_and_b32_e32 v199, 0xf0f0f0f, v133
	v_and_b32_e32 v200, 0xf0f0f0f, v134
	;; [unrolled: 1-line block ×5, first 2 shown]
	ds_read2_b32 v[116:117], v63 offset1:1
	ds_read2_b32 v[132:133], v63 offset0:2 offset1:3
	ds_read2_b32 v[134:135], v63 offset0:4 offset1:5
	;; [unrolled: 1-line block ×3, first 2 shown]
	ds_read_u16 v65, v57
	ds_read_u8 v63, v57 offset:8
	ds_read_u8 v67, v57 offset:9
	s_waitcnt lgkmcnt(6)
	v_lshrrev_b32_e32 v69, 4, v117
	v_and_b32_e32 v193, 0xf0f0f0f, v116
	v_and_b32_e32 v206, 0xf0f0f0f, v117
	v_lshrrev_b32_e32 v57, 4, v116
	s_waitcnt lgkmcnt(0)
	v_cvt_f32_ubyte0_e32 v126, v67
	v_add_u32_e32 v67, s18, v170
	v_and_b32_e32 v223, 0xf0f0f0f, v69
	v_lshrrev_b32_e32 v69, 4, v132
	ds_read2_b32 v[116:117], v67 offset1:1
	v_and_b32_e32 v207, 0xf0f0f0f, v132
	v_and_b32_e32 v208, 0xf0f0f0f, v133
	;; [unrolled: 1-line block ×3, first 2 shown]
	v_lshrrev_b32_e32 v69, 4, v133
	ds_read2_b32 v[132:133], v67 offset0:2 offset1:3
	v_and_b32_e32 v225, 0xf0f0f0f, v69
	v_lshrrev_b32_e32 v69, 4, v134
	v_and_b32_e32 v209, 0xf0f0f0f, v134
	v_and_b32_e32 v210, 0xf0f0f0f, v135
	;; [unrolled: 1-line block ×3, first 2 shown]
	v_lshrrev_b32_e32 v69, 4, v135
	ds_read2_b32 v[134:135], v67 offset0:4 offset1:5
	v_and_b32_e32 v229, 0xf0f0f0f, v69
	v_lshrrev_b32_e32 v69, 4, v136
	v_and_b32_e32 v211, 0xf0f0f0f, v136
	v_and_b32_e32 v212, 0xf0f0f0f, v137
	;; [unrolled: 1-line block ×3, first 2 shown]
	v_lshrrev_b32_e32 v69, 4, v137
	ds_read2_b32 v[136:137], v67 offset0:6 offset1:7
	s_waitcnt lgkmcnt(3)
	v_lshrrev_b32_e32 v71, 4, v117
	v_and_b32_e32 v239, 0xf0f0f0f, v71
	s_waitcnt lgkmcnt(2)
	v_lshrrev_b32_e32 v71, 4, v132
	v_and_b32_e32 v240, 0xf0f0f0f, v71
	v_lshrrev_b32_e32 v71, 4, v133
	v_and_b32_e32 v241, 0xf0f0f0f, v71
	s_waitcnt lgkmcnt(1)
	v_lshrrev_b32_e32 v71, 4, v134
	v_and_b32_e32 v242, 0xf0f0f0f, v71
	;; [unrolled: 5-line block ×3, first 2 shown]
	v_lshrrev_b32_e32 v71, 4, v137
	v_and_b32_e32 v204, 0xff, v65
	v_lshrrev_b16_e32 v227, 8, v65
	v_add3_u32 v65, s19, v177, v181
	v_and_b32_e32 v246, 0xf0f0f0f, v71
	v_add_u32_e32 v71, s18, v171
	v_and_b32_e32 v231, 0xf0f0f0f, v69
	v_and_b32_e32 v233, 0xf0f0f0f, v132
	;; [unrolled: 1-line block ×3, first 2 shown]
	ds_read_u16 v69, v65
	ds_read_u8 v67, v65 offset:8
	ds_read_u8 v65, v65 offset:9
	ds_read2_b32 v[132:133], v71 offset1:1
	v_mov_b32_e32 v56, 0
	v_and_b32_e32 v194, 0xff, v59
	v_lshrrev_b16_e32 v213, 8, v59
	v_mov_b32_e32 v59, 0
	v_and_b32_e32 v205, 0xf0f0f0f, v116
	v_mov_b32_e32 v255, 0
	s_waitcnt lgkmcnt(1)
	v_cvt_f32_ubyte0_e32 v128, v65
	s_waitcnt lgkmcnt(0)
	v_and_b32_e32 v228, 0xf0f0f0f, v132
	v_mov_b32_e32 v65, 0
	v_dot4c_i32_i8_e32 v56, v196, v12
	v_dot4c_i32_i8_e32 v59, v193, v12
	v_dot4c_i32_i8_e32 v255, v205, v12
	v_and_b32_e32 v232, 0xf0f0f0f, v117
	v_dot4c_i32_i8_e32 v65, v228, v12
	v_and_b32_e32 v247, 0xf0f0f0f, v133
	v_dot4c_i32_i8_e32 v56, v197, v13
	v_dot4c_i32_i8_e32 v59, v206, v13
	;; [unrolled: 1-line block ×4, first 2 shown]
	ds_read2_b32 v[12:13], v71 offset0:2 offset1:3
	v_dot4c_i32_i8_e32 v56, v198, v14
	v_dot4c_i32_i8_e32 v59, v207, v14
	;; [unrolled: 1-line block ×4, first 2 shown]
	s_waitcnt lgkmcnt(0)
	v_and_b32_e32 v248, 0xf0f0f0f, v12
	v_dot4c_i32_i8_e32 v65, v248, v14
	v_and_b32_e32 v249, 0xf0f0f0f, v13
	v_dot4c_i32_i8_e32 v59, v208, v15
	v_dot4c_i32_i8_e32 v255, v234, v15
	;; [unrolled: 1-line block ×3, first 2 shown]
	ds_read2_b32 v[14:15], v71 offset0:4 offset1:5
	v_and_b32_e32 v235, 0xf0f0f0f, v134
	v_dot4c_i32_i8_e32 v56, v200, v8
	v_dot4c_i32_i8_e32 v59, v209, v8
	;; [unrolled: 1-line block ×3, first 2 shown]
	s_waitcnt lgkmcnt(0)
	v_and_b32_e32 v250, 0xf0f0f0f, v14
	v_and_b32_e32 v236, 0xf0f0f0f, v135
	v_dot4c_i32_i8_e32 v65, v250, v8
	v_and_b32_e32 v251, 0xf0f0f0f, v15
	v_dot4c_i32_i8_e32 v56, v201, v9
	v_dot4c_i32_i8_e32 v59, v210, v9
	;; [unrolled: 1-line block ×4, first 2 shown]
	ds_read2_b32 v[8:9], v71 offset0:6 offset1:7
	v_and_b32_e32 v237, 0xf0f0f0f, v136
	v_dot4c_i32_i8_e32 v56, v202, v10
	v_dot4c_i32_i8_e32 v59, v211, v10
	;; [unrolled: 1-line block ×3, first 2 shown]
	s_waitcnt lgkmcnt(0)
	v_and_b32_e32 v252, 0xf0f0f0f, v8
	v_and_b32_e32 v238, 0xf0f0f0f, v137
	;; [unrolled: 1-line block ×3, first 2 shown]
	v_lshrrev_b16_e32 v243, 8, v69
	v_add3_u32 v69, s19, v176, v182
	v_dot4c_i32_i8_e32 v65, v252, v10
	v_and_b32_e32 v253, 0xf0f0f0f, v9
	v_dot4c_i32_i8_e32 v56, v203, v11
	v_dot4c_i32_i8_e32 v59, v212, v11
	;; [unrolled: 1-line block ×4, first 2 shown]
	ds_read_u16 v10, v69
	ds_read_u8 v11, v69 offset:8
	ds_read_u8 v71, v69 offset:9
	v_cvt_f32_ubyte0_e32 v124, v67
	v_lshrrev_b32_e32 v67, 4, v116
	v_mov_b32_e32 v254, 0
	s_waitcnt lgkmcnt(1)
	v_cvt_f32_ubyte0_e32 v116, v11
	v_lshrrev_b32_e32 v11, 4, v132
	v_cvt_f32_ubyte0_e32 v120, v63
	v_and_b32_e32 v57, 0xf0f0f0f, v57
	v_mov_b32_e32 v63, 0
	v_and_b32_e32 v222, 0xf0f0f0f, v67
	v_mov_b32_e32 v67, 0
	v_and_b32_e32 v191, 0xf0f0f0f, v11
	v_mov_b32_e32 v69, 0
	v_dot4c_i32_i8_e32 v254, v195, v4
	v_dot4c_i32_i8_e32 v63, v57, v4
	;; [unrolled: 1-line block ×4, first 2 shown]
	v_lshrrev_b32_e32 v4, 4, v133
	v_and_b32_e32 v192, 0xf0f0f0f, v4
	v_lshrrev_b32_e32 v4, 4, v12
	v_dot4c_i32_i8_e32 v254, v214, v5
	v_dot4c_i32_i8_e32 v63, v223, v5
	v_dot4c_i32_i8_e32 v67, v239, v5
	v_dot4c_i32_i8_e32 v69, v192, v5
	v_and_b32_e32 v190, 0xf0f0f0f, v4
	v_lshrrev_b32_e32 v4, 4, v13
	v_dot4c_i32_i8_e32 v254, v215, v6
	v_dot4c_i32_i8_e32 v63, v224, v6
	v_dot4c_i32_i8_e32 v67, v240, v6
	v_dot4c_i32_i8_e32 v69, v190, v6
	;; [unrolled: 6-line block ×3, first 2 shown]
	v_and_b32_e32 v186, 0xf0f0f0f, v4
	v_dot4c_i32_i8_e32 v254, v217, v0
	v_dot4c_i32_i8_e32 v63, v226, v0
	;; [unrolled: 1-line block ×4, first 2 shown]
	v_lshrrev_b32_e32 v0, 4, v15
	v_and_b32_e32 v187, 0xf0f0f0f, v0
	v_lshrrev_b32_e32 v0, 4, v8
	v_and_b32_e32 v188, 0xf0f0f0f, v0
	v_lshrrev_b32_e32 v0, 4, v9
	v_dot4c_i32_i8_e32 v254, v218, v1
	v_dot4c_i32_i8_e32 v63, v229, v1
	;; [unrolled: 1-line block ×4, first 2 shown]
	v_and_b32_e32 v189, 0xf0f0f0f, v0
	v_or_b32_e32 v0, s17, v143
	v_dot4c_i32_i8_e32 v254, v219, v2
	v_dot4c_i32_i8_e32 v63, v230, v2
	;; [unrolled: 1-line block ×4, first 2 shown]
	v_lshlrev_b32_e32 v1, 2, v0
	v_dot4c_i32_i8_e32 v254, v220, v3
	v_dot4c_i32_i8_e32 v63, v231, v3
	;; [unrolled: 1-line block ×3, first 2 shown]
	v_and_b32_e32 v117, 0xff, v10
	v_dot4c_i32_i8_e32 v69, v189, v3
	v_lshrrev_b16_e32 v184, 8, v10
	s_waitcnt lgkmcnt(0)
	v_cvt_f32_ubyte0_e32 v114, v71
	v_lshrrev_b32_e32 v71, 1, v0
	ds_read_b128 v[12:15], v1 offset:16896
	ds_read_b128 v[8:11], v1 offset:16912
	;; [unrolled: 1-line block ×4, first 2 shown]
	ds_read_b64 v[134:135], v71 offset:27200
	v_mov_b32_e32 v71, 0
	s_waitcnt lgkmcnt(4)
	v_dot4c_i32_i8_e32 v71, v196, v12
	v_mov_b32_e32 v73, 0
	v_dot4c_i32_i8_e32 v71, v197, v13
	s_waitcnt lgkmcnt(2)
	v_dot4c_i32_i8_e32 v73, v195, v4
	v_dot4c_i32_i8_e32 v71, v198, v14
	;; [unrolled: 1-line block ×7, first 2 shown]
	v_mul_lo_u32 v56, v56, v194
	v_dot4c_i32_i8_e32 v71, v201, v9
	s_waitcnt lgkmcnt(1)
	v_dot4c_i32_i8_e32 v73, v217, v0
	v_cvt_f32_f16_e32 v136, v130
	v_cvt_f32_f16_sdwa v138, v130 dst_sel:DWORD dst_unused:UNUSED_PAD src0_sel:WORD_1
	v_cvt_f32_i32_e32 v130, v56
	v_mul_lo_u32 v56, v254, v213
	v_dot4c_i32_i8_e32 v71, v202, v10
	v_dot4c_i32_i8_e32 v73, v218, v1
	v_cvt_f32_i32_e32 v88, v56
	v_mov_b32_e32 v56, 0
	v_dot4c_i32_i8_e32 v71, v203, v11
	v_dot4c_i32_i8_e32 v73, v219, v2
	;; [unrolled: 1-line block ×4, first 2 shown]
	s_waitcnt lgkmcnt(0)
	v_cvt_f32_f16_sdwa v139, v134 dst_sel:DWORD dst_unused:UNUSED_PAD src0_sel:WORD_1
	v_mul_lo_u32 v71, v71, v194
	v_dot4c_i32_i8_e32 v56, v206, v13
	v_cvt_f32_f16_e32 v137, v134
	v_cvt_f32_f16_e32 v133, v135
	v_cvt_f32_f16_e32 v132, v131
	v_cvt_f32_f16_sdwa v135, v135 dst_sel:DWORD dst_unused:UNUSED_PAD src0_sel:WORD_1
	v_cvt_f32_f16_sdwa v134, v131 dst_sel:DWORD dst_unused:UNUSED_PAD src0_sel:WORD_1
	v_cvt_f32_i32_e32 v131, v71
	v_mul_lo_u32 v71, v73, v213
	v_dot4c_i32_i8_e32 v56, v207, v14
	v_cvt_f32_i32_e32 v89, v71
	v_dot4c_i32_i8_e32 v56, v208, v15
	v_dot4c_i32_i8_e32 v56, v209, v8
	v_mov_b32_e32 v71, 0
	v_pk_fma_f32 v[86:87], v[118:119], v[138:139], 0 op_sel_hi:[0,1,0]
	v_dot4c_i32_i8_e32 v56, v210, v9
	v_dot4c_i32_i8_e32 v71, v57, v4
	v_pk_fma_f32 v[130:131], v[136:137], v[130:131], 0 op_sel_hi:[1,1,0]
	v_pk_fma_f32 v[86:87], v[122:123], v[134:135], v[86:87] op_sel_hi:[0,1,1]
	v_dot4c_i32_i8_e32 v56, v211, v10
	v_dot4c_i32_i8_e32 v71, v223, v5
	v_pk_fma_f32 v[88:89], v[132:133], v[88:89], v[130:131]
	v_pk_mul_f32 v[86:87], v[86:87], v[18:19]
	v_dot4c_i32_i8_e32 v56, v212, v11
	v_dot4c_i32_i8_e32 v71, v224, v6
	v_pk_fma_f32 v[86:87], v[88:89], v[16:17], v[86:87] neg_lo:[0,0,1] neg_hi:[0,0,1]
	v_dot4c_i32_i8_e32 v71, v225, v7
	v_mul_lo_u32 v56, v56, v204
	v_pk_add_f32 v[50:51], v[50:51], v[86:87]
	v_dot4c_i32_i8_e32 v71, v226, v0
	v_cvt_f32_i32_e32 v87, v56
	v_mul_lo_u32 v56, v63, v227
	v_dot4c_i32_i8_e32 v71, v229, v1
	v_cvt_f32_i32_e32 v130, v56
	v_mov_b32_e32 v56, 0
	v_dot4c_i32_i8_e32 v71, v230, v2
	v_dot4c_i32_i8_e32 v56, v205, v12
	;; [unrolled: 1-line block ×3, first 2 shown]
	v_mul_lo_u32 v59, v59, v204
	v_dot4c_i32_i8_e32 v56, v232, v13
	v_cvt_f32_i32_e32 v86, v59
	v_mul_lo_u32 v59, v71, v227
	v_dot4c_i32_i8_e32 v56, v233, v14
	v_cvt_f32_i32_e32 v131, v59
	v_dot4c_i32_i8_e32 v56, v234, v15
	v_dot4c_i32_i8_e32 v56, v235, v8
	v_pk_fma_f32 v[88:89], v[120:121], v[138:139], 0 op_sel_hi:[0,1,0]
	v_dot4c_i32_i8_e32 v56, v236, v9
	v_pk_fma_f32 v[86:87], v[136:137], v[86:87], 0 op_sel_hi:[1,1,0]
	v_pk_fma_f32 v[88:89], v[126:127], v[134:135], v[88:89] op_sel_hi:[0,1,1]
	v_dot4c_i32_i8_e32 v56, v237, v10
	v_pk_fma_f32 v[86:87], v[132:133], v[130:131], v[86:87]
	v_pk_mul_f32 v[88:89], v[88:89], v[104:105]
	v_dot4c_i32_i8_e32 v56, v238, v11
	v_pk_fma_f32 v[86:87], v[86:87], v[102:103], v[88:89] neg_lo:[0,0,1] neg_hi:[0,0,1]
	v_mov_b32_e32 v59, 0
	v_pk_add_f32 v[48:49], v[48:49], v[86:87]
	v_mul_lo_u32 v56, v56, v221
	v_cvt_f32_i32_e32 v87, v56
	v_mul_lo_u32 v56, v67, v243
	v_cvt_f32_i32_e32 v130, v56
	v_mov_b32_e32 v56, 0
	v_dot4c_i32_i8_e32 v56, v228, v12
	v_dot4c_i32_i8_e32 v56, v247, v13
	;; [unrolled: 1-line block ×5, first 2 shown]
	v_mov_b32_e32 v8, 0
	v_dot4c_i32_i8_e32 v8, v191, v4
	v_dot4c_i32_i8_e32 v8, v192, v5
	;; [unrolled: 1-line block ×17, first 2 shown]
	v_mul_lo_u32 v0, v65, v117
	v_mul_lo_u32 v1, v56, v117
	v_cvt_f32_i32_e32 v1, v1
	v_cvt_f32_i32_e32 v0, v0
	v_mul_lo_u32 v4, v69, v184
	v_mul_lo_u32 v5, v8, v184
	v_cvt_f32_i32_e32 v5, v5
	v_cvt_f32_i32_e32 v4, v4
	v_dot4c_i32_i8_e32 v59, v245, v2
	v_dot4c_i32_i8_e32 v59, v246, v3
	v_mul_lo_u32 v63, v255, v221
	v_pk_fma_f32 v[2:3], v[116:117], v[138:139], 0 op_sel_hi:[0,1,0]
	v_cvt_f32_i32_e32 v86, v63
	v_mul_lo_u32 v59, v59, v243
	v_pk_fma_f32 v[0:1], v[136:137], v[0:1], 0 op_sel_hi:[1,1,0]
	v_pk_fma_f32 v[2:3], v[114:115], v[134:135], v[2:3] op_sel_hi:[0,1,1]
	v_cvt_f32_i32_e32 v131, v59
	v_pk_fma_f32 v[0:1], v[132:133], v[4:5], v[0:1]
	v_pk_mul_f32 v[2:3], v[2:3], v[112:113]
	v_pk_fma_f32 v[86:87], v[136:137], v[86:87], 0 op_sel_hi:[1,1,0]
	v_pk_fma_f32 v[0:1], v[0:1], v[110:111], v[2:3] neg_lo:[0,0,1] neg_hi:[0,0,1]
	v_pk_fma_f32 v[86:87], v[132:133], v[130:131], v[86:87]
	v_pk_add_f32 v[44:45], v[44:45], v[0:1]
	v_or_b32_e32 v0, s17, v146
	v_lshlrev_b32_e32 v1, 2, v0
	v_lshrrev_b32_e32 v56, 1, v0
	ds_read_b128 v[12:15], v1 offset:16896
	ds_read_b128 v[8:11], v1 offset:16912
	;; [unrolled: 1-line block ×4, first 2 shown]
	ds_read_b64 v[130:131], v56 offset:27200
	v_mov_b32_e32 v67, 0
	v_mov_b32_e32 v69, 0
	;; [unrolled: 1-line block ×8, first 2 shown]
	s_waitcnt lgkmcnt(4)
	v_dot4c_i32_i8_e32 v67, v196, v12
	s_waitcnt lgkmcnt(2)
	v_dot4c_i32_i8_e32 v69, v195, v4
	v_dot4c_i32_i8_e32 v71, v193, v12
	;; [unrolled: 1-line block ×15, first 2 shown]
	v_pk_fma_f32 v[88:89], v[124:125], v[138:139], 0 op_sel_hi:[0,1,0]
	v_dot4c_i32_i8_e32 v67, v198, v14
	v_dot4c_i32_i8_e32 v69, v215, v6
	;; [unrolled: 1-line block ×8, first 2 shown]
	v_pk_fma_f32 v[88:89], v[128:129], v[134:135], v[88:89] op_sel_hi:[0,1,1]
	v_dot4c_i32_i8_e32 v67, v199, v15
	v_dot4c_i32_i8_e32 v69, v216, v7
	;; [unrolled: 1-line block ×8, first 2 shown]
	v_pk_mul_f32 v[88:89], v[88:89], v[108:109]
	v_dot4c_i32_i8_e32 v67, v200, v8
	s_waitcnt lgkmcnt(1)
	v_dot4c_i32_i8_e32 v69, v217, v0
	v_dot4c_i32_i8_e32 v71, v209, v8
	;; [unrolled: 1-line block ×7, first 2 shown]
	v_pk_fma_f32 v[86:87], v[86:87], v[106:107], v[88:89] neg_lo:[0,0,1] neg_hi:[0,0,1]
	v_dot4c_i32_i8_e32 v67, v201, v9
	v_dot4c_i32_i8_e32 v69, v218, v1
	;; [unrolled: 1-line block ×8, first 2 shown]
	v_or_b32_e32 v0, s17, v149
	v_pk_add_f32 v[46:47], v[46:47], v[86:87]
	v_dot4c_i32_i8_e32 v67, v202, v10
	v_dot4c_i32_i8_e32 v69, v219, v2
	;; [unrolled: 1-line block ×8, first 2 shown]
	v_lshlrev_b32_e32 v1, 2, v0
	v_lshrrev_b32_e32 v86, 1, v0
	v_dot4c_i32_i8_e32 v67, v203, v11
	v_dot4c_i32_i8_e32 v69, v220, v3
	;; [unrolled: 1-line block ×8, first 2 shown]
	ds_read_b128 v[12:15], v1 offset:16896
	ds_read_b128 v[8:11], v1 offset:16912
	;; [unrolled: 1-line block ×4, first 2 shown]
	ds_read_b64 v[86:87], v86 offset:27200
	v_mov_b32_e32 v88, 0
	s_waitcnt lgkmcnt(4)
	v_dot4c_i32_i8_e32 v88, v196, v12
	v_dot4c_i32_i8_e32 v88, v197, v13
	v_mov_b32_e32 v254, 0
	v_dot4c_i32_i8_e32 v88, v198, v14
	s_waitcnt lgkmcnt(2)
	v_dot4c_i32_i8_e32 v254, v195, v4
	v_dot4c_i32_i8_e32 v88, v199, v15
	;; [unrolled: 1-line block ×8, first 2 shown]
	s_waitcnt lgkmcnt(1)
	v_dot4c_i32_i8_e32 v254, v217, v0
	v_dot4c_i32_i8_e32 v88, v203, v11
	;; [unrolled: 1-line block ×4, first 2 shown]
	s_waitcnt lgkmcnt(0)
	v_cvt_f32_f16_e32 v137, v86
	v_cvt_f32_f16_sdwa v139, v86 dst_sel:DWORD dst_unused:UNUSED_PAD src0_sel:WORD_1
	v_mul_lo_u32 v67, v67, v194
	v_mul_lo_u32 v86, v88, v194
	v_dot4c_i32_i8_e32 v254, v220, v3
	v_cvt_f32_f16_e32 v133, v87
	v_cvt_f32_f16_sdwa v135, v87 dst_sel:DWORD dst_unused:UNUSED_PAD src0_sel:WORD_1
	v_cvt_f32_i32_e32 v87, v86
	v_cvt_f32_i32_e32 v86, v67
	v_mul_lo_u32 v67, v69, v213
	v_cvt_f32_f16_e32 v136, v130
	v_cvt_f32_f16_sdwa v138, v130 dst_sel:DWORD dst_unused:UNUSED_PAD src0_sel:WORD_1
	v_mul_lo_u32 v69, v254, v213
	v_cvt_f32_i32_e32 v130, v67
	v_mov_b32_e32 v67, 0
	v_cvt_f32_f16_e32 v132, v131
	v_cvt_f32_f16_sdwa v134, v131 dst_sel:DWORD dst_unused:UNUSED_PAD src0_sel:WORD_1
	v_cvt_f32_i32_e32 v131, v69
	v_dot4c_i32_i8_e32 v67, v193, v12
	v_mov_b32_e32 v69, 0
	v_dot4c_i32_i8_e32 v67, v206, v13
	v_dot4c_i32_i8_e32 v69, v57, v4
	;; [unrolled: 1-line block ×8, first 2 shown]
	v_pk_fma_f32 v[88:89], v[118:119], v[138:139], 0 op_sel_hi:[0,1,0]
	v_dot4c_i32_i8_e32 v67, v210, v9
	v_dot4c_i32_i8_e32 v69, v226, v0
	v_pk_fma_f32 v[86:87], v[86:87], v[136:137], 0 op_sel_hi:[1,1,0]
	v_pk_fma_f32 v[88:89], v[122:123], v[134:135], v[88:89] op_sel_hi:[0,1,1]
	v_dot4c_i32_i8_e32 v67, v211, v10
	v_dot4c_i32_i8_e32 v69, v229, v1
	v_pk_fma_f32 v[86:87], v[130:131], v[132:133], v[86:87]
	v_pk_mul_f32 v[88:89], v[88:89], v[18:19]
	v_dot4c_i32_i8_e32 v67, v212, v11
	v_dot4c_i32_i8_e32 v69, v230, v2
	v_pk_fma_f32 v[86:87], v[86:87], v[16:17], v[88:89] neg_lo:[0,0,1] neg_hi:[0,0,1]
	v_dot4c_i32_i8_e32 v69, v231, v3
	v_mul_lo_u32 v71, v71, v204
	v_mul_lo_u32 v67, v67, v204
	v_pk_add_f32 v[42:43], v[42:43], v[86:87]
	v_cvt_f32_i32_e32 v87, v67
	v_cvt_f32_i32_e32 v86, v71
	v_mul_lo_u32 v67, v73, v227
	v_mul_lo_u32 v69, v69, v227
	v_cvt_f32_i32_e32 v131, v69
	v_cvt_f32_i32_e32 v130, v67
	v_pk_fma_f32 v[88:89], v[120:121], v[138:139], 0 op_sel_hi:[0,1,0]
	v_pk_fma_f32 v[86:87], v[86:87], v[136:137], 0 op_sel_hi:[1,1,0]
	v_pk_fma_f32 v[88:89], v[126:127], v[134:135], v[88:89] op_sel_hi:[0,1,1]
	v_pk_fma_f32 v[86:87], v[130:131], v[132:133], v[86:87]
	v_pk_mul_f32 v[88:89], v[88:89], v[104:105]
	v_mul_lo_u32 v63, v63, v221
	v_pk_fma_f32 v[86:87], v[86:87], v[102:103], v[88:89] neg_lo:[0,0,1] neg_hi:[0,0,1]
	v_mov_b32_e32 v67, 0
	v_pk_add_f32 v[40:41], v[40:41], v[86:87]
	v_cvt_f32_i32_e32 v86, v63
	v_mul_lo_u32 v63, v65, v243
	v_cvt_f32_i32_e32 v130, v63
	v_mov_b32_e32 v63, 0
	v_dot4c_i32_i8_e32 v67, v205, v12
	v_dot4c_i32_i8_e32 v63, v228, v12
	v_dot4c_i32_i8_e32 v67, v232, v13
	v_dot4c_i32_i8_e32 v63, v247, v13
	v_dot4c_i32_i8_e32 v67, v233, v14
	v_dot4c_i32_i8_e32 v63, v248, v14
	v_dot4c_i32_i8_e32 v67, v234, v15
	v_dot4c_i32_i8_e32 v63, v249, v15
	v_dot4c_i32_i8_e32 v67, v235, v8
	v_dot4c_i32_i8_e32 v63, v250, v8
	v_mov_b32_e32 v8, 0
	v_dot4c_i32_i8_e32 v8, v191, v4
	v_mov_b32_e32 v69, 0
	v_dot4c_i32_i8_e32 v8, v192, v5
	v_dot4c_i32_i8_e32 v69, v222, v4
	;; [unrolled: 1-line block ×16, first 2 shown]
	v_mul_lo_u32 v0, v56, v117
	v_mul_lo_u32 v1, v63, v117
	v_dot4c_i32_i8_e32 v67, v236, v9
	v_cvt_f32_i32_e32 v1, v1
	v_cvt_f32_i32_e32 v0, v0
	v_mul_lo_u32 v4, v59, v184
	v_mul_lo_u32 v5, v8, v184
	v_dot4c_i32_i8_e32 v67, v237, v10
	v_cvt_f32_i32_e32 v5, v5
	v_cvt_f32_i32_e32 v4, v4
	v_dot4c_i32_i8_e32 v67, v238, v11
	v_dot4c_i32_i8_e32 v69, v245, v2
	;; [unrolled: 1-line block ×3, first 2 shown]
	v_pk_fma_f32 v[2:3], v[116:117], v[138:139], 0 op_sel_hi:[0,1,0]
	v_mul_lo_u32 v67, v67, v221
	v_cvt_f32_i32_e32 v87, v67
	v_mul_lo_u32 v65, v69, v243
	v_pk_fma_f32 v[0:1], v[0:1], v[136:137], 0 op_sel_hi:[1,1,0]
	v_pk_fma_f32 v[2:3], v[114:115], v[134:135], v[2:3] op_sel_hi:[0,1,1]
	v_cvt_f32_i32_e32 v131, v65
	v_pk_fma_f32 v[0:1], v[4:5], v[132:133], v[0:1]
	v_pk_mul_f32 v[2:3], v[2:3], v[112:113]
	v_pk_fma_f32 v[86:87], v[86:87], v[136:137], 0 op_sel_hi:[1,1,0]
	v_pk_fma_f32 v[0:1], v[0:1], v[110:111], v[2:3] neg_lo:[0,0,1] neg_hi:[0,0,1]
	v_pk_fma_f32 v[86:87], v[130:131], v[132:133], v[86:87]
	v_pk_add_f32 v[36:37], v[36:37], v[0:1]
	v_or_b32_e32 v0, s17, v152
	v_lshlrev_b32_e32 v1, 2, v0
	v_lshrrev_b32_e32 v56, 1, v0
	ds_read_b128 v[12:15], v1 offset:16896
	ds_read_b128 v[8:11], v1 offset:16912
	;; [unrolled: 1-line block ×4, first 2 shown]
	ds_read_b64 v[130:131], v56 offset:27200
	v_mov_b32_e32 v67, 0
	v_mov_b32_e32 v69, 0
	v_mov_b32_e32 v71, 0
	v_mov_b32_e32 v73, 0
	v_mov_b32_e32 v63, 0
	v_mov_b32_e32 v65, 0
	v_mov_b32_e32 v56, 0
	v_mov_b32_e32 v59, 0
	s_waitcnt lgkmcnt(4)
	v_dot4c_i32_i8_e32 v67, v196, v12
	s_waitcnt lgkmcnt(2)
	v_dot4c_i32_i8_e32 v69, v195, v4
	v_dot4c_i32_i8_e32 v71, v193, v12
	;; [unrolled: 1-line block ×15, first 2 shown]
	v_pk_fma_f32 v[88:89], v[124:125], v[138:139], 0 op_sel_hi:[0,1,0]
	v_dot4c_i32_i8_e32 v67, v198, v14
	v_dot4c_i32_i8_e32 v69, v215, v6
	;; [unrolled: 1-line block ×8, first 2 shown]
	v_pk_fma_f32 v[88:89], v[128:129], v[134:135], v[88:89] op_sel_hi:[0,1,1]
	v_dot4c_i32_i8_e32 v67, v199, v15
	v_dot4c_i32_i8_e32 v69, v216, v7
	;; [unrolled: 1-line block ×8, first 2 shown]
	v_pk_mul_f32 v[88:89], v[88:89], v[108:109]
	v_dot4c_i32_i8_e32 v67, v200, v8
	s_waitcnt lgkmcnt(1)
	v_dot4c_i32_i8_e32 v69, v217, v0
	v_dot4c_i32_i8_e32 v71, v209, v8
	;; [unrolled: 1-line block ×7, first 2 shown]
	v_pk_fma_f32 v[86:87], v[86:87], v[106:107], v[88:89] neg_lo:[0,0,1] neg_hi:[0,0,1]
	v_dot4c_i32_i8_e32 v67, v201, v9
	v_dot4c_i32_i8_e32 v69, v218, v1
	;; [unrolled: 1-line block ×8, first 2 shown]
	v_or_b32_e32 v0, s17, v155
	v_pk_add_f32 v[38:39], v[38:39], v[86:87]
	v_dot4c_i32_i8_e32 v67, v202, v10
	v_dot4c_i32_i8_e32 v69, v219, v2
	;; [unrolled: 1-line block ×8, first 2 shown]
	v_lshlrev_b32_e32 v1, 2, v0
	v_lshrrev_b32_e32 v86, 1, v0
	v_dot4c_i32_i8_e32 v67, v203, v11
	v_dot4c_i32_i8_e32 v69, v220, v3
	;; [unrolled: 1-line block ×8, first 2 shown]
	ds_read_b128 v[12:15], v1 offset:16896
	ds_read_b128 v[8:11], v1 offset:16912
	;; [unrolled: 1-line block ×4, first 2 shown]
	ds_read_b64 v[86:87], v86 offset:27200
	v_mov_b32_e32 v88, 0
	s_waitcnt lgkmcnt(4)
	v_dot4c_i32_i8_e32 v88, v196, v12
	v_dot4c_i32_i8_e32 v88, v197, v13
	v_mov_b32_e32 v254, 0
	v_dot4c_i32_i8_e32 v88, v198, v14
	s_waitcnt lgkmcnt(2)
	v_dot4c_i32_i8_e32 v254, v195, v4
	v_dot4c_i32_i8_e32 v88, v199, v15
	;; [unrolled: 1-line block ×8, first 2 shown]
	s_waitcnt lgkmcnt(1)
	v_dot4c_i32_i8_e32 v254, v217, v0
	v_dot4c_i32_i8_e32 v88, v203, v11
	v_dot4c_i32_i8_e32 v254, v218, v1
	v_dot4c_i32_i8_e32 v254, v219, v2
	s_waitcnt lgkmcnt(0)
	v_cvt_f32_f16_e32 v137, v86
	v_cvt_f32_f16_sdwa v139, v86 dst_sel:DWORD dst_unused:UNUSED_PAD src0_sel:WORD_1
	v_mul_lo_u32 v67, v67, v194
	v_mul_lo_u32 v86, v88, v194
	v_dot4c_i32_i8_e32 v254, v220, v3
	v_cvt_f32_f16_e32 v133, v87
	v_cvt_f32_f16_sdwa v135, v87 dst_sel:DWORD dst_unused:UNUSED_PAD src0_sel:WORD_1
	v_cvt_f32_i32_e32 v87, v86
	v_cvt_f32_i32_e32 v86, v67
	v_mul_lo_u32 v67, v69, v213
	v_cvt_f32_f16_e32 v136, v130
	v_cvt_f32_f16_sdwa v138, v130 dst_sel:DWORD dst_unused:UNUSED_PAD src0_sel:WORD_1
	v_mul_lo_u32 v69, v254, v213
	v_cvt_f32_i32_e32 v130, v67
	v_mov_b32_e32 v67, 0
	v_cvt_f32_f16_e32 v132, v131
	v_cvt_f32_f16_sdwa v134, v131 dst_sel:DWORD dst_unused:UNUSED_PAD src0_sel:WORD_1
	v_cvt_f32_i32_e32 v131, v69
	v_dot4c_i32_i8_e32 v67, v193, v12
	v_mov_b32_e32 v69, 0
	v_dot4c_i32_i8_e32 v67, v206, v13
	v_dot4c_i32_i8_e32 v69, v57, v4
	;; [unrolled: 1-line block ×8, first 2 shown]
	v_pk_fma_f32 v[88:89], v[118:119], v[138:139], 0 op_sel_hi:[0,1,0]
	v_dot4c_i32_i8_e32 v67, v210, v9
	v_dot4c_i32_i8_e32 v69, v226, v0
	v_pk_fma_f32 v[86:87], v[86:87], v[136:137], 0 op_sel_hi:[1,1,0]
	v_pk_fma_f32 v[88:89], v[122:123], v[134:135], v[88:89] op_sel_hi:[0,1,1]
	v_dot4c_i32_i8_e32 v67, v211, v10
	v_dot4c_i32_i8_e32 v69, v229, v1
	v_pk_fma_f32 v[86:87], v[130:131], v[132:133], v[86:87]
	v_pk_mul_f32 v[88:89], v[88:89], v[18:19]
	v_dot4c_i32_i8_e32 v67, v212, v11
	v_dot4c_i32_i8_e32 v69, v230, v2
	v_pk_fma_f32 v[86:87], v[86:87], v[16:17], v[88:89] neg_lo:[0,0,1] neg_hi:[0,0,1]
	v_dot4c_i32_i8_e32 v69, v231, v3
	v_mul_lo_u32 v71, v71, v204
	v_mul_lo_u32 v67, v67, v204
	v_pk_add_f32 v[34:35], v[34:35], v[86:87]
	v_cvt_f32_i32_e32 v87, v67
	v_cvt_f32_i32_e32 v86, v71
	v_mul_lo_u32 v67, v73, v227
	v_mul_lo_u32 v69, v69, v227
	v_cvt_f32_i32_e32 v131, v69
	v_cvt_f32_i32_e32 v130, v67
	v_pk_fma_f32 v[88:89], v[120:121], v[138:139], 0 op_sel_hi:[0,1,0]
	v_pk_fma_f32 v[86:87], v[86:87], v[136:137], 0 op_sel_hi:[1,1,0]
	;; [unrolled: 1-line block ×3, first 2 shown]
	v_pk_fma_f32 v[86:87], v[130:131], v[132:133], v[86:87]
	v_pk_mul_f32 v[88:89], v[88:89], v[104:105]
	v_mul_lo_u32 v63, v63, v221
	v_pk_fma_f32 v[86:87], v[86:87], v[102:103], v[88:89] neg_lo:[0,0,1] neg_hi:[0,0,1]
	v_mov_b32_e32 v67, 0
	v_pk_add_f32 v[32:33], v[32:33], v[86:87]
	v_cvt_f32_i32_e32 v86, v63
	v_mul_lo_u32 v63, v65, v243
	v_cvt_f32_i32_e32 v130, v63
	v_mov_b32_e32 v63, 0
	v_dot4c_i32_i8_e32 v67, v205, v12
	v_dot4c_i32_i8_e32 v63, v228, v12
	;; [unrolled: 1-line block ×10, first 2 shown]
	v_mov_b32_e32 v8, 0
	v_dot4c_i32_i8_e32 v8, v191, v4
	v_mov_b32_e32 v69, 0
	v_dot4c_i32_i8_e32 v8, v192, v5
	v_dot4c_i32_i8_e32 v69, v222, v4
	;; [unrolled: 1-line block ×16, first 2 shown]
	v_mul_lo_u32 v0, v56, v117
	v_mul_lo_u32 v1, v63, v117
	v_cvt_f32_i32_e32 v1, v1
	v_cvt_f32_i32_e32 v0, v0
	v_mul_lo_u32 v4, v59, v184
	v_mul_lo_u32 v5, v8, v184
	v_cvt_f32_i32_e32 v5, v5
	v_cvt_f32_i32_e32 v4, v4
	v_dot4c_i32_i8_e32 v69, v245, v2
	v_dot4c_i32_i8_e32 v69, v246, v3
	v_pk_fma_f32 v[2:3], v[116:117], v[138:139], 0 op_sel_hi:[0,1,0]
	v_pk_fma_f32 v[0:1], v[0:1], v[136:137], 0 op_sel_hi:[1,1,0]
	;; [unrolled: 1-line block ×3, first 2 shown]
	v_pk_fma_f32 v[0:1], v[4:5], v[132:133], v[0:1]
	v_pk_mul_f32 v[2:3], v[2:3], v[112:113]
	v_dot4c_i32_i8_e32 v67, v236, v9
	v_pk_fma_f32 v[0:1], v[0:1], v[110:111], v[2:3] neg_lo:[0,0,1] neg_hi:[0,0,1]
	v_dot4c_i32_i8_e32 v67, v237, v10
	v_pk_add_f32 v[28:29], v[28:29], v[0:1]
	v_or_b32_e32 v0, s17, v158
	v_lshlrev_b32_e32 v1, 2, v0
	v_dot4c_i32_i8_e32 v67, v238, v11
	v_pk_fma_f32 v[88:89], v[124:125], v[138:139], 0 op_sel_hi:[0,1,0]
	v_lshrrev_b32_e32 v56, 1, v0
	ds_read_b128 v[12:15], v1 offset:16896
	ds_read_b128 v[8:11], v1 offset:16912
	;; [unrolled: 1-line block ×4, first 2 shown]
	ds_read_b64 v[138:139], v56 offset:27200
	v_mul_lo_u32 v67, v67, v221
	v_mul_lo_u32 v65, v69, v243
	v_cvt_f32_i32_e32 v87, v67
	v_cvt_f32_i32_e32 v131, v65
	v_mov_b32_e32 v63, 0
	v_mov_b32_e32 v65, 0
	;; [unrolled: 1-line block ×8, first 2 shown]
	s_waitcnt lgkmcnt(4)
	v_dot4c_i32_i8_e32 v63, v196, v12
	s_waitcnt lgkmcnt(2)
	v_dot4c_i32_i8_e32 v65, v195, v4
	v_dot4c_i32_i8_e32 v67, v193, v12
	;; [unrolled: 1-line block ×31, first 2 shown]
	v_pk_fma_f32 v[86:87], v[86:87], v[136:137], 0 op_sel_hi:[1,1,0]
	v_pk_fma_f32 v[88:89], v[128:129], v[134:135], v[88:89] op_sel_hi:[0,1,1]
	v_dot4c_i32_i8_e32 v63, v200, v8
	s_waitcnt lgkmcnt(1)
	v_dot4c_i32_i8_e32 v65, v217, v0
	v_dot4c_i32_i8_e32 v67, v209, v8
	;; [unrolled: 1-line block ×7, first 2 shown]
	v_pk_fma_f32 v[86:87], v[130:131], v[132:133], v[86:87]
	v_pk_mul_f32 v[88:89], v[88:89], v[108:109]
	v_dot4c_i32_i8_e32 v63, v201, v9
	v_dot4c_i32_i8_e32 v65, v218, v1
	;; [unrolled: 1-line block ×8, first 2 shown]
	v_or_b32_e32 v0, s17, v161
	v_pk_fma_f32 v[86:87], v[86:87], v[106:107], v[88:89] neg_lo:[0,0,1] neg_hi:[0,0,1]
	v_dot4c_i32_i8_e32 v63, v202, v10
	v_dot4c_i32_i8_e32 v65, v219, v2
	;; [unrolled: 1-line block ×8, first 2 shown]
	v_lshlrev_b32_e32 v1, 2, v0
	v_pk_add_f32 v[30:31], v[30:31], v[86:87]
	v_dot4c_i32_i8_e32 v63, v203, v11
	v_dot4c_i32_i8_e32 v65, v220, v3
	;; [unrolled: 1-line block ×8, first 2 shown]
	v_lshrrev_b32_e32 v71, 1, v0
	ds_read_b128 v[12:15], v1 offset:16896
	ds_read_b128 v[8:11], v1 offset:16912
	;; [unrolled: 1-line block ×4, first 2 shown]
	ds_read_b64 v[86:87], v71 offset:27200
	v_mov_b32_e32 v73, 0
	v_mov_b32_e32 v71, 0
	s_waitcnt lgkmcnt(2)
	v_dot4c_i32_i8_e32 v73, v195, v4
	v_dot4c_i32_i8_e32 v71, v196, v12
	v_dot4c_i32_i8_e32 v73, v214, v5
	v_dot4c_i32_i8_e32 v71, v197, v13
	v_dot4c_i32_i8_e32 v73, v215, v6
	v_dot4c_i32_i8_e32 v71, v198, v14
	v_dot4c_i32_i8_e32 v73, v216, v7
	v_dot4c_i32_i8_e32 v71, v199, v15
	s_waitcnt lgkmcnt(1)
	v_dot4c_i32_i8_e32 v73, v217, v0
	v_dot4c_i32_i8_e32 v71, v200, v8
	;; [unrolled: 1-line block ×5, first 2 shown]
	v_mul_lo_u32 v63, v63, v194
	v_dot4c_i32_i8_e32 v71, v202, v10
	v_dot4c_i32_i8_e32 v73, v220, v3
	s_waitcnt lgkmcnt(0)
	v_cvt_f32_f16_e32 v137, v86
	v_cvt_f32_f16_sdwa v135, v86 dst_sel:DWORD dst_unused:UNUSED_PAD src0_sel:WORD_1
	v_cvt_f32_i32_e32 v86, v63
	v_mul_lo_u32 v63, v65, v213
	v_dot4c_i32_i8_e32 v71, v203, v11
	v_cvt_f32_f16_e32 v136, v138
	v_cvt_f32_f16_sdwa v134, v138 dst_sel:DWORD dst_unused:UNUSED_PAD src0_sel:WORD_1
	v_mul_lo_u32 v65, v73, v213
	v_cvt_f32_i32_e32 v138, v63
	v_mov_b32_e32 v63, 0
	v_cvt_f32_f16_e32 v132, v139
	v_cvt_f32_f16_sdwa v130, v139 dst_sel:DWORD dst_unused:UNUSED_PAD src0_sel:WORD_1
	v_mul_lo_u32 v71, v71, v194
	v_cvt_f32_i32_e32 v139, v65
	v_dot4c_i32_i8_e32 v63, v193, v12
	v_mov_b32_e32 v65, 0
	v_cvt_f32_f16_e32 v133, v87
	v_cvt_f32_f16_sdwa v131, v87 dst_sel:DWORD dst_unused:UNUSED_PAD src0_sel:WORD_1
	v_cvt_f32_i32_e32 v87, v71
	v_dot4c_i32_i8_e32 v63, v206, v13
	v_dot4c_i32_i8_e32 v65, v57, v4
	;; [unrolled: 1-line block ×6, first 2 shown]
	v_pk_fma_f32 v[88:89], v[118:119], v[134:135], 0 op_sel_hi:[0,1,0]
	v_dot4c_i32_i8_e32 v63, v209, v8
	v_dot4c_i32_i8_e32 v65, v225, v7
	v_pk_fma_f32 v[86:87], v[86:87], v[136:137], 0 op_sel_hi:[1,1,0]
	v_pk_fma_f32 v[88:89], v[122:123], v[130:131], v[88:89] op_sel_hi:[0,1,1]
	v_dot4c_i32_i8_e32 v63, v210, v9
	v_dot4c_i32_i8_e32 v65, v226, v0
	v_pk_fma_f32 v[86:87], v[138:139], v[132:133], v[86:87]
	v_pk_mul_f32 v[88:89], v[88:89], v[18:19]
	v_dot4c_i32_i8_e32 v63, v211, v10
	v_dot4c_i32_i8_e32 v65, v229, v1
	v_pk_fma_f32 v[86:87], v[86:87], v[16:17], v[88:89] neg_lo:[0,0,1] neg_hi:[0,0,1]
	v_dot4c_i32_i8_e32 v63, v212, v11
	v_dot4c_i32_i8_e32 v65, v230, v2
	v_mul_lo_u32 v57, v67, v204
	v_pk_add_f32 v[26:27], v[26:27], v[86:87]
	v_dot4c_i32_i8_e32 v65, v231, v3
	v_mul_lo_u32 v63, v63, v204
	v_cvt_f32_i32_e32 v86, v57
	v_mul_lo_u32 v57, v69, v227
	v_cvt_f32_i32_e32 v87, v63
	;; [unrolled: 2-line block ×3, first 2 shown]
	v_mov_b32_e32 v57, 0
	v_cvt_f32_i32_e32 v139, v63
	v_dot4c_i32_i8_e32 v57, v205, v12
	v_mov_b32_e32 v63, 0
	v_dot4c_i32_i8_e32 v57, v232, v13
	v_dot4c_i32_i8_e32 v63, v222, v4
	;; [unrolled: 1-line block ×12, first 2 shown]
	v_pk_fma_f32 v[88:89], v[120:121], v[134:135], 0 op_sel_hi:[0,1,0]
	v_dot4c_i32_i8_e32 v57, v238, v11
	v_dot4c_i32_i8_e32 v63, v245, v2
	v_pk_fma_f32 v[86:87], v[86:87], v[136:137], 0 op_sel_hi:[1,1,0]
	v_pk_fma_f32 v[88:89], v[126:127], v[130:131], v[88:89] op_sel_hi:[0,1,1]
	v_dot4c_i32_i8_e32 v63, v246, v3
	v_mul_lo_u32 v56, v56, v221
	v_mul_lo_u32 v57, v57, v221
	v_pk_fma_f32 v[86:87], v[138:139], v[132:133], v[86:87]
	v_pk_mul_f32 v[88:89], v[88:89], v[104:105]
	v_cvt_f32_i32_e32 v57, v57
	v_cvt_f32_i32_e32 v56, v56
	v_mul_lo_u32 v59, v59, v243
	v_mul_lo_u32 v63, v63, v243
	v_pk_fma_f32 v[86:87], v[86:87], v[102:103], v[88:89] neg_lo:[0,0,1] neg_hi:[0,0,1]
	v_cvt_f32_i32_e32 v89, v63
	v_cvt_f32_i32_e32 v88, v59
	v_pk_add_f32 v[24:25], v[24:25], v[86:87]
	v_pk_fma_f32 v[86:87], v[124:125], v[134:135], 0 op_sel_hi:[0,1,0]
	v_pk_fma_f32 v[56:57], v[56:57], v[136:137], 0 op_sel_hi:[1,1,0]
	;; [unrolled: 1-line block ×3, first 2 shown]
	v_pk_fma_f32 v[56:57], v[88:89], v[132:133], v[56:57]
	v_pk_mul_f32 v[86:87], v[86:87], v[108:109]
	s_mov_b32 s18, 8
	v_pk_fma_f32 v[56:57], v[56:57], v[106:107], v[86:87] neg_lo:[0,0,1] neg_hi:[0,0,1]
	s_and_b64 vcc, exec, s[4:5]
	v_pk_add_f32 v[22:23], v[22:23], v[56:57]
	v_mov_b32_e32 v56, 0
	v_dot4c_i32_i8_e32 v56, v228, v12
	v_dot4c_i32_i8_e32 v56, v247, v13
	;; [unrolled: 1-line block ×5, first 2 shown]
	v_mov_b32_e32 v8, 0
	v_dot4c_i32_i8_e32 v8, v191, v4
	v_dot4c_i32_i8_e32 v8, v192, v5
	;; [unrolled: 1-line block ×11, first 2 shown]
	v_mul_lo_u32 v0, v255, v117
	v_mul_lo_u32 v1, v56, v117
	v_cvt_f32_i32_e32 v1, v1
	v_cvt_f32_i32_e32 v0, v0
	v_mul_lo_u32 v4, v254, v184
	v_mul_lo_u32 v5, v8, v184
	v_cvt_f32_i32_e32 v5, v5
	v_cvt_f32_i32_e32 v4, v4
	v_pk_fma_f32 v[2:3], v[116:117], v[134:135], 0 op_sel_hi:[0,1,0]
	v_pk_fma_f32 v[0:1], v[0:1], v[136:137], 0 op_sel_hi:[1,1,0]
	;; [unrolled: 1-line block ×3, first 2 shown]
	v_pk_fma_f32 v[0:1], v[4:5], v[132:133], v[0:1]
	v_pk_mul_f32 v[2:3], v[2:3], v[112:113]
	s_mov_b64 s[4:5], 0
	v_pk_fma_f32 v[0:1], v[0:1], v[110:111], v[2:3] neg_lo:[0,0,1] neg_hi:[0,0,1]
	s_nop 0
	v_pk_add_f32 v[20:21], v[20:21], v[0:1]
	s_cbranch_vccnz .LBB151_6
; %bb.7:                                ;   in Loop: Header=BB151_5 Depth=1
	v_add_u32_e32 v14, s16, v164
	v_add_u32_e32 v0, v14, v140
	;; [unrolled: 1-line block ×6, first 2 shown]
	v_mad_i64_i32 v[0:1], s[4:5], v0, 36, v[94:95]
	v_mad_i64_i32 v[2:3], s[4:5], v2, 36, v[94:95]
	;; [unrolled: 1-line block ×5, first 2 shown]
	v_add_u32_e32 v10, v14, v154
	v_add_u32_e32 v12, v14, v157
	v_add_u32_e32 v14, v14, v160
	s_barrier
	v_mad_i64_i32 v[10:11], s[4:5], v10, 36, v[94:95]
	v_mad_i64_i32 v[12:13], s[4:5], v12, 36, v[94:95]
	;; [unrolled: 1-line block ×3, first 2 shown]
	global_load_dword v16, v[0:1], off offset:4
	s_nop 0
	global_load_dword v2, v[2:3], off offset:4
	s_nop 0
	;; [unrolled: 2-line block ×3, first 2 shown]
	global_load_dword v4, v[6:7], off offset:4
	global_load_dword v5, v[8:9], off offset:4
	s_nop 0
	global_load_dword v6, v[10:11], off offset:4
	global_load_dword v7, v[12:13], off offset:4
	;; [unrolled: 1-line block ×3, first 2 shown]
	v_add_u32_e32 v0, 4, v115
	v_mad_u64_u32 v[0:1], s[4:5], v0, 36, s[2:3]
	global_load_dword v0, v[0:1], off
	s_mov_b32 s4, 16
	s_mov_b32 s5, 0
	v_mov_b32_e32 v131, v174
	v_mov_b32_e32 v133, v173
	s_mov_b32 s16, 0
	v_mov_b32_e32 v184, v172
	s_waitcnt vmcnt(8)
	ds_write_b32 v141, v16
	s_waitcnt vmcnt(7)
	ds_write_b32 v144, v2
	;; [unrolled: 2-line block ×9, first 2 shown]
	s_waitcnt lgkmcnt(0)
	s_barrier
	ds_read_b32 v0, v163
	ds_read_b32 v1, v165 offset:128
	ds_read_b32 v2, v166 offset:256
	;; [unrolled: 1-line block ×3, first 2 shown]
	s_waitcnt lgkmcnt(2)
	v_cvt_f32_f16_e32 v106, v1
	v_cvt_f32_f16_e32 v102, v0
	v_cvt_f32_f16_sdwa v104, v0 dst_sel:DWORD dst_unused:UNUSED_PAD src0_sel:WORD_1
	v_cvt_f32_f16_sdwa v108, v1 dst_sel:DWORD dst_unused:UNUSED_PAD src0_sel:WORD_1
	s_waitcnt lgkmcnt(1)
	v_cvt_f32_f16_e32 v110, v2
	v_cvt_f32_f16_sdwa v112, v2 dst_sel:DWORD dst_unused:UNUSED_PAD src0_sel:WORD_1
	s_waitcnt lgkmcnt(0)
	v_cvt_f32_f16_e32 v114, v3
	v_cvt_f32_f16_sdwa v116, v3 dst_sel:DWORD dst_unused:UNUSED_PAD src0_sel:WORD_1
	v_mov_b32_e32 v103, v102
	v_mov_b32_e32 v105, v104
	;; [unrolled: 1-line block ×8, first 2 shown]
.LBB151_8:                              ;   Parent Loop BB151_5 Depth=1
                                        ; =>  This Inner Loop Header: Depth=2
	ds_read_b128 v[16:19], v131
	ds_read_b128 v[12:15], v131 offset:16
	ds_read_b128 v[8:11], v131 offset:32
	;; [unrolled: 1-line block ×3, first 2 shown]
	ds_read2_b64 v[0:3], v133 offset1:16
	ds_read2_b32 v[86:87], v184 offset1:1
	ds_read2_b32 v[88:89], v184 offset0:2 offset1:3
	ds_read2_b32 v[134:135], v184 offset0:4 offset1:5
	;; [unrolled: 1-line block ×3, first 2 shown]
	s_lshr_b32 s17, s4, 2
	s_and_b32 s17, s17, 0x3ffffffc
	v_add_u32_e32 v69, s5, v175
	s_waitcnt lgkmcnt(3)
	v_lshrrev_b32_e32 v65, 4, v87
	v_add3_u32 v57, v179, s17, v69
	v_and_b32_e32 v225, 0xf0f0f0f, v65
	s_waitcnt lgkmcnt(2)
	v_lshrrev_b32_e32 v65, 4, v88
	ds_read_u16 v59, v57 offset:25088
	ds_read_u16 v57, v57 offset:25096
	v_and_b32_e32 v226, 0xf0f0f0f, v65
	v_lshrrev_b32_e32 v65, 4, v89
	v_and_b32_e32 v227, 0xf0f0f0f, v65
	s_waitcnt lgkmcnt(3)
	v_lshrrev_b32_e32 v65, 4, v134
	v_and_b32_e32 v228, 0xf0f0f0f, v65
	v_lshrrev_b32_e32 v65, 4, v135
	v_and_b32_e32 v229, 0xf0f0f0f, v65
	s_waitcnt lgkmcnt(2)
	v_lshrrev_b32_e32 v65, 4, v136
	s_waitcnt lgkmcnt(1)
	v_and_b32_e32 v211, 0xff, v59
	v_and_b32_e32 v230, 0xf0f0f0f, v65
	v_lshrrev_b32_e32 v65, 4, v137
	v_lshrrev_b16_e32 v224, 8, v59
	v_add_u32_e32 v59, 0x1080, v184
	v_and_b32_e32 v202, 0xf0f0f0f, v86
	v_and_b32_e32 v201, 0xf0f0f0f, v87
	v_lshrrev_b32_e32 v63, 4, v86
	v_and_b32_e32 v233, 0xf0f0f0f, v65
	ds_read2_b32 v[86:87], v59 offset1:1
	v_add_u32_e32 v65, 0x1088, v184
	v_and_b32_e32 v204, 0xf0f0f0f, v88
	v_and_b32_e32 v205, 0xf0f0f0f, v89
	ds_read2_b32 v[88:89], v65 offset1:1
	v_add_u32_e32 v65, 0x1090, v184
	v_and_b32_e32 v208, 0xf0f0f0f, v134
	v_and_b32_e32 v209, 0xf0f0f0f, v135
	ds_read2_b32 v[134:135], v65 offset1:1
	v_add_u32_e32 v65, 0x1098, v184
	v_and_b32_e32 v213, 0xf0f0f0f, v136
	v_and_b32_e32 v214, 0xf0f0f0f, v137
	ds_read2_b32 v[136:137], v65 offset1:1
	s_waitcnt lgkmcnt(3)
	v_lshrrev_b32_e32 v71, 4, v87
	v_and_b32_e32 v235, 0xf0f0f0f, v71
	s_waitcnt lgkmcnt(2)
	v_lshrrev_b32_e32 v71, 4, v88
	v_cvt_f32_ubyte0_e32 v122, v57
	v_cvt_f32_ubyte1_e32 v126, v57
	v_add3_u32 v57, v178, s17, v69
	v_and_b32_e32 v237, 0xf0f0f0f, v71
	v_lshrrev_b32_e32 v71, 4, v89
	ds_read_u16 v65, v57 offset:25600
	ds_read_u16 v57, v57 offset:25608
	v_and_b32_e32 v239, 0xf0f0f0f, v71
	s_waitcnt lgkmcnt(3)
	v_lshrrev_b32_e32 v71, 4, v134
	v_and_b32_e32 v241, 0xf0f0f0f, v71
	v_lshrrev_b32_e32 v71, 4, v135
	v_and_b32_e32 v244, 0xf0f0f0f, v71
	s_waitcnt lgkmcnt(2)
	v_lshrrev_b32_e32 v71, 4, v136
	v_and_b32_e32 v245, 0xf0f0f0f, v71
	v_lshrrev_b32_e32 v71, 4, v137
	s_waitcnt lgkmcnt(1)
	v_and_b32_e32 v218, 0xff, v65
	v_and_b32_e32 v247, 0xf0f0f0f, v71
	v_lshrrev_b16_e32 v242, 8, v65
	v_add_u32_e32 v65, 0x2100, v184
	v_add_u32_e32 v71, 0x2108, v184
	v_and_b32_e32 v203, 0xf0f0f0f, v86
	v_and_b32_e32 v206, 0xf0f0f0f, v87
	;; [unrolled: 1-line block ×4, first 2 shown]
	v_lshrrev_b32_e32 v67, 4, v86
	ds_read2_b32 v[86:87], v65 offset1:1
	ds_read2_b32 v[88:89], v71 offset1:1
	v_add_u32_e32 v71, 0x2110, v184
	v_and_b32_e32 v216, 0xf0f0f0f, v134
	v_and_b32_e32 v217, 0xf0f0f0f, v135
	s_waitcnt lgkmcnt(2)
	v_cvt_f32_ubyte0_e32 v124, v57
	v_cvt_f32_ubyte1_e32 v130, v57
	v_add3_u32 v57, v177, s17, v69
	ds_read2_b32 v[134:135], v71 offset1:1
	v_add_u32_e32 v71, 0x2118, v184
	v_and_b32_e32 v219, 0xf0f0f0f, v136
	v_and_b32_e32 v220, 0xf0f0f0f, v137
	ds_read2_b32 v[136:137], v71 offset1:1
	ds_read_u16 v73, v57 offset:26112
	ds_read_u16 v118, v57 offset:26120
	s_waitcnt lgkmcnt(5)
	v_lshrrev_b32_e32 v57, 4, v86
	v_and_b32_e32 v221, 0xf0f0f0f, v86
	v_and_b32_e32 v223, 0xf0f0f0f, v87
	s_waitcnt lgkmcnt(1)
	v_and_b32_e32 v234, 0xff, v73
	v_lshrrev_b16_e32 v253, 8, v73
	v_add3_u32 v73, v176, s17, v69
	v_add_u32_e32 v69, 0x3180, v184
	v_and_b32_e32 v246, 0xf0f0f0f, v57
	v_lshrrev_b32_e32 v57, 4, v87
	ds_read2_b32 v[86:87], v69 offset1:1
	v_mov_b32_e32 v56, 0
	v_mov_b32_e32 v59, 0
	;; [unrolled: 1-line block ×4, first 2 shown]
	s_waitcnt lgkmcnt(0)
	v_and_b32_e32 v248, 0xf0f0f0f, v86
	v_dot4c_i32_i8_e32 v56, v202, v16
	v_dot4c_i32_i8_e32 v59, v203, v16
	;; [unrolled: 1-line block ×4, first 2 shown]
	v_and_b32_e32 v207, 0xf0f0f0f, v87
	v_add_u32_e32 v16, 0x3188, v184
	v_dot4c_i32_i8_e32 v56, v201, v17
	v_dot4c_i32_i8_e32 v59, v206, v17
	v_dot4c_i32_i8_e32 v65, v223, v17
	v_dot4c_i32_i8_e32 v69, v207, v17
	ds_read2_b32 v[16:17], v16 offset1:1
	v_and_b32_e32 v231, 0xf0f0f0f, v88
	v_dot4c_i32_i8_e32 v56, v204, v18
	v_dot4c_i32_i8_e32 v59, v210, v18
	v_dot4c_i32_i8_e32 v65, v231, v18
	s_waitcnt lgkmcnt(0)
	v_and_b32_e32 v196, 0xf0f0f0f, v16
	v_and_b32_e32 v232, 0xf0f0f0f, v89
	v_dot4c_i32_i8_e32 v69, v196, v18
	v_and_b32_e32 v195, 0xf0f0f0f, v17
	v_add_u32_e32 v18, 0x3190, v184
	v_dot4c_i32_i8_e32 v56, v205, v19
	v_dot4c_i32_i8_e32 v59, v212, v19
	v_dot4c_i32_i8_e32 v65, v232, v19
	v_dot4c_i32_i8_e32 v69, v195, v19
	ds_read2_b32 v[18:19], v18 offset1:1
	v_and_b32_e32 v236, 0xf0f0f0f, v134
	v_dot4c_i32_i8_e32 v56, v208, v12
	v_dot4c_i32_i8_e32 v59, v216, v12
	v_dot4c_i32_i8_e32 v65, v236, v12
	s_waitcnt lgkmcnt(0)
	v_and_b32_e32 v197, 0xf0f0f0f, v18
	v_and_b32_e32 v238, 0xf0f0f0f, v135
	v_dot4c_i32_i8_e32 v69, v197, v12
	v_and_b32_e32 v198, 0xf0f0f0f, v19
	v_add_u32_e32 v12, 0x3198, v184
	v_dot4c_i32_i8_e32 v56, v209, v13
	v_dot4c_i32_i8_e32 v59, v217, v13
	v_dot4c_i32_i8_e32 v65, v238, v13
	v_dot4c_i32_i8_e32 v69, v198, v13
	ds_read2_b32 v[12:13], v12 offset1:1
	v_and_b32_e32 v240, 0xf0f0f0f, v136
	v_dot4c_i32_i8_e32 v56, v213, v14
	v_dot4c_i32_i8_e32 v59, v219, v14
	v_dot4c_i32_i8_e32 v65, v240, v14
	s_waitcnt lgkmcnt(0)
	v_and_b32_e32 v199, 0xf0f0f0f, v12
	v_and_b32_e32 v243, 0xf0f0f0f, v137
	v_dot4c_i32_i8_e32 v69, v199, v14
	v_and_b32_e32 v200, 0xf0f0f0f, v13
	v_dot4c_i32_i8_e32 v56, v214, v15
	v_dot4c_i32_i8_e32 v59, v220, v15
	;; [unrolled: 1-line block ×4, first 2 shown]
	ds_read_u16 v14, v73 offset:26624
	ds_read_u16 v15, v73 offset:26632
	v_lshrrev_b32_e32 v73, 4, v86
	v_and_b32_e32 v215, 0xf0f0f0f, v63
	v_mov_b32_e32 v63, 0
	v_and_b32_e32 v222, 0xf0f0f0f, v67
	v_mov_b32_e32 v67, 0
	v_mov_b32_e32 v71, 0
	v_and_b32_e32 v191, 0xf0f0f0f, v73
	v_mov_b32_e32 v73, 0
	v_dot4c_i32_i8_e32 v63, v215, v8
	v_dot4c_i32_i8_e32 v67, v222, v8
	;; [unrolled: 1-line block ×4, first 2 shown]
	v_lshrrev_b32_e32 v8, 4, v87
	v_and_b32_e32 v249, 0xf0f0f0f, v57
	v_lshrrev_b32_e32 v57, 4, v88
	v_and_b32_e32 v194, 0xf0f0f0f, v8
	v_lshrrev_b32_e32 v8, 4, v16
	v_dot4c_i32_i8_e32 v63, v225, v9
	v_dot4c_i32_i8_e32 v67, v235, v9
	;; [unrolled: 1-line block ×3, first 2 shown]
	v_and_b32_e32 v250, 0xf0f0f0f, v57
	v_lshrrev_b32_e32 v57, 4, v89
	v_dot4c_i32_i8_e32 v73, v194, v9
	v_and_b32_e32 v193, 0xf0f0f0f, v8
	v_lshrrev_b32_e32 v8, 4, v17
	v_dot4c_i32_i8_e32 v63, v226, v10
	v_dot4c_i32_i8_e32 v67, v237, v10
	;; [unrolled: 1-line block ×3, first 2 shown]
	v_and_b32_e32 v251, 0xf0f0f0f, v57
	v_lshrrev_b32_e32 v57, 4, v134
	v_dot4c_i32_i8_e32 v73, v193, v10
	v_and_b32_e32 v187, 0xf0f0f0f, v8
	v_lshrrev_b32_e32 v8, 4, v18
	v_dot4c_i32_i8_e32 v63, v227, v11
	v_dot4c_i32_i8_e32 v67, v239, v11
	;; [unrolled: 1-line block ×3, first 2 shown]
	v_and_b32_e32 v252, 0xf0f0f0f, v57
	v_dot4c_i32_i8_e32 v73, v187, v11
	v_and_b32_e32 v188, 0xf0f0f0f, v8
	v_dot4c_i32_i8_e32 v63, v228, v4
	v_dot4c_i32_i8_e32 v67, v241, v4
	;; [unrolled: 1-line block ×3, first 2 shown]
	v_lshrrev_b32_e32 v57, 4, v135
	v_dot4c_i32_i8_e32 v73, v188, v4
	v_lshrrev_b32_e32 v4, 4, v19
	v_and_b32_e32 v254, 0xf0f0f0f, v57
	v_lshrrev_b32_e32 v57, 4, v136
	v_and_b32_e32 v189, 0xf0f0f0f, v4
	v_lshrrev_b32_e32 v4, 4, v12
	v_dot4c_i32_i8_e32 v63, v229, v5
	v_dot4c_i32_i8_e32 v67, v244, v5
	;; [unrolled: 1-line block ×3, first 2 shown]
	v_and_b32_e32 v255, 0xf0f0f0f, v57
	v_lshrrev_b32_e32 v57, 4, v137
	v_dot4c_i32_i8_e32 v73, v189, v5
	v_and_b32_e32 v190, 0xf0f0f0f, v4
	v_lshrrev_b32_e32 v4, 4, v13
	v_dot4c_i32_i8_e32 v63, v230, v6
	v_dot4c_i32_i8_e32 v67, v245, v6
	;; [unrolled: 1-line block ×3, first 2 shown]
	v_and_b32_e32 v57, 0xf0f0f0f, v57
	v_dot4c_i32_i8_e32 v73, v190, v6
	v_and_b32_e32 v192, 0xf0f0f0f, v4
	v_dot4c_i32_i8_e32 v63, v233, v7
	v_dot4c_i32_i8_e32 v67, v247, v7
	v_cvt_f32_ubyte0_e32 v128, v118
	v_dot4c_i32_i8_e32 v71, v57, v7
	v_cvt_f32_ubyte1_e32 v132, v118
	s_waitcnt lgkmcnt(1)
	v_and_b32_e32 v186, 0xff, v14
	s_waitcnt lgkmcnt(0)
	v_cvt_f32_ubyte0_e32 v120, v15
	v_dot4c_i32_i8_e32 v73, v192, v7
	v_lshrrev_b16_e32 v185, 8, v14
	v_cvt_f32_ubyte1_e32 v118, v15
	ds_read_b128 v[16:19], v131 offset:1024
	ds_read_b128 v[12:15], v131 offset:1040
	;; [unrolled: 1-line block ×4, first 2 shown]
	v_mov_b32_e32 v86, 0
	s_waitcnt lgkmcnt(3)
	v_dot4c_i32_i8_e32 v86, v202, v16
	v_mov_b32_e32 v88, 0
	v_dot4c_i32_i8_e32 v86, v201, v17
	s_waitcnt lgkmcnt(1)
	v_dot4c_i32_i8_e32 v88, v215, v8
	v_dot4c_i32_i8_e32 v86, v204, v18
	;; [unrolled: 1-line block ×8, first 2 shown]
	s_waitcnt lgkmcnt(0)
	v_dot4c_i32_i8_e32 v88, v228, v4
	v_dot4c_i32_i8_e32 v86, v213, v14
	;; [unrolled: 1-line block ×6, first 2 shown]
	v_cvt_f32_f16_e32 v137, v2
	v_cvt_f32_f16_e32 v136, v0
	v_cvt_f32_f16_sdwa v139, v2 dst_sel:DWORD dst_unused:UNUSED_PAD src0_sel:WORD_1
	v_cvt_f32_f16_sdwa v138, v0 dst_sel:DWORD dst_unused:UNUSED_PAD src0_sel:WORD_1
	v_cvt_f32_f16_e32 v134, v1
	v_cvt_f32_f16_sdwa v2, v1 dst_sel:DWORD dst_unused:UNUSED_PAD src0_sel:WORD_1
	v_mul_lo_u32 v0, v56, v211
	v_mul_lo_u32 v1, v86, v211
	v_cvt_f32_f16_e32 v135, v3
	v_cvt_f32_f16_sdwa v3, v3 dst_sel:DWORD dst_unused:UNUSED_PAD src0_sel:WORD_1
	v_cvt_f32_i32_e32 v1, v1
	v_cvt_f32_i32_e32 v0, v0
	v_mul_lo_u32 v56, v63, v224
	v_mul_lo_u32 v63, v88, v224
	v_cvt_f32_i32_e32 v89, v63
	v_cvt_f32_i32_e32 v88, v56
	v_pk_fma_f32 v[86:87], v[122:123], v[138:139], 0 op_sel_hi:[0,1,0]
	v_pk_fma_f32 v[0:1], v[136:137], v[0:1], 0 op_sel_hi:[1,1,0]
	;; [unrolled: 1-line block ×3, first 2 shown]
	v_pk_fma_f32 v[0:1], v[134:135], v[88:89], v[0:1]
	v_pk_mul_f32 v[86:87], v[86:87], v[104:105]
	v_mov_b32_e32 v56, 0
	v_pk_fma_f32 v[0:1], v[0:1], v[102:103], v[86:87] neg_lo:[0,0,1] neg_hi:[0,0,1]
	v_dot4c_i32_i8_e32 v56, v222, v8
	v_pk_add_f32 v[50:51], v[50:51], v[0:1]
	v_mov_b32_e32 v0, 0
	v_dot4c_i32_i8_e32 v0, v203, v16
	v_dot4c_i32_i8_e32 v0, v206, v17
	;; [unrolled: 1-line block ×15, first 2 shown]
	v_mul_lo_u32 v59, v59, v218
	v_mul_lo_u32 v0, v0, v218
	v_cvt_f32_i32_e32 v1, v0
	v_cvt_f32_i32_e32 v0, v59
	v_mul_lo_u32 v59, v67, v242
	v_mul_lo_u32 v56, v56, v242
	v_cvt_f32_i32_e32 v89, v56
	v_cvt_f32_i32_e32 v88, v59
	v_pk_fma_f32 v[86:87], v[124:125], v[138:139], 0 op_sel_hi:[0,1,0]
	v_pk_fma_f32 v[0:1], v[136:137], v[0:1], 0 op_sel_hi:[1,1,0]
	;; [unrolled: 1-line block ×3, first 2 shown]
	v_pk_fma_f32 v[0:1], v[134:135], v[88:89], v[0:1]
	v_pk_mul_f32 v[86:87], v[86:87], v[108:109]
	v_mov_b32_e32 v56, 0
	v_pk_fma_f32 v[0:1], v[0:1], v[106:107], v[86:87] neg_lo:[0,0,1] neg_hi:[0,0,1]
	v_dot4c_i32_i8_e32 v56, v246, v8
	v_pk_add_f32 v[48:49], v[48:49], v[0:1]
	v_mov_b32_e32 v0, 0
	v_dot4c_i32_i8_e32 v0, v221, v16
	v_dot4c_i32_i8_e32 v0, v223, v17
	;; [unrolled: 1-line block ×15, first 2 shown]
	v_mul_lo_u32 v59, v65, v234
	v_mul_lo_u32 v0, v0, v234
	v_cvt_f32_i32_e32 v1, v0
	v_cvt_f32_i32_e32 v0, v59
	v_mul_lo_u32 v59, v71, v253
	v_mul_lo_u32 v56, v56, v253
	v_cvt_f32_i32_e32 v89, v56
	v_cvt_f32_i32_e32 v88, v59
	v_pk_fma_f32 v[86:87], v[128:129], v[138:139], 0 op_sel_hi:[0,1,0]
	v_pk_fma_f32 v[0:1], v[136:137], v[0:1], 0 op_sel_hi:[1,1,0]
	;; [unrolled: 1-line block ×3, first 2 shown]
	v_pk_fma_f32 v[0:1], v[134:135], v[88:89], v[0:1]
	v_pk_mul_f32 v[86:87], v[86:87], v[112:113]
	v_mov_b32_e32 v65, 0
	v_pk_fma_f32 v[0:1], v[0:1], v[110:111], v[86:87] neg_lo:[0,0,1] neg_hi:[0,0,1]
	v_mov_b32_e32 v67, 0
	v_pk_add_f32 v[46:47], v[46:47], v[0:1]
	v_mov_b32_e32 v0, 0
	v_dot4c_i32_i8_e32 v0, v248, v16
	v_dot4c_i32_i8_e32 v0, v207, v17
	;; [unrolled: 1-line block ×5, first 2 shown]
	v_mov_b32_e32 v12, 0
	v_dot4c_i32_i8_e32 v12, v191, v8
	v_dot4c_i32_i8_e32 v12, v194, v9
	;; [unrolled: 1-line block ×11, first 2 shown]
	v_mul_lo_u32 v4, v69, v186
	v_mul_lo_u32 v0, v0, v186
	v_cvt_f32_i32_e32 v1, v0
	v_cvt_f32_i32_e32 v0, v4
	v_mul_lo_u32 v6, v73, v185
	v_mul_lo_u32 v7, v12, v185
	v_cvt_f32_i32_e32 v7, v7
	v_cvt_f32_i32_e32 v6, v6
	v_pk_fma_f32 v[4:5], v[120:121], v[138:139], 0 op_sel_hi:[0,1,0]
	v_pk_fma_f32 v[0:1], v[136:137], v[0:1], 0 op_sel_hi:[1,1,0]
	;; [unrolled: 1-line block ×3, first 2 shown]
	v_pk_fma_f32 v[0:1], v[134:135], v[6:7], v[0:1]
	v_pk_mul_f32 v[2:3], v[2:3], v[116:117]
	v_mov_b32_e32 v69, 0
	v_pk_fma_f32 v[0:1], v[0:1], v[114:115], v[2:3] neg_lo:[0,0,1] neg_hi:[0,0,1]
	v_mov_b32_e32 v71, 0
	v_pk_add_f32 v[44:45], v[44:45], v[0:1]
	ds_read_b128 v[8:11], v131 offset:2048
	ds_read_b128 v[12:15], v131 offset:2064
	ds_read2_b64 v[16:19], v133 offset0:32 offset1:48
	ds_read_b128 v[4:7], v131 offset:2080
	ds_read_b128 v[0:3], v131 offset:2096
	v_mov_b32_e32 v63, 0
	v_mov_b32_e32 v73, 0
	;; [unrolled: 1-line block ×4, first 2 shown]
	s_waitcnt lgkmcnt(4)
	v_dot4c_i32_i8_e32 v65, v202, v8
	s_waitcnt lgkmcnt(1)
	v_dot4c_i32_i8_e32 v67, v215, v4
	v_dot4c_i32_i8_e32 v69, v203, v8
	;; [unrolled: 1-line block ×32, first 2 shown]
	s_waitcnt lgkmcnt(0)
	v_dot4c_i32_i8_e32 v67, v228, v0
	v_dot4c_i32_i8_e32 v69, v216, v12
	;; [unrolled: 1-line block ×31, first 2 shown]
	ds_read_b128 v[12:15], v131 offset:3072
	ds_read_b128 v[8:11], v131 offset:3088
	;; [unrolled: 1-line block ×4, first 2 shown]
	v_mov_b32_e32 v86, 0
	s_waitcnt lgkmcnt(3)
	v_dot4c_i32_i8_e32 v86, v202, v12
	v_mov_b32_e32 v88, 0
	v_dot4c_i32_i8_e32 v86, v201, v13
	s_waitcnt lgkmcnt(1)
	v_dot4c_i32_i8_e32 v88, v215, v4
	v_dot4c_i32_i8_e32 v86, v204, v14
	;; [unrolled: 1-line block ×8, first 2 shown]
	s_waitcnt lgkmcnt(0)
	v_dot4c_i32_i8_e32 v88, v228, v0
	v_dot4c_i32_i8_e32 v86, v213, v10
	;; [unrolled: 1-line block ×6, first 2 shown]
	v_cvt_f32_f16_e32 v137, v18
	v_cvt_f32_f16_e32 v136, v16
	v_cvt_f32_f16_sdwa v139, v18 dst_sel:DWORD dst_unused:UNUSED_PAD src0_sel:WORD_1
	v_cvt_f32_f16_sdwa v138, v16 dst_sel:DWORD dst_unused:UNUSED_PAD src0_sel:WORD_1
	v_cvt_f32_f16_e32 v134, v17
	v_cvt_f32_f16_sdwa v18, v17 dst_sel:DWORD dst_unused:UNUSED_PAD src0_sel:WORD_1
	v_mul_lo_u32 v16, v65, v211
	v_mul_lo_u32 v17, v86, v211
	v_cvt_f32_f16_e32 v135, v19
	v_cvt_f32_f16_sdwa v19, v19 dst_sel:DWORD dst_unused:UNUSED_PAD src0_sel:WORD_1
	v_cvt_f32_i32_e32 v17, v17
	v_cvt_f32_i32_e32 v16, v16
	v_mul_lo_u32 v65, v67, v224
	v_mul_lo_u32 v67, v88, v224
	v_cvt_f32_i32_e32 v89, v67
	v_cvt_f32_i32_e32 v88, v65
	v_pk_fma_f32 v[86:87], v[122:123], v[138:139], 0 op_sel_hi:[0,1,0]
	v_pk_fma_f32 v[16:17], v[16:17], v[136:137], 0 op_sel_hi:[1,1,0]
	;; [unrolled: 1-line block ×3, first 2 shown]
	v_pk_fma_f32 v[16:17], v[88:89], v[134:135], v[16:17]
	v_pk_mul_f32 v[86:87], v[86:87], v[104:105]
	v_mov_b32_e32 v65, 0
	v_pk_fma_f32 v[16:17], v[16:17], v[102:103], v[86:87] neg_lo:[0,0,1] neg_hi:[0,0,1]
	v_dot4c_i32_i8_e32 v65, v222, v4
	v_pk_add_f32 v[42:43], v[42:43], v[16:17]
	v_mov_b32_e32 v16, 0
	v_dot4c_i32_i8_e32 v16, v203, v12
	v_dot4c_i32_i8_e32 v16, v206, v13
	;; [unrolled: 1-line block ×15, first 2 shown]
	v_mul_lo_u32 v67, v69, v218
	v_mul_lo_u32 v16, v16, v218
	v_cvt_f32_i32_e32 v17, v16
	v_cvt_f32_i32_e32 v16, v67
	v_mul_lo_u32 v67, v71, v242
	v_mul_lo_u32 v65, v65, v242
	v_cvt_f32_i32_e32 v89, v65
	v_cvt_f32_i32_e32 v88, v67
	v_pk_fma_f32 v[86:87], v[124:125], v[138:139], 0 op_sel_hi:[0,1,0]
	v_pk_fma_f32 v[16:17], v[16:17], v[136:137], 0 op_sel_hi:[1,1,0]
	;; [unrolled: 1-line block ×3, first 2 shown]
	v_pk_fma_f32 v[16:17], v[88:89], v[134:135], v[16:17]
	v_pk_mul_f32 v[86:87], v[86:87], v[108:109]
	v_mov_b32_e32 v65, 0
	v_pk_fma_f32 v[16:17], v[16:17], v[106:107], v[86:87] neg_lo:[0,0,1] neg_hi:[0,0,1]
	v_dot4c_i32_i8_e32 v65, v246, v4
	v_pk_add_f32 v[40:41], v[40:41], v[16:17]
	v_mov_b32_e32 v16, 0
	v_dot4c_i32_i8_e32 v16, v221, v12
	v_dot4c_i32_i8_e32 v16, v223, v13
	;; [unrolled: 1-line block ×15, first 2 shown]
	v_mul_lo_u32 v63, v63, v234
	v_mul_lo_u32 v16, v16, v234
	v_cvt_f32_i32_e32 v17, v16
	v_cvt_f32_i32_e32 v16, v63
	v_mul_lo_u32 v63, v73, v253
	v_mul_lo_u32 v65, v65, v253
	v_cvt_f32_i32_e32 v89, v65
	v_cvt_f32_i32_e32 v88, v63
	v_pk_fma_f32 v[86:87], v[128:129], v[138:139], 0 op_sel_hi:[0,1,0]
	v_pk_fma_f32 v[16:17], v[16:17], v[136:137], 0 op_sel_hi:[1,1,0]
	;; [unrolled: 1-line block ×3, first 2 shown]
	v_pk_fma_f32 v[16:17], v[88:89], v[134:135], v[16:17]
	v_pk_mul_f32 v[86:87], v[86:87], v[112:113]
	v_mov_b32_e32 v67, 0
	v_pk_fma_f32 v[16:17], v[16:17], v[110:111], v[86:87] neg_lo:[0,0,1] neg_hi:[0,0,1]
	v_mov_b32_e32 v69, 0
	v_pk_add_f32 v[38:39], v[38:39], v[16:17]
	v_mov_b32_e32 v16, 0
	v_dot4c_i32_i8_e32 v16, v248, v12
	v_dot4c_i32_i8_e32 v16, v207, v13
	;; [unrolled: 1-line block ×5, first 2 shown]
	v_mov_b32_e32 v8, 0
	v_dot4c_i32_i8_e32 v8, v191, v4
	v_dot4c_i32_i8_e32 v8, v194, v5
	v_dot4c_i32_i8_e32 v8, v193, v6
	v_dot4c_i32_i8_e32 v8, v187, v7
	v_dot4c_i32_i8_e32 v16, v198, v9
	v_dot4c_i32_i8_e32 v8, v188, v0
	v_dot4c_i32_i8_e32 v16, v199, v10
	v_dot4c_i32_i8_e32 v8, v189, v1
	v_dot4c_i32_i8_e32 v16, v200, v11
	v_dot4c_i32_i8_e32 v8, v190, v2
	v_dot4c_i32_i8_e32 v8, v192, v3
	v_mul_lo_u32 v0, v56, v186
	v_mul_lo_u32 v1, v16, v186
	v_cvt_f32_i32_e32 v1, v1
	v_cvt_f32_i32_e32 v0, v0
	v_mul_lo_u32 v4, v59, v185
	v_mul_lo_u32 v5, v8, v185
	v_cvt_f32_i32_e32 v5, v5
	v_cvt_f32_i32_e32 v4, v4
	v_pk_fma_f32 v[2:3], v[120:121], v[138:139], 0 op_sel_hi:[0,1,0]
	v_pk_fma_f32 v[0:1], v[0:1], v[136:137], 0 op_sel_hi:[1,1,0]
	;; [unrolled: 1-line block ×3, first 2 shown]
	v_pk_fma_f32 v[0:1], v[4:5], v[134:135], v[0:1]
	v_pk_mul_f32 v[2:3], v[2:3], v[116:117]
	v_mov_b32_e32 v71, 0
	v_pk_fma_f32 v[0:1], v[0:1], v[114:115], v[2:3] neg_lo:[0,0,1] neg_hi:[0,0,1]
	v_mov_b32_e32 v73, 0
	v_pk_add_f32 v[36:37], v[36:37], v[0:1]
	ds_read_b128 v[12:15], v131 offset:4096
	ds_read_b128 v[8:11], v131 offset:4112
	ds_read2_b64 v[16:19], v133 offset0:64 offset1:80
	ds_read_b128 v[4:7], v131 offset:4128
	ds_read_b128 v[0:3], v131 offset:4144
	v_mov_b32_e32 v63, 0
	v_mov_b32_e32 v65, 0
	;; [unrolled: 1-line block ×4, first 2 shown]
	s_waitcnt lgkmcnt(4)
	v_dot4c_i32_i8_e32 v67, v202, v12
	s_waitcnt lgkmcnt(1)
	v_dot4c_i32_i8_e32 v69, v215, v4
	v_dot4c_i32_i8_e32 v71, v203, v12
	;; [unrolled: 1-line block ×32, first 2 shown]
	s_waitcnt lgkmcnt(0)
	v_dot4c_i32_i8_e32 v69, v228, v0
	v_dot4c_i32_i8_e32 v71, v216, v8
	;; [unrolled: 1-line block ×31, first 2 shown]
	ds_read_b128 v[12:15], v131 offset:5120
	ds_read_b128 v[8:11], v131 offset:5136
	;; [unrolled: 1-line block ×4, first 2 shown]
	v_mov_b32_e32 v86, 0
	s_waitcnt lgkmcnt(3)
	v_dot4c_i32_i8_e32 v86, v202, v12
	v_mov_b32_e32 v88, 0
	v_dot4c_i32_i8_e32 v86, v201, v13
	s_waitcnt lgkmcnt(1)
	v_dot4c_i32_i8_e32 v88, v215, v4
	v_dot4c_i32_i8_e32 v86, v204, v14
	;; [unrolled: 1-line block ×8, first 2 shown]
	s_waitcnt lgkmcnt(0)
	v_dot4c_i32_i8_e32 v88, v228, v0
	v_dot4c_i32_i8_e32 v86, v213, v10
	;; [unrolled: 1-line block ×6, first 2 shown]
	v_cvt_f32_f16_e32 v137, v18
	v_cvt_f32_f16_e32 v136, v16
	v_cvt_f32_f16_sdwa v139, v18 dst_sel:DWORD dst_unused:UNUSED_PAD src0_sel:WORD_1
	v_cvt_f32_f16_sdwa v138, v16 dst_sel:DWORD dst_unused:UNUSED_PAD src0_sel:WORD_1
	v_cvt_f32_f16_e32 v134, v17
	v_cvt_f32_f16_sdwa v18, v17 dst_sel:DWORD dst_unused:UNUSED_PAD src0_sel:WORD_1
	v_mul_lo_u32 v16, v67, v211
	v_mul_lo_u32 v17, v86, v211
	v_cvt_f32_f16_e32 v135, v19
	v_cvt_f32_f16_sdwa v19, v19 dst_sel:DWORD dst_unused:UNUSED_PAD src0_sel:WORD_1
	v_cvt_f32_i32_e32 v17, v17
	v_cvt_f32_i32_e32 v16, v16
	v_mul_lo_u32 v67, v69, v224
	v_mul_lo_u32 v69, v88, v224
	v_cvt_f32_i32_e32 v89, v69
	v_cvt_f32_i32_e32 v88, v67
	v_pk_fma_f32 v[86:87], v[122:123], v[138:139], 0 op_sel_hi:[0,1,0]
	v_pk_fma_f32 v[16:17], v[16:17], v[136:137], 0 op_sel_hi:[1,1,0]
	;; [unrolled: 1-line block ×3, first 2 shown]
	v_pk_fma_f32 v[16:17], v[88:89], v[134:135], v[16:17]
	v_pk_mul_f32 v[86:87], v[86:87], v[104:105]
	v_mov_b32_e32 v67, 0
	v_pk_fma_f32 v[16:17], v[16:17], v[102:103], v[86:87] neg_lo:[0,0,1] neg_hi:[0,0,1]
	v_dot4c_i32_i8_e32 v67, v222, v4
	v_pk_add_f32 v[34:35], v[34:35], v[16:17]
	v_mov_b32_e32 v16, 0
	v_dot4c_i32_i8_e32 v16, v203, v12
	v_dot4c_i32_i8_e32 v16, v206, v13
	;; [unrolled: 1-line block ×15, first 2 shown]
	v_mul_lo_u32 v69, v71, v218
	v_mul_lo_u32 v16, v16, v218
	v_cvt_f32_i32_e32 v17, v16
	v_cvt_f32_i32_e32 v16, v69
	v_mul_lo_u32 v69, v73, v242
	v_mul_lo_u32 v67, v67, v242
	v_cvt_f32_i32_e32 v89, v67
	v_cvt_f32_i32_e32 v88, v69
	v_pk_fma_f32 v[86:87], v[124:125], v[138:139], 0 op_sel_hi:[0,1,0]
	v_pk_fma_f32 v[16:17], v[16:17], v[136:137], 0 op_sel_hi:[1,1,0]
	;; [unrolled: 1-line block ×3, first 2 shown]
	v_pk_fma_f32 v[16:17], v[88:89], v[134:135], v[16:17]
	v_pk_mul_f32 v[86:87], v[86:87], v[108:109]
	v_mov_b32_e32 v67, 0
	v_pk_fma_f32 v[16:17], v[16:17], v[106:107], v[86:87] neg_lo:[0,0,1] neg_hi:[0,0,1]
	v_dot4c_i32_i8_e32 v67, v246, v4
	v_pk_add_f32 v[32:33], v[32:33], v[16:17]
	v_mov_b32_e32 v16, 0
	v_dot4c_i32_i8_e32 v16, v221, v12
	v_dot4c_i32_i8_e32 v16, v223, v13
	;; [unrolled: 1-line block ×15, first 2 shown]
	v_mul_lo_u32 v63, v63, v234
	v_mul_lo_u32 v16, v16, v234
	v_cvt_f32_i32_e32 v17, v16
	v_cvt_f32_i32_e32 v16, v63
	v_mul_lo_u32 v63, v65, v253
	v_mul_lo_u32 v65, v67, v253
	v_cvt_f32_i32_e32 v89, v65
	v_cvt_f32_i32_e32 v88, v63
	v_pk_fma_f32 v[86:87], v[128:129], v[138:139], 0 op_sel_hi:[0,1,0]
	v_pk_fma_f32 v[16:17], v[16:17], v[136:137], 0 op_sel_hi:[1,1,0]
	;; [unrolled: 1-line block ×3, first 2 shown]
	v_pk_fma_f32 v[16:17], v[88:89], v[134:135], v[16:17]
	v_pk_mul_f32 v[86:87], v[86:87], v[112:113]
	v_mov_b32_e32 v71, 0
	v_pk_fma_f32 v[16:17], v[16:17], v[110:111], v[86:87] neg_lo:[0,0,1] neg_hi:[0,0,1]
	v_mov_b32_e32 v73, 0
	v_pk_add_f32 v[30:31], v[30:31], v[16:17]
	v_mov_b32_e32 v16, 0
	v_dot4c_i32_i8_e32 v16, v248, v12
	v_dot4c_i32_i8_e32 v16, v207, v13
	;; [unrolled: 1-line block ×5, first 2 shown]
	v_mov_b32_e32 v8, 0
	v_dot4c_i32_i8_e32 v8, v191, v4
	v_dot4c_i32_i8_e32 v8, v194, v5
	;; [unrolled: 1-line block ×11, first 2 shown]
	v_mul_lo_u32 v0, v56, v186
	v_mul_lo_u32 v1, v16, v186
	v_cvt_f32_i32_e32 v1, v1
	v_cvt_f32_i32_e32 v0, v0
	v_mul_lo_u32 v4, v59, v185
	v_mul_lo_u32 v5, v8, v185
	v_cvt_f32_i32_e32 v5, v5
	v_cvt_f32_i32_e32 v4, v4
	v_pk_fma_f32 v[2:3], v[120:121], v[138:139], 0 op_sel_hi:[0,1,0]
	v_pk_fma_f32 v[0:1], v[0:1], v[136:137], 0 op_sel_hi:[1,1,0]
	;; [unrolled: 1-line block ×3, first 2 shown]
	v_pk_fma_f32 v[0:1], v[4:5], v[134:135], v[0:1]
	v_pk_mul_f32 v[2:3], v[2:3], v[116:117]
	v_mov_b32_e32 v67, 0
	v_pk_fma_f32 v[0:1], v[0:1], v[114:115], v[2:3] neg_lo:[0,0,1] neg_hi:[0,0,1]
	v_mov_b32_e32 v69, 0
	v_pk_add_f32 v[28:29], v[28:29], v[0:1]
	ds_read_b128 v[0:3], v131 offset:6144
	ds_read_b128 v[4:7], v131 offset:6160
	ds_read2_b64 v[16:19], v133 offset0:96 offset1:112
	ds_read_b128 v[8:11], v131 offset:6176
	ds_read_b128 v[12:15], v131 offset:6192
	v_mov_b32_e32 v63, 0
	v_mov_b32_e32 v65, 0
	;; [unrolled: 1-line block ×4, first 2 shown]
	s_waitcnt lgkmcnt(4)
	v_dot4c_i32_i8_e32 v71, v202, v0
	s_waitcnt lgkmcnt(1)
	v_dot4c_i32_i8_e32 v73, v215, v8
	v_dot4c_i32_i8_e32 v67, v203, v0
	;; [unrolled: 1-line block ×32, first 2 shown]
	s_waitcnt lgkmcnt(0)
	v_dot4c_i32_i8_e32 v73, v228, v12
	v_dot4c_i32_i8_e32 v67, v216, v4
	;; [unrolled: 1-line block ×31, first 2 shown]
	ds_read_b128 v[8:11], v131 offset:7168
	ds_read_b128 v[12:15], v131 offset:7184
	;; [unrolled: 1-line block ×4, first 2 shown]
	v_mov_b32_e32 v86, 0
	s_waitcnt lgkmcnt(3)
	v_dot4c_i32_i8_e32 v86, v202, v8
	v_mov_b32_e32 v88, 0
	v_dot4c_i32_i8_e32 v86, v201, v9
	s_waitcnt lgkmcnt(1)
	v_dot4c_i32_i8_e32 v88, v215, v4
	v_dot4c_i32_i8_e32 v86, v204, v10
	;; [unrolled: 1-line block ×8, first 2 shown]
	s_waitcnt lgkmcnt(0)
	v_dot4c_i32_i8_e32 v88, v228, v0
	v_dot4c_i32_i8_e32 v86, v213, v14
	;; [unrolled: 1-line block ×6, first 2 shown]
	v_cvt_f32_f16_e32 v139, v18
	v_cvt_f32_f16_e32 v138, v16
	v_cvt_f32_f16_sdwa v137, v18 dst_sel:DWORD dst_unused:UNUSED_PAD src0_sel:WORD_1
	v_cvt_f32_f16_sdwa v136, v16 dst_sel:DWORD dst_unused:UNUSED_PAD src0_sel:WORD_1
	v_cvt_f32_f16_e32 v134, v17
	v_cvt_f32_f16_sdwa v18, v17 dst_sel:DWORD dst_unused:UNUSED_PAD src0_sel:WORD_1
	v_mul_lo_u32 v16, v71, v211
	v_mul_lo_u32 v17, v86, v211
	v_cvt_f32_f16_e32 v135, v19
	v_cvt_f32_f16_sdwa v19, v19 dst_sel:DWORD dst_unused:UNUSED_PAD src0_sel:WORD_1
	v_cvt_f32_i32_e32 v17, v17
	v_cvt_f32_i32_e32 v16, v16
	v_mul_lo_u32 v71, v73, v224
	v_mul_lo_u32 v73, v88, v224
	v_cvt_f32_i32_e32 v89, v73
	v_cvt_f32_i32_e32 v88, v71
	v_pk_fma_f32 v[86:87], v[122:123], v[136:137], 0 op_sel_hi:[0,1,0]
	v_pk_fma_f32 v[16:17], v[16:17], v[138:139], 0 op_sel_hi:[1,1,0]
	;; [unrolled: 1-line block ×3, first 2 shown]
	v_pk_fma_f32 v[16:17], v[88:89], v[134:135], v[16:17]
	v_pk_mul_f32 v[86:87], v[86:87], v[104:105]
	v_mov_b32_e32 v71, 0
	v_pk_fma_f32 v[16:17], v[16:17], v[102:103], v[86:87] neg_lo:[0,0,1] neg_hi:[0,0,1]
	v_dot4c_i32_i8_e32 v71, v222, v4
	v_pk_add_f32 v[26:27], v[26:27], v[16:17]
	v_mov_b32_e32 v16, 0
	v_dot4c_i32_i8_e32 v16, v203, v8
	v_dot4c_i32_i8_e32 v16, v206, v9
	;; [unrolled: 1-line block ×15, first 2 shown]
	v_mul_lo_u32 v67, v67, v218
	v_mul_lo_u32 v16, v16, v218
	v_cvt_f32_i32_e32 v17, v16
	v_cvt_f32_i32_e32 v16, v67
	v_mul_lo_u32 v67, v69, v242
	v_mul_lo_u32 v69, v71, v242
	v_cvt_f32_i32_e32 v89, v69
	v_cvt_f32_i32_e32 v88, v67
	v_pk_fma_f32 v[86:87], v[124:125], v[136:137], 0 op_sel_hi:[0,1,0]
	v_pk_fma_f32 v[16:17], v[16:17], v[138:139], 0 op_sel_hi:[1,1,0]
	;; [unrolled: 1-line block ×3, first 2 shown]
	v_pk_fma_f32 v[16:17], v[88:89], v[134:135], v[16:17]
	v_pk_mul_f32 v[86:87], v[86:87], v[108:109]
	v_mov_b32_e32 v67, 0
	v_pk_fma_f32 v[16:17], v[16:17], v[106:107], v[86:87] neg_lo:[0,0,1] neg_hi:[0,0,1]
	v_dot4c_i32_i8_e32 v67, v246, v4
	v_pk_add_f32 v[24:25], v[24:25], v[16:17]
	v_mov_b32_e32 v16, 0
	v_dot4c_i32_i8_e32 v16, v221, v8
	v_dot4c_i32_i8_e32 v16, v223, v9
	v_dot4c_i32_i8_e32 v16, v231, v10
	v_dot4c_i32_i8_e32 v67, v249, v5
	v_dot4c_i32_i8_e32 v16, v232, v11
	v_dot4c_i32_i8_e32 v67, v250, v6
	v_dot4c_i32_i8_e32 v16, v236, v12
	v_dot4c_i32_i8_e32 v67, v251, v7
	v_dot4c_i32_i8_e32 v16, v238, v13
	v_dot4c_i32_i8_e32 v67, v252, v0
	v_dot4c_i32_i8_e32 v16, v240, v14
	v_dot4c_i32_i8_e32 v67, v254, v1
	v_dot4c_i32_i8_e32 v16, v243, v15
	v_dot4c_i32_i8_e32 v67, v255, v2
	v_dot4c_i32_i8_e32 v67, v57, v3
	v_mul_lo_u32 v57, v63, v234
	v_mul_lo_u32 v16, v16, v234
	v_cvt_f32_i32_e32 v17, v16
	v_cvt_f32_i32_e32 v16, v57
	v_mul_lo_u32 v57, v65, v253
	v_mul_lo_u32 v63, v67, v253
	v_cvt_f32_i32_e32 v89, v63
	v_cvt_f32_i32_e32 v88, v57
	v_pk_fma_f32 v[86:87], v[128:129], v[136:137], 0 op_sel_hi:[0,1,0]
	v_pk_fma_f32 v[16:17], v[16:17], v[138:139], 0 op_sel_hi:[1,1,0]
	;; [unrolled: 1-line block ×3, first 2 shown]
	v_pk_fma_f32 v[16:17], v[88:89], v[134:135], v[16:17]
	v_pk_mul_f32 v[86:87], v[86:87], v[112:113]
	s_add_i32 s4, s4, 8
	v_pk_fma_f32 v[16:17], v[16:17], v[110:111], v[86:87] neg_lo:[0,0,1] neg_hi:[0,0,1]
	s_add_i32 s17, s16, 8
	v_pk_add_f32 v[22:23], v[22:23], v[16:17]
	v_mov_b32_e32 v16, 0
	v_dot4c_i32_i8_e32 v16, v248, v8
	v_mov_b32_e32 v8, 0
	v_dot4c_i32_i8_e32 v16, v207, v9
	v_dot4c_i32_i8_e32 v8, v191, v4
	;; [unrolled: 1-line block ×15, first 2 shown]
	v_mul_lo_u32 v0, v56, v186
	v_mul_lo_u32 v1, v16, v186
	v_cvt_f32_i32_e32 v1, v1
	v_cvt_f32_i32_e32 v0, v0
	v_mul_lo_u32 v4, v59, v185
	v_mul_lo_u32 v5, v8, v185
	v_cvt_f32_i32_e32 v5, v5
	v_cvt_f32_i32_e32 v4, v4
	v_pk_fma_f32 v[2:3], v[120:121], v[136:137], 0 op_sel_hi:[0,1,0]
	v_pk_fma_f32 v[0:1], v[0:1], v[138:139], 0 op_sel_hi:[1,1,0]
	;; [unrolled: 1-line block ×3, first 2 shown]
	v_pk_fma_f32 v[0:1], v[4:5], v[134:135], v[0:1]
	v_pk_mul_f32 v[2:3], v[2:3], v[116:117]
	s_add_i32 s16, s16, 16
	v_pk_fma_f32 v[0:1], v[0:1], v[114:115], v[2:3] neg_lo:[0,0,1] neg_hi:[0,0,1]
	s_add_i32 s5, s5, 2
	v_pk_add_f32 v[20:21], v[20:21], v[0:1]
	v_add_u32_e32 v184, 32, v184
	v_add_u32_e32 v133, 8, v133
	;; [unrolled: 1-line block ×3, first 2 shown]
	s_cmp_lt_u32 s16, 24
	s_mov_b32 s16, s17
	s_cbranch_scc1 .LBB151_8
; %bb.9:                                ;   in Loop: Header=BB151_5 Depth=1
	s_add_i32 s0, s0, 1
	s_cmp_eq_u32 s0, s7
	s_barrier
	s_cbranch_scc0 .LBB151_5
; %bb.10:
	scratch_load_dword v1, off, off offset:24 ; 4-byte Folded Reload
	scratch_load_dword v2, off, off offset:28 ; 4-byte Folded Reload
.LBB151_11:
	s_waitcnt vmcnt(0)
	v_cmp_gt_u32_e32 vcc, s8, v2
	s_and_saveexec_b64 s[0:1], vcc
	s_cbranch_execz .LBB151_62
; %bb.12:
	v_add_u32_e32 v0, s6, v53
	v_mul_lo_u32 v5, v2, s10
	v_cmp_gt_u32_e32 vcc, s10, v0
	s_and_saveexec_b64 s[0:1], vcc
	s_cbranch_execz .LBB151_14
; %bb.13:
	v_cvt_f16_f32_e32 v4, v50
	v_add_u32_e32 v2, v0, v5
	v_mov_b32_e32 v3, 0
	s_waitcnt lgkmcnt(0)
	v_lshl_add_u64 v[2:3], v[2:3], 1, s[12:13]
	global_store_short v[2:3], v4, off
.LBB151_14:
	s_or_b64 exec, exec, s[0:1]
	v_add_u32_e32 v2, 32, v0
	v_cmp_gt_u32_e64 s[0:1], s10, v2
	s_and_saveexec_b64 s[2:3], s[0:1]
	s_cbranch_execz .LBB151_16
; %bb.15:
	v_cvt_f16_f32_e32 v3, v48
	v_add_u32_e32 v6, v2, v5
	v_mov_b32_e32 v7, 0
	s_waitcnt lgkmcnt(0)
	v_lshl_add_u64 v[6:7], v[6:7], 1, s[12:13]
	global_store_short v[6:7], v3, off
.LBB151_16:
	s_or_b64 exec, exec, s[2:3]
	v_add_u32_e32 v3, 64, v0
	v_cmp_gt_u32_e64 s[2:3], s10, v3
	s_and_saveexec_b64 s[4:5], s[2:3]
	;; [unrolled: 13-line block ×3, first 2 shown]
	s_cbranch_execz .LBB151_20
; %bb.19:
	v_cvt_f16_f32_e32 v8, v44
	v_add_u32_e32 v6, v4, v5
	v_mov_b32_e32 v7, 0
	s_waitcnt lgkmcnt(0)
	v_lshl_add_u64 v[6:7], v[6:7], 1, s[12:13]
	global_store_short v[6:7], v8, off
.LBB151_20:
	s_or_b64 exec, exec, s[6:7]
	v_add3_u32 v5, v1, s11, 8
	v_cmp_gt_u32_e64 s[6:7], s8, v5
	s_and_b64 exec, exec, s[6:7]
	s_cbranch_execz .LBB151_62
; %bb.21:
	v_mul_lo_u32 v5, v5, s10
	s_and_saveexec_b64 s[6:7], vcc
	s_cbranch_execnz .LBB151_63
; %bb.22:
	s_or_b64 exec, exec, s[6:7]
	s_and_saveexec_b64 s[6:7], s[0:1]
	s_cbranch_execnz .LBB151_64
.LBB151_23:
	s_or_b64 exec, exec, s[6:7]
	s_and_saveexec_b64 s[6:7], s[2:3]
	s_cbranch_execnz .LBB151_65
.LBB151_24:
	s_or_b64 exec, exec, s[6:7]
	s_and_saveexec_b64 s[6:7], s[4:5]
	s_cbranch_execz .LBB151_26
.LBB151_25:
	v_cvt_f16_f32_e32 v8, v45
	v_add_u32_e32 v6, v5, v4
	v_mov_b32_e32 v7, 0
	s_waitcnt lgkmcnt(0)
	v_lshl_add_u64 v[6:7], v[6:7], 1, s[12:13]
	global_store_short v[6:7], v8, off
.LBB151_26:
	s_or_b64 exec, exec, s[6:7]
	v_add3_u32 v5, v1, s11, 16
	v_cmp_gt_u32_e64 s[6:7], s8, v5
	s_and_b64 exec, exec, s[6:7]
	s_cbranch_execz .LBB151_62
; %bb.27:
	v_mul_lo_u32 v5, v5, s10
	s_and_saveexec_b64 s[6:7], vcc
	s_cbranch_execnz .LBB151_66
; %bb.28:
	s_or_b64 exec, exec, s[6:7]
	s_and_saveexec_b64 s[6:7], s[0:1]
	s_cbranch_execnz .LBB151_67
.LBB151_29:
	s_or_b64 exec, exec, s[6:7]
	s_and_saveexec_b64 s[6:7], s[2:3]
	s_cbranch_execnz .LBB151_68
.LBB151_30:
	s_or_b64 exec, exec, s[6:7]
	s_and_saveexec_b64 s[6:7], s[4:5]
	s_cbranch_execz .LBB151_32
.LBB151_31:
	v_cvt_f16_f32_e32 v8, v36
	v_add_u32_e32 v6, v5, v4
	v_mov_b32_e32 v7, 0
	s_waitcnt lgkmcnt(0)
	v_lshl_add_u64 v[6:7], v[6:7], 1, s[12:13]
	global_store_short v[6:7], v8, off
.LBB151_32:
	s_or_b64 exec, exec, s[6:7]
	v_add3_u32 v5, v1, s11, 24
	v_cmp_gt_u32_e64 s[6:7], s8, v5
	s_and_b64 exec, exec, s[6:7]
	s_cbranch_execz .LBB151_62
; %bb.33:
	v_mul_lo_u32 v5, v5, s10
	s_and_saveexec_b64 s[6:7], vcc
	s_cbranch_execnz .LBB151_69
; %bb.34:
	s_or_b64 exec, exec, s[6:7]
	s_and_saveexec_b64 s[6:7], s[0:1]
	s_cbranch_execnz .LBB151_70
.LBB151_35:
	s_or_b64 exec, exec, s[6:7]
	s_and_saveexec_b64 s[6:7], s[2:3]
	s_cbranch_execnz .LBB151_71
.LBB151_36:
	s_or_b64 exec, exec, s[6:7]
	s_and_saveexec_b64 s[6:7], s[4:5]
	s_cbranch_execz .LBB151_38
.LBB151_37:
	v_cvt_f16_f32_e32 v8, v37
	v_add_u32_e32 v6, v5, v4
	v_mov_b32_e32 v7, 0
	s_waitcnt lgkmcnt(0)
	v_lshl_add_u64 v[6:7], v[6:7], 1, s[12:13]
	global_store_short v[6:7], v8, off
.LBB151_38:
	s_or_b64 exec, exec, s[6:7]
	v_add3_u32 v5, v1, s11, 32
	v_cmp_gt_u32_e64 s[6:7], s8, v5
	s_and_b64 exec, exec, s[6:7]
	s_cbranch_execz .LBB151_62
; %bb.39:
	v_mul_lo_u32 v5, v5, s10
	s_and_saveexec_b64 s[6:7], vcc
	s_cbranch_execnz .LBB151_72
; %bb.40:
	s_or_b64 exec, exec, s[6:7]
	s_and_saveexec_b64 s[6:7], s[0:1]
	s_cbranch_execnz .LBB151_73
.LBB151_41:
	s_or_b64 exec, exec, s[6:7]
	s_and_saveexec_b64 s[6:7], s[2:3]
	s_cbranch_execnz .LBB151_74
.LBB151_42:
	s_or_b64 exec, exec, s[6:7]
	s_and_saveexec_b64 s[6:7], s[4:5]
	s_cbranch_execz .LBB151_44
.LBB151_43:
	v_cvt_f16_f32_e32 v8, v28
	v_add_u32_e32 v6, v5, v4
	v_mov_b32_e32 v7, 0
	s_waitcnt lgkmcnt(0)
	v_lshl_add_u64 v[6:7], v[6:7], 1, s[12:13]
	global_store_short v[6:7], v8, off
.LBB151_44:
	s_or_b64 exec, exec, s[6:7]
	v_add3_u32 v5, v1, s11, 40
	v_cmp_gt_u32_e64 s[6:7], s8, v5
	s_and_b64 exec, exec, s[6:7]
	s_cbranch_execz .LBB151_62
; %bb.45:
	v_mul_lo_u32 v5, v5, s10
	s_and_saveexec_b64 s[6:7], vcc
	s_cbranch_execnz .LBB151_75
; %bb.46:
	s_or_b64 exec, exec, s[6:7]
	s_and_saveexec_b64 s[6:7], s[0:1]
	s_cbranch_execnz .LBB151_76
.LBB151_47:
	s_or_b64 exec, exec, s[6:7]
	s_and_saveexec_b64 s[6:7], s[2:3]
	s_cbranch_execnz .LBB151_77
.LBB151_48:
	s_or_b64 exec, exec, s[6:7]
	s_and_saveexec_b64 s[6:7], s[4:5]
	s_cbranch_execz .LBB151_50
.LBB151_49:
	v_cvt_f16_f32_e32 v8, v29
	v_add_u32_e32 v6, v5, v4
	v_mov_b32_e32 v7, 0
	s_waitcnt lgkmcnt(0)
	v_lshl_add_u64 v[6:7], v[6:7], 1, s[12:13]
	global_store_short v[6:7], v8, off
.LBB151_50:
	s_or_b64 exec, exec, s[6:7]
	v_add3_u32 v5, v1, s11, 48
	v_cmp_gt_u32_e64 s[6:7], s8, v5
	s_and_b64 exec, exec, s[6:7]
	s_cbranch_execz .LBB151_62
; %bb.51:
	v_mul_lo_u32 v5, v5, s10
	s_and_saveexec_b64 s[6:7], vcc
	s_cbranch_execnz .LBB151_78
; %bb.52:
	s_or_b64 exec, exec, s[6:7]
	s_and_saveexec_b64 s[6:7], s[0:1]
	s_cbranch_execnz .LBB151_79
.LBB151_53:
	s_or_b64 exec, exec, s[6:7]
	s_and_saveexec_b64 s[6:7], s[2:3]
	s_cbranch_execnz .LBB151_80
.LBB151_54:
	s_or_b64 exec, exec, s[6:7]
	s_and_saveexec_b64 s[6:7], s[4:5]
	s_cbranch_execz .LBB151_56
.LBB151_55:
	v_cvt_f16_f32_e32 v8, v20
	v_add_u32_e32 v6, v5, v4
	v_mov_b32_e32 v7, 0
	s_waitcnt lgkmcnt(0)
	v_lshl_add_u64 v[6:7], v[6:7], 1, s[12:13]
	global_store_short v[6:7], v8, off
.LBB151_56:
	s_or_b64 exec, exec, s[6:7]
	v_add3_u32 v1, v1, s11, 56
	v_cmp_gt_u32_e64 s[6:7], s8, v1
	s_and_b64 exec, exec, s[6:7]
	s_cbranch_execz .LBB151_62
; %bb.57:
	v_mul_lo_u32 v1, v1, s10
	s_and_saveexec_b64 s[6:7], vcc
	s_cbranch_execnz .LBB151_81
; %bb.58:
	s_or_b64 exec, exec, s[6:7]
	s_and_saveexec_b64 s[6:7], s[0:1]
	s_cbranch_execnz .LBB151_82
.LBB151_59:
	s_or_b64 exec, exec, s[6:7]
	s_and_saveexec_b64 s[0:1], s[2:3]
	s_cbranch_execnz .LBB151_83
.LBB151_60:
	s_or_b64 exec, exec, s[0:1]
	s_and_b64 exec, exec, s[4:5]
	s_cbranch_execz .LBB151_62
.LBB151_61:
	v_cvt_f16_f32_e32 v2, v21
	v_add_u32_e32 v0, v1, v4
	v_mov_b32_e32 v1, 0
	s_waitcnt lgkmcnt(0)
	v_lshl_add_u64 v[0:1], v[0:1], 1, s[12:13]
	global_store_short v[0:1], v2, off
.LBB151_62:
	s_endpgm
.LBB151_63:
	v_cvt_f16_f32_e32 v8, v51
	v_add_u32_e32 v6, v5, v0
	v_mov_b32_e32 v7, 0
	s_waitcnt lgkmcnt(0)
	v_lshl_add_u64 v[6:7], v[6:7], 1, s[12:13]
	global_store_short v[6:7], v8, off
	s_or_b64 exec, exec, s[6:7]
	s_and_saveexec_b64 s[6:7], s[0:1]
	s_cbranch_execz .LBB151_23
.LBB151_64:
	v_cvt_f16_f32_e32 v8, v49
	v_add_u32_e32 v6, v5, v2
	v_mov_b32_e32 v7, 0
	s_waitcnt lgkmcnt(0)
	v_lshl_add_u64 v[6:7], v[6:7], 1, s[12:13]
	global_store_short v[6:7], v8, off
	s_or_b64 exec, exec, s[6:7]
	s_and_saveexec_b64 s[6:7], s[2:3]
	s_cbranch_execz .LBB151_24
.LBB151_65:
	v_cvt_f16_f32_e32 v8, v47
	v_add_u32_e32 v6, v5, v3
	v_mov_b32_e32 v7, 0
	s_waitcnt lgkmcnt(0)
	v_lshl_add_u64 v[6:7], v[6:7], 1, s[12:13]
	global_store_short v[6:7], v8, off
	s_or_b64 exec, exec, s[6:7]
	s_and_saveexec_b64 s[6:7], s[4:5]
	s_cbranch_execnz .LBB151_25
	s_branch .LBB151_26
.LBB151_66:
	v_cvt_f16_f32_e32 v8, v42
	v_add_u32_e32 v6, v5, v0
	v_mov_b32_e32 v7, 0
	s_waitcnt lgkmcnt(0)
	v_lshl_add_u64 v[6:7], v[6:7], 1, s[12:13]
	global_store_short v[6:7], v8, off
	s_or_b64 exec, exec, s[6:7]
	s_and_saveexec_b64 s[6:7], s[0:1]
	s_cbranch_execz .LBB151_29
.LBB151_67:
	v_cvt_f16_f32_e32 v8, v40
	v_add_u32_e32 v6, v5, v2
	v_mov_b32_e32 v7, 0
	s_waitcnt lgkmcnt(0)
	v_lshl_add_u64 v[6:7], v[6:7], 1, s[12:13]
	global_store_short v[6:7], v8, off
	s_or_b64 exec, exec, s[6:7]
	s_and_saveexec_b64 s[6:7], s[2:3]
	s_cbranch_execz .LBB151_30
.LBB151_68:
	v_cvt_f16_f32_e32 v8, v38
	v_add_u32_e32 v6, v5, v3
	v_mov_b32_e32 v7, 0
	s_waitcnt lgkmcnt(0)
	v_lshl_add_u64 v[6:7], v[6:7], 1, s[12:13]
	global_store_short v[6:7], v8, off
	s_or_b64 exec, exec, s[6:7]
	s_and_saveexec_b64 s[6:7], s[4:5]
	s_cbranch_execnz .LBB151_31
	s_branch .LBB151_32
.LBB151_69:
	v_cvt_f16_f32_e32 v8, v43
	v_add_u32_e32 v6, v5, v0
	v_mov_b32_e32 v7, 0
	s_waitcnt lgkmcnt(0)
	v_lshl_add_u64 v[6:7], v[6:7], 1, s[12:13]
	global_store_short v[6:7], v8, off
	s_or_b64 exec, exec, s[6:7]
	s_and_saveexec_b64 s[6:7], s[0:1]
	s_cbranch_execz .LBB151_35
.LBB151_70:
	v_cvt_f16_f32_e32 v8, v41
	v_add_u32_e32 v6, v5, v2
	v_mov_b32_e32 v7, 0
	s_waitcnt lgkmcnt(0)
	v_lshl_add_u64 v[6:7], v[6:7], 1, s[12:13]
	global_store_short v[6:7], v8, off
	s_or_b64 exec, exec, s[6:7]
	s_and_saveexec_b64 s[6:7], s[2:3]
	s_cbranch_execz .LBB151_36
.LBB151_71:
	v_cvt_f16_f32_e32 v8, v39
	v_add_u32_e32 v6, v5, v3
	v_mov_b32_e32 v7, 0
	s_waitcnt lgkmcnt(0)
	v_lshl_add_u64 v[6:7], v[6:7], 1, s[12:13]
	global_store_short v[6:7], v8, off
	s_or_b64 exec, exec, s[6:7]
	s_and_saveexec_b64 s[6:7], s[4:5]
	s_cbranch_execnz .LBB151_37
	s_branch .LBB151_38
.LBB151_72:
	v_cvt_f16_f32_e32 v8, v34
	v_add_u32_e32 v6, v5, v0
	v_mov_b32_e32 v7, 0
	s_waitcnt lgkmcnt(0)
	v_lshl_add_u64 v[6:7], v[6:7], 1, s[12:13]
	global_store_short v[6:7], v8, off
	s_or_b64 exec, exec, s[6:7]
	s_and_saveexec_b64 s[6:7], s[0:1]
	s_cbranch_execz .LBB151_41
.LBB151_73:
	v_cvt_f16_f32_e32 v8, v32
	v_add_u32_e32 v6, v5, v2
	v_mov_b32_e32 v7, 0
	s_waitcnt lgkmcnt(0)
	v_lshl_add_u64 v[6:7], v[6:7], 1, s[12:13]
	global_store_short v[6:7], v8, off
	s_or_b64 exec, exec, s[6:7]
	s_and_saveexec_b64 s[6:7], s[2:3]
	s_cbranch_execz .LBB151_42
.LBB151_74:
	v_cvt_f16_f32_e32 v8, v30
	v_add_u32_e32 v6, v5, v3
	v_mov_b32_e32 v7, 0
	s_waitcnt lgkmcnt(0)
	v_lshl_add_u64 v[6:7], v[6:7], 1, s[12:13]
	global_store_short v[6:7], v8, off
	s_or_b64 exec, exec, s[6:7]
	s_and_saveexec_b64 s[6:7], s[4:5]
	s_cbranch_execnz .LBB151_43
	s_branch .LBB151_44
.LBB151_75:
	v_cvt_f16_f32_e32 v8, v35
	v_add_u32_e32 v6, v5, v0
	v_mov_b32_e32 v7, 0
	s_waitcnt lgkmcnt(0)
	v_lshl_add_u64 v[6:7], v[6:7], 1, s[12:13]
	global_store_short v[6:7], v8, off
	s_or_b64 exec, exec, s[6:7]
	s_and_saveexec_b64 s[6:7], s[0:1]
	s_cbranch_execz .LBB151_47
.LBB151_76:
	v_cvt_f16_f32_e32 v8, v33
	v_add_u32_e32 v6, v5, v2
	v_mov_b32_e32 v7, 0
	s_waitcnt lgkmcnt(0)
	v_lshl_add_u64 v[6:7], v[6:7], 1, s[12:13]
	global_store_short v[6:7], v8, off
	s_or_b64 exec, exec, s[6:7]
	s_and_saveexec_b64 s[6:7], s[2:3]
	s_cbranch_execz .LBB151_48
.LBB151_77:
	v_cvt_f16_f32_e32 v8, v31
	v_add_u32_e32 v6, v5, v3
	v_mov_b32_e32 v7, 0
	s_waitcnt lgkmcnt(0)
	v_lshl_add_u64 v[6:7], v[6:7], 1, s[12:13]
	global_store_short v[6:7], v8, off
	s_or_b64 exec, exec, s[6:7]
	s_and_saveexec_b64 s[6:7], s[4:5]
	s_cbranch_execnz .LBB151_49
	s_branch .LBB151_50
.LBB151_78:
	v_cvt_f16_f32_e32 v8, v26
	v_add_u32_e32 v6, v5, v0
	v_mov_b32_e32 v7, 0
	s_waitcnt lgkmcnt(0)
	v_lshl_add_u64 v[6:7], v[6:7], 1, s[12:13]
	global_store_short v[6:7], v8, off
	s_or_b64 exec, exec, s[6:7]
	s_and_saveexec_b64 s[6:7], s[0:1]
	s_cbranch_execz .LBB151_53
.LBB151_79:
	v_cvt_f16_f32_e32 v8, v24
	v_add_u32_e32 v6, v5, v2
	v_mov_b32_e32 v7, 0
	s_waitcnt lgkmcnt(0)
	v_lshl_add_u64 v[6:7], v[6:7], 1, s[12:13]
	global_store_short v[6:7], v8, off
	s_or_b64 exec, exec, s[6:7]
	s_and_saveexec_b64 s[6:7], s[2:3]
	s_cbranch_execz .LBB151_54
.LBB151_80:
	v_cvt_f16_f32_e32 v8, v22
	v_add_u32_e32 v6, v5, v3
	v_mov_b32_e32 v7, 0
	s_waitcnt lgkmcnt(0)
	v_lshl_add_u64 v[6:7], v[6:7], 1, s[12:13]
	global_store_short v[6:7], v8, off
	s_or_b64 exec, exec, s[6:7]
	s_and_saveexec_b64 s[6:7], s[4:5]
	s_cbranch_execnz .LBB151_55
	s_branch .LBB151_56
.LBB151_81:
	v_cvt_f16_f32_e32 v5, v27
	v_add_u32_e32 v6, v1, v0
	v_mov_b32_e32 v7, 0
	s_waitcnt lgkmcnt(0)
	v_lshl_add_u64 v[6:7], v[6:7], 1, s[12:13]
	global_store_short v[6:7], v5, off
	s_or_b64 exec, exec, s[6:7]
	s_and_saveexec_b64 s[6:7], s[0:1]
	s_cbranch_execz .LBB151_59
.LBB151_82:
	v_cvt_f16_f32_e32 v0, v25
	v_add_u32_e32 v6, v1, v2
	v_mov_b32_e32 v7, 0
	s_waitcnt lgkmcnt(0)
	v_lshl_add_u64 v[6:7], v[6:7], 1, s[12:13]
	global_store_short v[6:7], v0, off
	s_or_b64 exec, exec, s[6:7]
	s_and_saveexec_b64 s[0:1], s[2:3]
	s_cbranch_execz .LBB151_60
.LBB151_83:
	v_cvt_f16_f32_e32 v0, v23
	v_add_u32_e32 v2, v1, v3
	v_mov_b32_e32 v3, 0
	s_waitcnt lgkmcnt(0)
	v_lshl_add_u64 v[2:3], v[2:3], 1, s[12:13]
	global_store_short v[2:3], v0, off
	s_or_b64 exec, exec, s[0:1]
	s_and_b64 exec, exec, s[4:5]
	s_cbranch_execnz .LBB151_61
	s_branch .LBB151_62
	.section	.rodata,"a",@progbits
	.p2align	6, 0x0
	.amdhsa_kernel _ZL12mul_mat_q4_KIN3c104HalfELb0EEvPKvS3_PT_iiiii
		.amdhsa_group_segment_fixed_size 28752
		.amdhsa_private_segment_fixed_size 36
		.amdhsa_kernarg_size 44
		.amdhsa_user_sgpr_count 2
		.amdhsa_user_sgpr_dispatch_ptr 0
		.amdhsa_user_sgpr_queue_ptr 0
		.amdhsa_user_sgpr_kernarg_segment_ptr 1
		.amdhsa_user_sgpr_dispatch_id 0
		.amdhsa_user_sgpr_kernarg_preload_length 0
		.amdhsa_user_sgpr_kernarg_preload_offset 0
		.amdhsa_user_sgpr_private_segment_size 0
		.amdhsa_uses_dynamic_stack 0
		.amdhsa_enable_private_segment 1
		.amdhsa_system_sgpr_workgroup_id_x 1
		.amdhsa_system_sgpr_workgroup_id_y 1
		.amdhsa_system_sgpr_workgroup_id_z 0
		.amdhsa_system_sgpr_workgroup_info 0
		.amdhsa_system_vgpr_workitem_id 1
		.amdhsa_next_free_vgpr 256
		.amdhsa_next_free_sgpr 20
		.amdhsa_accum_offset 256
		.amdhsa_reserve_vcc 1
		.amdhsa_float_round_mode_32 0
		.amdhsa_float_round_mode_16_64 0
		.amdhsa_float_denorm_mode_32 3
		.amdhsa_float_denorm_mode_16_64 3
		.amdhsa_dx10_clamp 1
		.amdhsa_ieee_mode 1
		.amdhsa_fp16_overflow 0
		.amdhsa_tg_split 0
		.amdhsa_exception_fp_ieee_invalid_op 0
		.amdhsa_exception_fp_denorm_src 0
		.amdhsa_exception_fp_ieee_div_zero 0
		.amdhsa_exception_fp_ieee_overflow 0
		.amdhsa_exception_fp_ieee_underflow 0
		.amdhsa_exception_fp_ieee_inexact 0
		.amdhsa_exception_int_div_zero 0
	.end_amdhsa_kernel
	.section	.text._ZL12mul_mat_q4_KIN3c104HalfELb0EEvPKvS3_PT_iiiii,"axG",@progbits,_ZL12mul_mat_q4_KIN3c104HalfELb0EEvPKvS3_PT_iiiii,comdat
.Lfunc_end151:
	.size	_ZL12mul_mat_q4_KIN3c104HalfELb0EEvPKvS3_PT_iiiii, .Lfunc_end151-_ZL12mul_mat_q4_KIN3c104HalfELb0EEvPKvS3_PT_iiiii
                                        ; -- End function
	.section	.AMDGPU.csdata,"",@progbits
; Kernel info:
; codeLenInByte = 16632
; NumSgprs: 26
; NumVgprs: 256
; NumAgprs: 0
; TotalNumVgprs: 256
; ScratchSize: 36
; MemoryBound: 0
; FloatMode: 240
; IeeeMode: 1
; LDSByteSize: 28752 bytes/workgroup (compile time only)
; SGPRBlocks: 3
; VGPRBlocks: 31
; NumSGPRsForWavesPerEU: 26
; NumVGPRsForWavesPerEU: 256
; AccumOffset: 256
; Occupancy: 2
; WaveLimiterHint : 0
; COMPUTE_PGM_RSRC2:SCRATCH_EN: 1
; COMPUTE_PGM_RSRC2:USER_SGPR: 2
; COMPUTE_PGM_RSRC2:TRAP_HANDLER: 0
; COMPUTE_PGM_RSRC2:TGID_X_EN: 1
; COMPUTE_PGM_RSRC2:TGID_Y_EN: 1
; COMPUTE_PGM_RSRC2:TGID_Z_EN: 0
; COMPUTE_PGM_RSRC2:TIDIG_COMP_CNT: 1
; COMPUTE_PGM_RSRC3_GFX90A:ACCUM_OFFSET: 63
; COMPUTE_PGM_RSRC3_GFX90A:TG_SPLIT: 0
	.section	.text._ZL12mul_mat_q4_KIN3c104HalfELb1EEvPKvS3_PT_iiiii,"axG",@progbits,_ZL12mul_mat_q4_KIN3c104HalfELb1EEvPKvS3_PT_iiiii,comdat
	.globl	_ZL12mul_mat_q4_KIN3c104HalfELb1EEvPKvS3_PT_iiiii ; -- Begin function _ZL12mul_mat_q4_KIN3c104HalfELb1EEvPKvS3_PT_iiiii
	.p2align	8
	.type	_ZL12mul_mat_q4_KIN3c104HalfELb1EEvPKvS3_PT_iiiii,@function
_ZL12mul_mat_q4_KIN3c104HalfELb1EEvPKvS3_PT_iiiii: ; @_ZL12mul_mat_q4_KIN3c104HalfELb1EEvPKvS3_PT_iiiii
; %bb.0:
	s_load_dwordx4 s[8:11], s[0:1], 0x18
	s_load_dword s14, s[0:1], 0x28
	s_lshl_b32 s15, s3, 6
	v_bfe_u32 v52, v0, 10, 10
	s_waitcnt lgkmcnt(0)
	s_cmpk_gt_i32 s8, 0xff
	s_cbranch_scc1 .LBB152_2
; %bb.1:
	v_bfe_u32 v1, v0, 10, 10
	v_and_b32_e32 v47, 0x3ff, v0
	v_add_u32_e32 v2, s15, v1
	s_mov_b64 s[4:5], 0
	s_mov_b32 s3, 0
	s_branch .LBB152_3
.LBB152_2:
	s_mov_b64 s[4:5], -1
                                        ; implicit-def: $sgpr3
                                        ; implicit-def: $vgpr1
                                        ; implicit-def: $vgpr47
                                        ; implicit-def: $vgpr2
.LBB152_3:
	s_load_dwordx2 s[12:13], s[0:1], 0x10
	s_lshl_b32 s6, s2, 7
	s_andn2_b64 vcc, exec, s[4:5]
	v_mov_b32_e32 v21, s3
	v_mov_b32_e32 v20, s3
	;; [unrolled: 1-line block ×32, first 2 shown]
	s_cbranch_vccnz .LBB152_11
; %bb.4:
	s_ashr_i32 s4, s8, 31
	s_lshr_b32 s4, s4, 24
	s_load_dwordx4 s[0:3], s[0:1], 0x0
	s_add_i32 s4, s8, s4
	s_ashr_i32 s7, s4, 8
	s_ashr_i32 s4, s11, 31
	s_lshr_b32 s4, s4, 27
	s_add_i32 s4, s11, s4
	s_mul_i32 s5, s7, s6
	s_ashr_i32 s4, s4, 5
	s_mul_hi_i32 s16, s5, 0x90
	s_mulk_i32 s5, 0x90
	s_waitcnt lgkmcnt(0)
	s_add_u32 s11, s0, s5
	s_addc_u32 s16, s1, s16
	s_not_b32 s0, s6
	s_add_i32 s5, s0, s9
	v_and_b32_e32 v47, 0x3ff, v0
	v_lshlrev_b32_e32 v0, 2, v47
	v_min_i32_e32 v1, s5, v52
	s_movk_i32 s1, 0x84
	v_mul_lo_u32 v2, v1, s7
	v_mad_u64_u32 v[54:55], s[18:19], v1, s1, v[0:1]
	v_add_u32_e32 v1, 8, v52
	scratch_store_dwordx2 off, v[2:3], off  ; 8-byte Folded Spill
	v_min_i32_e32 v2, s5, v1
	v_mul_lo_u32 v4, v2, s7
	scratch_store_dwordx2 off, v[4:5], off offset:8 ; 8-byte Folded Spill
	v_add_u32_e32 v5, 16, v52
	v_mad_u64_u32 v[58:59], s[18:19], v2, s1, v[0:1]
	v_min_i32_e32 v2, s5, v5
	v_add_u32_e32 v7, 24, v52
	v_mul_lo_u32 v4, v2, s7
	v_mad_u64_u32 v[62:63], s[18:19], v2, s1, v[0:1]
	v_min_i32_e32 v2, s5, v7
	v_add_u32_e32 v12, 32, v52
	scratch_store_dwordx2 off, v[4:5], off offset:16 ; 8-byte Folded Spill
	v_mul_lo_u32 v4, v2, s7
	v_mad_u64_u32 v[66:67], s[18:19], v2, s1, v[0:1]
	v_min_i32_e32 v2, s5, v12
	v_add_u32_e32 v13, 40, v52
	scratch_store_dwordx2 off, v[4:5], off offset:24 ; 8-byte Folded Spill
	;; [unrolled: 5-line block ×4, first 2 shown]
	v_mul_lo_u32 v4, v2, s7
	v_mad_u64_u32 v[82:83], s[18:19], v2, s1, v[0:1]
	v_min_i32_e32 v2, s5, v15
	scratch_store_dwordx2 off, v[4:5], off offset:48 ; 8-byte Folded Spill
	v_mul_lo_u32 v4, v2, s7
	v_mad_u64_u32 v[86:87], s[18:19], v2, s1, v[0:1]
	v_add_u32_e32 v2, 64, v52
	v_min_i32_e32 v2, s5, v2
	scratch_store_dwordx2 off, v[4:5], off offset:56 ; 8-byte Folded Spill
	v_mul_lo_u32 v4, v2, s7
	v_mad_u64_u32 v[90:91], s[18:19], v2, s1, v[0:1]
	v_add_u32_e32 v2, 0x48, v52
	;; [unrolled: 5-line block ×3, first 2 shown]
	v_min_i32_e32 v2, s5, v2
	v_mul_lo_u32 v96, v2, s7
	v_mad_u64_u32 v[98:99], s[18:19], v2, s1, v[0:1]
	v_add_u32_e32 v2, 0x58, v52
	v_min_i32_e32 v2, s5, v2
	v_mul_lo_u32 v100, v2, s7
	v_mad_u64_u32 v[102:103], s[18:19], v2, s1, v[0:1]
	v_add_u32_e32 v2, 0x60, v52
	;; [unrolled: 4-line block ×5, first 2 shown]
	v_min_i32_e32 v2, s5, v2
	v_lshlrev_b32_e32 v57, 5, v52
	v_mul_lo_u32 v116, v2, s7
	v_mad_u64_u32 v[118:119], s[18:19], v2, s1, v[0:1]
	v_add_u32_e32 v2, v57, v47
	v_and_b32_e32 v2, 0x7f, v2
	v_min_i32_e32 v2, s5, v2
	v_ashrrev_i32_e32 v3, 31, v2
	v_lshrrev_b32_e32 v3, 27, v3
	v_add_u32_e32 v3, v2, v3
	v_ashrrev_i32_e32 v3, 5, v3
	scratch_store_dwordx2 off, v[4:5], off offset:72 ; 8-byte Folded Spill
	v_mul_lo_u32 v4, v2, s7
	v_lshlrev_b32_e32 v3, 2, v3
	v_lshlrev_b32_e32 v2, 2, v2
	s_movk_i32 s9, 0x6e40
	v_add3_u32 v59, v3, v2, s9
	v_lshrrev_b32_e32 v2, 2, v47
	v_lshl_add_u32 v3, v52, 3, v2
	v_and_b32_e32 v2, 3, v47
	scratch_store_dwordx2 off, v[4:5], off offset:80 ; 8-byte Folded Spill
	v_add_u32_e32 v4, 0xfe, v2
	v_cmp_gt_u32_e32 vcc, 2, v2
	v_mov_b32_e32 v49, 0
	v_lshlrev_b32_e32 v16, 2, v2
	v_cndmask_b32_e32 v4, v4, v2, vcc
	v_and_b32_e32 v8, 0xff, v4
	v_cmp_ne_u32_e32 vcc, 0, v2
	v_lshlrev_b32_e32 v63, 1, v8
	s_movk_i32 s17, 0x6200
	v_addc_co_u32_e32 v4, vcc, 0, v8, vcc
	v_and_b32_e32 v8, 0x7f, v3
	v_min_i32_e32 v9, s5, v8
	v_ashrrev_i32_e32 v10, 31, v9
	v_lshrrev_b32_e32 v10, 29, v10
	v_add_u32_e32 v10, v9, v10
	v_xor_b32_e32 v8, 64, v8
	v_ashrrev_i32_e32 v10, 3, v10
	v_min_i32_e32 v8, s5, v8
	v_mul_lo_u32 v122, v9, s7
	v_lshlrev_b32_e32 v10, 2, v10
	v_lshlrev_b32_e32 v18, 4, v9
	v_ashrrev_i32_e32 v9, 31, v8
	v_add3_u32 v17, v10, v16, s17
	v_lshrrev_b32_e32 v9, 29, v9
	v_and_b32_e32 v10, 28, v0
	v_mov_b32_e32 v11, v49
	v_and_b32_e32 v3, 63, v3
	v_add_u32_e32 v9, v8, v9
	s_add_i32 s5, s10, -1
	v_lshl_add_u64 v[126:127], s[2:3], 0, v[10:11]
	v_or_b32_e32 v10, s15, v3
	v_ashrrev_i32_e32 v9, 3, v9
	v_min_i32_e32 v10, s5, v10
	v_cmp_lt_u32_e32 vcc, 1, v2
	v_lshlrev_b32_e32 v9, 2, v9
	v_add_u32_e32 v22, s15, v52
	v_mad_u64_u32 v[128:129], s[18:19], v10, s4, v[2:3]
	v_lshl_or_b32 v2, v3, 4, v16
	v_mul_lo_u32 v124, v8, s7
	v_add3_u32 v19, v9, v16, s17
	v_lshlrev_b32_e32 v20, 4, v8
	v_cvt_f64_i32_e32 v[8:9], s5
	v_add_u32_e32 v65, 0x6a40, v2
	v_cvt_f64_u32_e32 v[2:3], v22
	v_min_f64 v[2:3], v[2:3], v[8:9]
	v_and_b32_e32 v21, 31, v47
	v_cvt_i32_f64_e32 v2, v[2:3]
	v_mul_lo_u32 v71, s4, v2
	v_or_b32_e32 v2, v57, v21
	v_mov_b32_e32 v10, 0x4200
	v_lshl_add_u32 v73, v2, 2, v10
	v_add_u32_e32 v2, 8, v22
	v_cvt_f64_u32_e32 v[2:3], v2
	v_lshlrev_b32_e32 v79, 5, v1
	v_min_f64 v[2:3], v[2:3], v[8:9]
	v_or_b32_e32 v1, v79, v21
	v_cvt_i32_f64_e32 v2, v[2:3]
	v_lshl_add_u32 v81, v1, 2, v10
	v_add_u32_e32 v1, 16, v22
	v_mul_lo_u32 v75, s4, v2
	v_cvt_f64_u32_e32 v[2:3], v1
	v_min_f64 v[2:3], v[2:3], v[8:9]
	v_cvt_i32_f64_e32 v1, v[2:3]
	v_lshlrev_b32_e32 v85, 5, v5
	v_mul_lo_u32 v83, s4, v1
	v_or_b32_e32 v1, v85, v21
	v_lshl_add_u32 v87, v1, 2, v10
	v_add_u32_e32 v1, 24, v22
	v_cvt_f64_u32_e32 v[2:3], v1
	v_min_f64 v[2:3], v[2:3], v[8:9]
	v_cvt_i32_f64_e32 v1, v[2:3]
	v_lshlrev_b32_e32 v91, 5, v7
	v_mul_lo_u32 v89, s4, v1
	v_or_b32_e32 v1, v91, v21
	v_lshl_add_u32 v93, v1, 2, v10
	v_add_u32_e32 v1, 32, v22
	;; [unrolled: 8-line block ×5, first 2 shown]
	v_cvt_f64_u32_e32 v[2:3], v1
	v_min_f64 v[2:3], v[2:3], v[8:9]
	v_cvt_i32_f64_e32 v1, v[2:3]
	v_lshlrev_b32_e32 v115, 5, v15
	v_lshrrev_b32_e32 v46, 5, v47
	v_mul_lo_u32 v113, s4, v1
	v_or_b32_e32 v1, v115, v21
	v_lshl_add_u32 v117, v1, 2, v10
	v_lshlrev_b32_e32 v1, 2, v46
	v_add3_u32 v119, v1, v0, s9
	v_add_u32_e32 v1, 32, v47
	v_lshrrev_b32_e32 v92, 3, v1
	v_lshlrev_b32_e32 v2, 2, v1
	v_and_b32_e32 v1, 60, v92
	v_add3_u32 v123, v0, v1, s9
	v_add_u32_e32 v1, 64, v47
	v_lshlrev_b32_e32 v3, 2, v1
	v_lshrrev_b32_e32 v1, 3, v1
	v_and_b32_e32 v5, 60, v1
	v_add3_u32 v125, v0, v5, s9
	v_add_u32_e32 v5, 0x60, v47
	v_lshlrev_b32_e32 v7, 2, v5
	v_lshrrev_b32_e32 v5, 3, v5
	v_and_b32_e32 v8, 60, v5
	v_add3_u32 v129, v0, v8, s9
	v_mov_b32_e32 v8, 0x1080
	v_mad_u32_u24 v153, v47, s1, v8
	v_mov_b32_e32 v8, 0x2100
	s_mov_b32 s0, 0
	v_mad_u32_u24 v155, v47, s1, v8
	v_mov_b32_e32 v8, 0x3180
	v_and_b32_e32 v6, 4, v0
	v_mad_u32_u24 v157, v47, s1, v8
	v_mad_u32_u24 v159, v47, s1, 64
	s_mov_b32 s1, s0
	v_cndmask_b32_e32 v61, 0, v6, vcc
	v_cndmask_b32_e64 v6, 0, 1, vcc
	v_lshrrev_b32_e32 v67, 3, v47
	v_mov_b32_e32 v8, 0x6a40
	v_mov_b64_e32 v[76:77], s[0:1]
	s_movk_i32 s8, 0x90
	v_and_b32_e32 v48, 0x7c, v0
	scratch_store_dword off, v22, off offset:92 ; 4-byte Folded Spill
	v_mul_u32_u24_e32 v151, 0x84, v47
	v_lshl_add_u32 v161, v52, 4, v8
	v_lshl_add_u32 v172, v52, 7, v10
	v_lshlrev_b32_e32 v173, 4, v47
	v_lshlrev_b32_e32 v174, 2, v5
	;; [unrolled: 1-line block ×7, first 2 shown]
	s_mov_b32 s1, 0x30303030
	v_add_u32_e32 v84, v17, v18
	v_add_u32_e32 v88, v19, v20
	v_lshlrev_b32_e32 v180, 2, v2
	v_lshlrev_b32_e32 v181, 2, v3
	;; [unrolled: 1-line block ×3, first 2 shown]
	v_mov_b32_e32 v131, v49
	v_mov_b32_e32 v133, v49
	v_lshlrev_b32_e32 v183, 2, v0
	v_mov_b64_e32 v[42:43], v[76:77]
	v_mov_b64_e32 v[34:35], v[76:77]
	;; [unrolled: 1-line block ×15, first 2 shown]
	scratch_store_dword off, v52, off offset:88 ; 4-byte Folded Spill
.LBB152_5:                              ; =>This Loop Header: Depth=1
                                        ;     Child Loop BB152_6 Depth 2
                                        ;     Child Loop BB152_8 Depth 2
	scratch_load_dwordx2 v[4:5], off, off   ; 8-byte Folded Reload
	scratch_load_dwordx2 v[6:7], off, off offset:8 ; 8-byte Folded Reload
	scratch_load_dwordx2 v[8:9], off, off offset:16 ; 8-byte Folded Reload
	;; [unrolled: 1-line block ×7, first 2 shown]
	s_mul_i32 s4, s0, 0x90
	s_mul_hi_u32 s5, s0, 0x90
	s_add_u32 s4, s11, s4
	s_addc_u32 s5, s16, s5
	v_mov_b64_e32 v[0:1], s[4:5]
	v_mad_u64_u32 v[2:3], s[4:5], v46, s8, v[0:1]
	v_lshl_add_u64 v[2:3], v[2:3], 0, v[48:49]
	v_lshl_add_u64 v[2:3], v[2:3], 0, 16
	s_lshl_b32 s9, s0, 3
	v_add_u32_e32 v147, s9, v128
	s_mov_b32 s18, 0
	s_waitcnt vmcnt(7)
	v_mad_i64_i32 v[4:5], s[4:5], v4, s8, v[2:3]
	s_waitcnt vmcnt(6)
	v_mad_i64_i32 v[6:7], s[4:5], v6, s8, v[2:3]
	;; [unrolled: 2-line block ×5, first 2 shown]
	v_mad_i64_i32 v[12:13], s[4:5], v12, s8, v[2:3]
	v_mad_i64_i32 v[14:15], s[4:5], v14, s8, v[2:3]
	;; [unrolled: 1-line block ×3, first 2 shown]
	global_load_dword v52, v[4:5], off
	global_load_dword v53, v[6:7], off
	;; [unrolled: 1-line block ×7, first 2 shown]
	s_nop 0
	global_load_dword v18, v[18:19], off
	s_nop 0
	scratch_load_dwordx2 v[4:5], off, off offset:64 ; 8-byte Folded Reload
	scratch_load_dwordx2 v[6:7], off, off offset:72 ; 8-byte Folded Reload
	v_mad_i64_i32 v[8:9], s[4:5], v96, s8, v[2:3]
	v_mad_i64_i32 v[10:11], s[4:5], v100, s8, v[2:3]
	;; [unrolled: 1-line block ×5, first 2 shown]
	s_waitcnt vmcnt(1)
	v_mad_i64_i32 v[4:5], s[4:5], v4, s8, v[2:3]
	s_waitcnt vmcnt(0)
	v_mad_i64_i32 v[6:7], s[4:5], v6, s8, v[2:3]
	v_mad_i64_i32 v[2:3], s[4:5], v116, s8, v[2:3]
	global_load_dword v19, v[4:5], off
	global_load_dword v74, v[6:7], off
	;; [unrolled: 1-line block ×6, first 2 shown]
	s_nop 0
	global_load_dword v16, v[16:17], off
	s_nop 0
	global_load_dword v17, v[2:3], off
	s_nop 0
	scratch_load_dwordx2 v[2:3], off, off offset:80 ; 8-byte Folded Reload
	v_mad_i64_i32 v[4:5], s[4:5], v122, s8, v[0:1]
	v_lshl_add_u64 v[4:5], v[4:5], 0, 4
	v_lshl_add_u64 v[6:7], v[4:5], 0, v[130:131]
	;; [unrolled: 1-line block ×3, first 2 shown]
	v_add_u32_e32 v14, s9, v67
	v_add_u32_e32 v10, v14, v101
	;; [unrolled: 1-line block ×3, first 2 shown]
	v_mad_i64_i32 v[10:11], s[4:5], v10, 36, v[126:127]
	v_mad_i64_i32 v[12:13], s[4:5], v12, 36, v[126:127]
	s_waitcnt vmcnt(0)
	v_mad_i64_i32 v[2:3], s[4:5], v2, s8, v[0:1]
	v_mad_i64_i32 v[0:1], s[4:5], v124, s8, v[0:1]
	v_lshl_add_u64 v[0:1], v[0:1], 0, 4
	v_lshl_add_u64 v[8:9], v[0:1], 0, v[130:131]
	;; [unrolled: 1-line block ×3, first 2 shown]
	global_load_dword v135, v[2:3], off
	global_load_dword v136, v[6:7], off
	;; [unrolled: 1-line block ×5, first 2 shown]
	v_add_u32_e32 v0, v14, v71
	v_add_u32_e32 v2, v14, v75
	;; [unrolled: 1-line block ×5, first 2 shown]
	v_mad_i64_i32 v[0:1], s[4:5], v0, 36, v[126:127]
	v_mad_i64_i32 v[2:3], s[4:5], v2, 36, v[126:127]
	;; [unrolled: 1-line block ×5, first 2 shown]
	v_add_u32_e32 v14, v14, v113
	v_mad_i64_i32 v[14:15], s[4:5], v14, 36, v[126:127]
	global_load_dword v140, v[0:1], off offset:4
	s_nop 0
	global_load_dword v2, v[2:3], off offset:4
	s_nop 0
	;; [unrolled: 2-line block ×3, first 2 shown]
	global_load_dword v4, v[6:7], off offset:4
	global_load_dword v5, v[8:9], off offset:4
	s_nop 0
	global_load_dword v6, v[10:11], off offset:4
	global_load_dword v7, v[12:13], off offset:4
	;; [unrolled: 1-line block ×3, first 2 shown]
	v_mad_u64_u32 v[0:1], s[4:5], v147, 36, s[2:3]
	global_load_dword v0, v[0:1], off
	s_mov_b64 s[4:5], -1
	ds_write_b32 v54, v52
	ds_write_b32 v58, v53
	ds_write_b32 v62, v55
	ds_write_b32 v66, v56
	ds_write_b32 v72, v60
	ds_write_b32 v78, v64
	ds_write_b32 v82, v70
	ds_write_b32 v86, v18
	ds_write_b32 v90, v19
	ds_write_b32 v94, v74
	ds_write_b32 v98, v80
	ds_write_b32 v102, v120
	ds_write_b32 v106, v121
	ds_write_b32 v110, v134
	ds_write_b32 v114, v16
	ds_write_b32 v118, v17
	s_waitcnt vmcnt(13)
	ds_write_b32 v59, v135
	s_waitcnt vmcnt(12)
	v_ashrrev_i32_e32 v1, v61, v136
	v_and_b32_e32 v1, 0xf0f0f0f, v1
	s_waitcnt vmcnt(11)
	v_ashrrev_i32_e32 v9, v63, v137
	v_and_or_b32 v1, v9, s1, v1
	ds_write_b32 v84, v1
	s_waitcnt vmcnt(10)
	v_ashrrev_i32_e32 v1, v61, v138
	v_and_b32_e32 v1, 0xf0f0f0f, v1
	s_waitcnt vmcnt(9)
	v_ashrrev_i32_e32 v9, v63, v139
	v_and_or_b32 v1, v9, s1, v1
	ds_write_b32 v88, v1
	s_waitcnt vmcnt(8)
	ds_write_b32 v73, v140
	s_waitcnt vmcnt(7)
	;; [unrolled: 2-line block ×9, first 2 shown]
	ds_write_b32 v65, v0
	s_waitcnt lgkmcnt(0)
	s_barrier
	ds_read_b32 v0, v119
	ds_read_b32 v1, v123 offset:128
	ds_read_b32 v2, v125 offset:256
	ds_read_b32 v3, v129 offset:384
	s_waitcnt lgkmcnt(3)
	v_cvt_f32_f16_e32 v16, v0
	v_cvt_f32_f16_sdwa v18, v0 dst_sel:DWORD dst_unused:UNUSED_PAD src0_sel:WORD_1
	s_waitcnt lgkmcnt(2)
	v_cvt_f32_f16_e32 v134, v1
	v_cvt_f32_f16_sdwa v136, v1 dst_sel:DWORD dst_unused:UNUSED_PAD src0_sel:WORD_1
	;; [unrolled: 3-line block ×4, first 2 shown]
	v_mov_b32_e32 v17, v16
	v_mov_b32_e32 v19, v18
	;; [unrolled: 1-line block ×8, first 2 shown]
.LBB152_6:                              ;   Parent Loop BB152_5 Depth=1
                                        ; =>  This Inner Loop Header: Depth=2
	s_lshl_b32 s17, s18, 1
	s_lshr_b32 s19, s18, 2
	v_or_b32_e32 v0, s17, v57
	s_lshl_b32 s18, s18, 2
	s_addk_i32 s19, 0x6200
	v_lshlrev_b32_e32 v1, 2, v0
	v_add_u32_e32 v55, s18, v151
	v_lshrrev_b32_e32 v52, 1, v0
	ds_read_b128 v[12:15], v1 offset:16896
	ds_read_b128 v[8:11], v1 offset:16912
	;; [unrolled: 1-line block ×4, first 2 shown]
	ds_read_b64 v[162:163], v52 offset:27200
	v_add3_u32 v53, s19, v177, v183
	ds_read2_b32 v[148:149], v55 offset1:1
	ds_read2_b32 v[164:165], v55 offset0:2 offset1:3
	ds_read2_b32 v[166:167], v55 offset0:4 offset1:5
	;; [unrolled: 1-line block ×3, first 2 shown]
	ds_read_u16 v55, v53
	ds_read_u8 v56, v53 offset:8
	ds_read_u8 v53, v53 offset:9
	s_waitcnt lgkmcnt(6)
	v_and_b32_e32 v196, 0xf0f0f0f, v148
	v_and_b32_e32 v197, 0xf0f0f0f, v149
	s_waitcnt lgkmcnt(5)
	v_and_b32_e32 v198, 0xf0f0f0f, v164
	s_waitcnt lgkmcnt(1)
	v_cvt_f32_ubyte0_e32 v150, v56
	v_lshrrev_b32_e32 v56, 4, v148
	v_and_b32_e32 v195, 0xf0f0f0f, v56
	v_lshrrev_b32_e32 v56, 4, v149
	v_and_b32_e32 v214, 0xf0f0f0f, v56
	;; [unrolled: 2-line block ×8, first 2 shown]
	s_waitcnt lgkmcnt(0)
	v_cvt_f32_ubyte0_e32 v154, v53
	v_add3_u32 v53, s19, v176, v180
	v_add_u32_e32 v56, s18, v153
	v_and_b32_e32 v199, 0xf0f0f0f, v165
	v_and_b32_e32 v200, 0xf0f0f0f, v166
	;; [unrolled: 1-line block ×5, first 2 shown]
	ds_read2_b32 v[148:149], v56 offset1:1
	ds_read2_b32 v[164:165], v56 offset0:2 offset1:3
	ds_read2_b32 v[166:167], v56 offset0:4 offset1:5
	;; [unrolled: 1-line block ×3, first 2 shown]
	ds_read_u16 v60, v53
	ds_read_u8 v56, v53 offset:8
	ds_read_u8 v64, v53 offset:9
	s_waitcnt lgkmcnt(6)
	v_lshrrev_b32_e32 v70, 4, v149
	v_and_b32_e32 v193, 0xf0f0f0f, v148
	v_and_b32_e32 v206, 0xf0f0f0f, v149
	v_lshrrev_b32_e32 v53, 4, v148
	s_waitcnt lgkmcnt(0)
	v_cvt_f32_ubyte0_e32 v158, v64
	v_add_u32_e32 v64, s18, v155
	v_and_b32_e32 v223, 0xf0f0f0f, v70
	v_lshrrev_b32_e32 v70, 4, v164
	ds_read2_b32 v[148:149], v64 offset1:1
	v_and_b32_e32 v207, 0xf0f0f0f, v164
	v_and_b32_e32 v208, 0xf0f0f0f, v165
	;; [unrolled: 1-line block ×3, first 2 shown]
	v_lshrrev_b32_e32 v70, 4, v165
	ds_read2_b32 v[164:165], v64 offset0:2 offset1:3
	v_and_b32_e32 v225, 0xf0f0f0f, v70
	v_lshrrev_b32_e32 v70, 4, v166
	v_and_b32_e32 v209, 0xf0f0f0f, v166
	v_and_b32_e32 v210, 0xf0f0f0f, v167
	v_and_b32_e32 v226, 0xf0f0f0f, v70
	v_lshrrev_b32_e32 v70, 4, v167
	ds_read2_b32 v[166:167], v64 offset0:4 offset1:5
	v_and_b32_e32 v229, 0xf0f0f0f, v70
	v_lshrrev_b32_e32 v70, 4, v168
	v_and_b32_e32 v211, 0xf0f0f0f, v168
	v_and_b32_e32 v212, 0xf0f0f0f, v169
	;; [unrolled: 1-line block ×3, first 2 shown]
	v_lshrrev_b32_e32 v70, 4, v169
	ds_read2_b32 v[168:169], v64 offset0:6 offset1:7
	s_waitcnt lgkmcnt(3)
	v_lshrrev_b32_e32 v74, 4, v149
	v_and_b32_e32 v239, 0xf0f0f0f, v74
	s_waitcnt lgkmcnt(2)
	v_lshrrev_b32_e32 v74, 4, v164
	v_and_b32_e32 v240, 0xf0f0f0f, v74
	v_lshrrev_b32_e32 v74, 4, v165
	v_and_b32_e32 v241, 0xf0f0f0f, v74
	s_waitcnt lgkmcnt(1)
	v_lshrrev_b32_e32 v74, 4, v166
	v_and_b32_e32 v242, 0xf0f0f0f, v74
	;; [unrolled: 5-line block ×3, first 2 shown]
	v_lshrrev_b32_e32 v74, 4, v169
	v_and_b32_e32 v204, 0xff, v60
	v_lshrrev_b16_e32 v227, 8, v60
	v_add3_u32 v60, s19, v175, v181
	v_and_b32_e32 v246, 0xf0f0f0f, v74
	v_add_u32_e32 v74, s18, v157
	v_and_b32_e32 v231, 0xf0f0f0f, v70
	v_and_b32_e32 v233, 0xf0f0f0f, v164
	v_and_b32_e32 v234, 0xf0f0f0f, v165
	ds_read_u16 v70, v60
	ds_read_u8 v64, v60 offset:8
	ds_read_u8 v60, v60 offset:9
	ds_read2_b32 v[164:165], v74 offset1:1
	v_mov_b32_e32 v52, 0
	v_and_b32_e32 v194, 0xff, v55
	v_lshrrev_b16_e32 v213, 8, v55
	v_mov_b32_e32 v55, 0
	v_and_b32_e32 v205, 0xf0f0f0f, v148
	v_mov_b32_e32 v255, 0
	s_waitcnt lgkmcnt(1)
	v_cvt_f32_ubyte0_e32 v160, v60
	s_waitcnt lgkmcnt(0)
	v_and_b32_e32 v228, 0xf0f0f0f, v164
	v_mov_b32_e32 v60, 0
	v_dot4c_i32_i8_e32 v52, v196, v12
	v_dot4c_i32_i8_e32 v55, v193, v12
	;; [unrolled: 1-line block ×3, first 2 shown]
	v_and_b32_e32 v232, 0xf0f0f0f, v149
	v_dot4c_i32_i8_e32 v60, v228, v12
	v_and_b32_e32 v247, 0xf0f0f0f, v165
	v_dot4c_i32_i8_e32 v52, v197, v13
	v_dot4c_i32_i8_e32 v55, v206, v13
	;; [unrolled: 1-line block ×4, first 2 shown]
	ds_read2_b32 v[12:13], v74 offset0:2 offset1:3
	v_dot4c_i32_i8_e32 v52, v198, v14
	v_dot4c_i32_i8_e32 v55, v207, v14
	;; [unrolled: 1-line block ×4, first 2 shown]
	s_waitcnt lgkmcnt(0)
	v_and_b32_e32 v248, 0xf0f0f0f, v12
	v_dot4c_i32_i8_e32 v60, v248, v14
	v_and_b32_e32 v249, 0xf0f0f0f, v13
	v_dot4c_i32_i8_e32 v55, v208, v15
	v_dot4c_i32_i8_e32 v255, v234, v15
	;; [unrolled: 1-line block ×3, first 2 shown]
	ds_read2_b32 v[14:15], v74 offset0:4 offset1:5
	v_and_b32_e32 v235, 0xf0f0f0f, v166
	v_dot4c_i32_i8_e32 v52, v200, v8
	v_dot4c_i32_i8_e32 v55, v209, v8
	;; [unrolled: 1-line block ×3, first 2 shown]
	s_waitcnt lgkmcnt(0)
	v_and_b32_e32 v250, 0xf0f0f0f, v14
	v_and_b32_e32 v236, 0xf0f0f0f, v167
	v_dot4c_i32_i8_e32 v60, v250, v8
	v_and_b32_e32 v251, 0xf0f0f0f, v15
	v_dot4c_i32_i8_e32 v52, v201, v9
	v_dot4c_i32_i8_e32 v55, v210, v9
	;; [unrolled: 1-line block ×4, first 2 shown]
	ds_read2_b32 v[8:9], v74 offset0:6 offset1:7
	v_and_b32_e32 v237, 0xf0f0f0f, v168
	v_dot4c_i32_i8_e32 v52, v202, v10
	v_dot4c_i32_i8_e32 v55, v211, v10
	;; [unrolled: 1-line block ×3, first 2 shown]
	s_waitcnt lgkmcnt(0)
	v_and_b32_e32 v252, 0xf0f0f0f, v8
	v_and_b32_e32 v238, 0xf0f0f0f, v169
	;; [unrolled: 1-line block ×3, first 2 shown]
	v_lshrrev_b16_e32 v243, 8, v70
	v_add3_u32 v70, s19, v174, v182
	v_dot4c_i32_i8_e32 v60, v252, v10
	v_and_b32_e32 v253, 0xf0f0f0f, v9
	v_dot4c_i32_i8_e32 v52, v203, v11
	v_dot4c_i32_i8_e32 v55, v212, v11
	;; [unrolled: 1-line block ×4, first 2 shown]
	ds_read_u16 v10, v70
	ds_read_u8 v11, v70 offset:8
	ds_read_u8 v74, v70 offset:9
	v_cvt_f32_ubyte0_e32 v156, v64
	v_lshrrev_b32_e32 v64, 4, v148
	v_mov_b32_e32 v254, 0
	s_waitcnt lgkmcnt(1)
	v_cvt_f32_ubyte0_e32 v148, v11
	v_lshrrev_b32_e32 v11, 4, v164
	v_cvt_f32_ubyte0_e32 v152, v56
	v_and_b32_e32 v53, 0xf0f0f0f, v53
	v_mov_b32_e32 v56, 0
	v_and_b32_e32 v222, 0xf0f0f0f, v64
	v_mov_b32_e32 v64, 0
	;; [unrolled: 2-line block ×3, first 2 shown]
	v_dot4c_i32_i8_e32 v254, v195, v4
	v_dot4c_i32_i8_e32 v56, v53, v4
	;; [unrolled: 1-line block ×4, first 2 shown]
	v_lshrrev_b32_e32 v4, 4, v165
	v_and_b32_e32 v192, 0xf0f0f0f, v4
	v_lshrrev_b32_e32 v4, 4, v12
	v_dot4c_i32_i8_e32 v254, v214, v5
	v_dot4c_i32_i8_e32 v56, v223, v5
	v_dot4c_i32_i8_e32 v64, v239, v5
	v_dot4c_i32_i8_e32 v70, v192, v5
	v_and_b32_e32 v190, 0xf0f0f0f, v4
	v_lshrrev_b32_e32 v4, 4, v13
	v_dot4c_i32_i8_e32 v254, v215, v6
	v_dot4c_i32_i8_e32 v56, v224, v6
	v_dot4c_i32_i8_e32 v64, v240, v6
	v_dot4c_i32_i8_e32 v70, v190, v6
	;; [unrolled: 6-line block ×3, first 2 shown]
	v_and_b32_e32 v186, 0xf0f0f0f, v4
	v_dot4c_i32_i8_e32 v254, v217, v0
	v_dot4c_i32_i8_e32 v56, v226, v0
	;; [unrolled: 1-line block ×4, first 2 shown]
	v_lshrrev_b32_e32 v0, 4, v15
	v_and_b32_e32 v187, 0xf0f0f0f, v0
	v_lshrrev_b32_e32 v0, 4, v8
	v_and_b32_e32 v188, 0xf0f0f0f, v0
	v_lshrrev_b32_e32 v0, 4, v9
	v_dot4c_i32_i8_e32 v254, v218, v1
	v_dot4c_i32_i8_e32 v56, v229, v1
	v_dot4c_i32_i8_e32 v64, v244, v1
	v_dot4c_i32_i8_e32 v70, v187, v1
	v_and_b32_e32 v189, 0xf0f0f0f, v0
	v_or_b32_e32 v0, s17, v79
	v_dot4c_i32_i8_e32 v254, v219, v2
	v_dot4c_i32_i8_e32 v56, v230, v2
	;; [unrolled: 1-line block ×4, first 2 shown]
	v_lshlrev_b32_e32 v1, 2, v0
	v_dot4c_i32_i8_e32 v254, v220, v3
	v_dot4c_i32_i8_e32 v56, v231, v3
	;; [unrolled: 1-line block ×3, first 2 shown]
	v_and_b32_e32 v149, 0xff, v10
	v_dot4c_i32_i8_e32 v70, v189, v3
	v_lshrrev_b16_e32 v184, 8, v10
	s_waitcnt lgkmcnt(0)
	v_cvt_f32_ubyte0_e32 v146, v74
	v_lshrrev_b32_e32 v74, 1, v0
	ds_read_b128 v[12:15], v1 offset:16896
	ds_read_b128 v[8:11], v1 offset:16912
	;; [unrolled: 1-line block ×4, first 2 shown]
	ds_read_b64 v[166:167], v74 offset:27200
	v_mov_b32_e32 v74, 0
	s_waitcnt lgkmcnt(4)
	v_dot4c_i32_i8_e32 v74, v196, v12
	v_mov_b32_e32 v80, 0
	v_dot4c_i32_i8_e32 v74, v197, v13
	s_waitcnt lgkmcnt(2)
	v_dot4c_i32_i8_e32 v80, v195, v4
	v_dot4c_i32_i8_e32 v74, v198, v14
	;; [unrolled: 1-line block ×8, first 2 shown]
	s_waitcnt lgkmcnt(1)
	v_dot4c_i32_i8_e32 v80, v217, v0
	v_mul_lo_u32 v52, v52, v194
	v_dot4c_i32_i8_e32 v74, v202, v10
	v_dot4c_i32_i8_e32 v80, v218, v1
	v_cvt_f32_f16_e32 v168, v162
	v_cvt_f32_f16_sdwa v170, v162 dst_sel:DWORD dst_unused:UNUSED_PAD src0_sel:WORD_1
	v_cvt_f32_i32_e32 v162, v52
	v_mul_lo_u32 v52, v254, v213
	v_dot4c_i32_i8_e32 v74, v203, v11
	v_dot4c_i32_i8_e32 v80, v219, v2
	v_cvt_f32_i32_e32 v120, v52
	v_mov_b32_e32 v52, 0
	v_dot4c_i32_i8_e32 v80, v220, v3
	v_mul_lo_u32 v74, v74, v194
	v_dot4c_i32_i8_e32 v52, v193, v12
	s_waitcnt lgkmcnt(0)
	v_cvt_f32_f16_e32 v169, v166
	v_cvt_f32_f16_sdwa v171, v166 dst_sel:DWORD dst_unused:UNUSED_PAD src0_sel:WORD_1
	v_cvt_f32_f16_e32 v164, v163
	v_cvt_f32_f16_sdwa v166, v163 dst_sel:DWORD dst_unused:UNUSED_PAD src0_sel:WORD_1
	v_cvt_f32_i32_e32 v163, v74
	v_mul_lo_u32 v74, v80, v213
	v_dot4c_i32_i8_e32 v52, v206, v13
	v_cvt_f32_f16_e32 v165, v167
	v_cvt_f32_f16_sdwa v167, v167 dst_sel:DWORD dst_unused:UNUSED_PAD src0_sel:WORD_1
	v_cvt_f32_i32_e32 v121, v74
	v_dot4c_i32_i8_e32 v52, v207, v14
	v_dot4c_i32_i8_e32 v52, v208, v15
	;; [unrolled: 1-line block ×3, first 2 shown]
	v_mov_b32_e32 v74, 0
	v_pk_fma_f32 v[162:163], v[168:169], v[162:163], 0 op_sel_hi:[1,1,0]
	v_pk_fma_f32 v[178:179], v[150:151], v[170:171], 0 op_sel_hi:[0,1,0]
	v_dot4c_i32_i8_e32 v52, v210, v9
	v_dot4c_i32_i8_e32 v74, v53, v4
	v_pk_fma_f32 v[120:121], v[164:165], v[120:121], v[162:163]
	v_pk_fma_f32 v[162:163], v[154:155], v[166:167], v[178:179] op_sel_hi:[0,1,1]
	v_dot4c_i32_i8_e32 v52, v211, v10
	v_dot4c_i32_i8_e32 v74, v223, v5
	v_pk_mul_f32 v[162:163], v[162:163], v[18:19]
	v_dot4c_i32_i8_e32 v52, v212, v11
	v_dot4c_i32_i8_e32 v74, v224, v6
	v_pk_fma_f32 v[120:121], v[120:121], v[16:17], v[162:163] neg_lo:[0,0,1] neg_hi:[0,0,1]
	v_dot4c_i32_i8_e32 v74, v225, v7
	v_mul_lo_u32 v52, v52, v204
	v_pk_add_f32 v[76:77], v[76:77], v[120:121]
	v_dot4c_i32_i8_e32 v74, v226, v0
	v_cvt_f32_i32_e32 v121, v52
	v_mul_lo_u32 v52, v56, v227
	v_dot4c_i32_i8_e32 v74, v229, v1
	v_cvt_f32_i32_e32 v178, v52
	v_mov_b32_e32 v52, 0
	v_dot4c_i32_i8_e32 v74, v230, v2
	v_dot4c_i32_i8_e32 v52, v205, v12
	v_dot4c_i32_i8_e32 v74, v231, v3
	v_mul_lo_u32 v55, v55, v204
	v_dot4c_i32_i8_e32 v52, v232, v13
	v_cvt_f32_i32_e32 v120, v55
	v_mul_lo_u32 v55, v74, v227
	v_dot4c_i32_i8_e32 v52, v233, v14
	v_cvt_f32_i32_e32 v179, v55
	v_dot4c_i32_i8_e32 v52, v234, v15
	v_dot4c_i32_i8_e32 v52, v235, v8
	v_pk_fma_f32 v[162:163], v[152:153], v[170:171], 0 op_sel_hi:[0,1,0]
	v_dot4c_i32_i8_e32 v52, v236, v9
	v_pk_fma_f32 v[120:121], v[168:169], v[120:121], 0 op_sel_hi:[1,1,0]
	v_pk_fma_f32 v[162:163], v[158:159], v[166:167], v[162:163] op_sel_hi:[0,1,1]
	v_dot4c_i32_i8_e32 v52, v237, v10
	v_pk_fma_f32 v[120:121], v[164:165], v[178:179], v[120:121]
	v_pk_mul_f32 v[162:163], v[162:163], v[136:137]
	v_dot4c_i32_i8_e32 v52, v238, v11
	v_pk_fma_f32 v[120:121], v[120:121], v[134:135], v[162:163] neg_lo:[0,0,1] neg_hi:[0,0,1]
	v_mov_b32_e32 v55, 0
	v_pk_add_f32 v[68:69], v[68:69], v[120:121]
	v_mul_lo_u32 v52, v52, v221
	v_cvt_f32_i32_e32 v121, v52
	v_mul_lo_u32 v52, v64, v243
	v_cvt_f32_i32_e32 v178, v52
	v_mov_b32_e32 v52, 0
	v_dot4c_i32_i8_e32 v52, v228, v12
	v_dot4c_i32_i8_e32 v52, v247, v13
	;; [unrolled: 1-line block ×5, first 2 shown]
	v_mov_b32_e32 v8, 0
	v_dot4c_i32_i8_e32 v8, v191, v4
	v_dot4c_i32_i8_e32 v8, v192, v5
	;; [unrolled: 1-line block ×17, first 2 shown]
	v_mul_lo_u32 v0, v60, v149
	v_mul_lo_u32 v1, v52, v149
	v_cvt_f32_i32_e32 v1, v1
	v_cvt_f32_i32_e32 v0, v0
	v_mul_lo_u32 v4, v70, v184
	v_mul_lo_u32 v5, v8, v184
	v_dot4c_i32_i8_e32 v55, v245, v2
	v_cvt_f32_i32_e32 v5, v5
	v_cvt_f32_i32_e32 v4, v4
	v_dot4c_i32_i8_e32 v55, v246, v3
	v_mul_lo_u32 v56, v255, v221
	v_cvt_f32_i32_e32 v120, v56
	v_pk_fma_f32 v[2:3], v[148:149], v[170:171], 0 op_sel_hi:[0,1,0]
	v_mul_lo_u32 v55, v55, v243
	v_cvt_f32_i32_e32 v179, v55
	v_pk_fma_f32 v[0:1], v[168:169], v[0:1], 0 op_sel_hi:[1,1,0]
	v_pk_fma_f32 v[2:3], v[146:147], v[166:167], v[2:3] op_sel_hi:[0,1,1]
	v_pk_fma_f32 v[0:1], v[164:165], v[4:5], v[0:1]
	v_pk_mul_f32 v[2:3], v[2:3], v[144:145]
	v_pk_fma_f32 v[162:163], v[156:157], v[170:171], 0 op_sel_hi:[0,1,0]
	v_pk_fma_f32 v[0:1], v[0:1], v[142:143], v[2:3] neg_lo:[0,0,1] neg_hi:[0,0,1]
	v_pk_fma_f32 v[120:121], v[168:169], v[120:121], 0 op_sel_hi:[1,1,0]
	v_pk_fma_f32 v[162:163], v[160:161], v[166:167], v[162:163] op_sel_hi:[0,1,1]
	v_pk_add_f32 v[44:45], v[44:45], v[0:1]
	v_or_b32_e32 v0, s17, v85
	v_pk_fma_f32 v[120:121], v[164:165], v[178:179], v[120:121]
	v_pk_mul_f32 v[162:163], v[162:163], v[140:141]
	v_lshlrev_b32_e32 v1, 2, v0
	v_pk_fma_f32 v[120:121], v[120:121], v[138:139], v[162:163] neg_lo:[0,0,1] neg_hi:[0,0,1]
	v_lshrrev_b32_e32 v52, 1, v0
	ds_read_b128 v[12:15], v1 offset:16896
	ds_read_b128 v[8:11], v1 offset:16912
	;; [unrolled: 1-line block ×4, first 2 shown]
	ds_read_b64 v[162:163], v52 offset:27200
	v_mov_b32_e32 v64, 0
	v_mov_b32_e32 v70, 0
	;; [unrolled: 1-line block ×8, first 2 shown]
	s_waitcnt lgkmcnt(4)
	v_dot4c_i32_i8_e32 v64, v196, v12
	s_waitcnt lgkmcnt(2)
	v_dot4c_i32_i8_e32 v70, v195, v4
	v_dot4c_i32_i8_e32 v74, v193, v12
	;; [unrolled: 1-line block ×32, first 2 shown]
	s_waitcnt lgkmcnt(1)
	v_dot4c_i32_i8_e32 v70, v217, v0
	v_dot4c_i32_i8_e32 v74, v209, v8
	;; [unrolled: 1-line block ×15, first 2 shown]
	v_or_b32_e32 v0, s17, v91
	v_pk_add_f32 v[50:51], v[50:51], v[120:121]
	v_dot4c_i32_i8_e32 v64, v202, v10
	v_dot4c_i32_i8_e32 v70, v219, v2
	;; [unrolled: 1-line block ×8, first 2 shown]
	v_lshlrev_b32_e32 v1, 2, v0
	v_lshrrev_b32_e32 v120, 1, v0
	v_dot4c_i32_i8_e32 v64, v203, v11
	v_dot4c_i32_i8_e32 v70, v220, v3
	;; [unrolled: 1-line block ×8, first 2 shown]
	ds_read_b128 v[12:15], v1 offset:16896
	ds_read_b128 v[8:11], v1 offset:16912
	;; [unrolled: 1-line block ×4, first 2 shown]
	ds_read_b64 v[120:121], v120 offset:27200
	v_mov_b32_e32 v178, 0
	s_waitcnt lgkmcnt(4)
	v_dot4c_i32_i8_e32 v178, v196, v12
	v_dot4c_i32_i8_e32 v178, v197, v13
	v_mov_b32_e32 v179, 0
	v_dot4c_i32_i8_e32 v178, v198, v14
	s_waitcnt lgkmcnt(2)
	v_dot4c_i32_i8_e32 v179, v195, v4
	v_dot4c_i32_i8_e32 v178, v199, v15
	;; [unrolled: 1-line block ×8, first 2 shown]
	s_waitcnt lgkmcnt(1)
	v_dot4c_i32_i8_e32 v179, v217, v0
	v_dot4c_i32_i8_e32 v178, v203, v11
	;; [unrolled: 1-line block ×4, first 2 shown]
	s_waitcnt lgkmcnt(0)
	v_cvt_f32_f16_e32 v169, v120
	v_cvt_f32_f16_sdwa v171, v120 dst_sel:DWORD dst_unused:UNUSED_PAD src0_sel:WORD_1
	v_mul_lo_u32 v64, v64, v194
	v_mul_lo_u32 v120, v178, v194
	v_dot4c_i32_i8_e32 v179, v220, v3
	v_cvt_f32_f16_e32 v165, v121
	v_cvt_f32_f16_sdwa v167, v121 dst_sel:DWORD dst_unused:UNUSED_PAD src0_sel:WORD_1
	v_cvt_f32_i32_e32 v121, v120
	v_cvt_f32_i32_e32 v120, v64
	v_mul_lo_u32 v64, v70, v213
	v_mul_lo_u32 v70, v179, v213
	v_cvt_f32_i32_e32 v178, v64
	v_mov_b32_e32 v64, 0
	v_cvt_f32_i32_e32 v179, v70
	v_dot4c_i32_i8_e32 v64, v193, v12
	v_mov_b32_e32 v70, 0
	v_cvt_f32_f16_sdwa v170, v162 dst_sel:DWORD dst_unused:UNUSED_PAD src0_sel:WORD_1
	v_dot4c_i32_i8_e32 v64, v206, v13
	v_dot4c_i32_i8_e32 v70, v53, v4
	v_cvt_f32_f16_e32 v168, v162
	v_cvt_f32_f16_sdwa v166, v163 dst_sel:DWORD dst_unused:UNUSED_PAD src0_sel:WORD_1
	v_dot4c_i32_i8_e32 v64, v207, v14
	v_dot4c_i32_i8_e32 v70, v223, v5
	v_cvt_f32_f16_e32 v164, v163
	v_dot4c_i32_i8_e32 v64, v208, v15
	v_dot4c_i32_i8_e32 v70, v224, v6
	;; [unrolled: 1-line block ×4, first 2 shown]
	v_pk_fma_f32 v[162:163], v[150:151], v[170:171], 0 op_sel_hi:[0,1,0]
	v_dot4c_i32_i8_e32 v64, v210, v9
	v_dot4c_i32_i8_e32 v70, v226, v0
	v_pk_fma_f32 v[120:121], v[120:121], v[168:169], 0 op_sel_hi:[1,1,0]
	v_pk_fma_f32 v[162:163], v[154:155], v[166:167], v[162:163] op_sel_hi:[0,1,1]
	v_dot4c_i32_i8_e32 v64, v211, v10
	v_dot4c_i32_i8_e32 v70, v229, v1
	v_pk_fma_f32 v[120:121], v[178:179], v[164:165], v[120:121]
	v_pk_mul_f32 v[162:163], v[162:163], v[18:19]
	v_dot4c_i32_i8_e32 v64, v212, v11
	v_dot4c_i32_i8_e32 v70, v230, v2
	v_pk_fma_f32 v[120:121], v[120:121], v[16:17], v[162:163] neg_lo:[0,0,1] neg_hi:[0,0,1]
	v_dot4c_i32_i8_e32 v70, v231, v3
	v_mul_lo_u32 v74, v74, v204
	v_mul_lo_u32 v64, v64, v204
	v_pk_add_f32 v[42:43], v[42:43], v[120:121]
	v_cvt_f32_i32_e32 v121, v64
	v_cvt_f32_i32_e32 v120, v74
	v_mul_lo_u32 v64, v80, v227
	v_mul_lo_u32 v70, v70, v227
	v_cvt_f32_i32_e32 v179, v70
	v_cvt_f32_i32_e32 v178, v64
	v_pk_fma_f32 v[162:163], v[152:153], v[170:171], 0 op_sel_hi:[0,1,0]
	v_pk_fma_f32 v[120:121], v[120:121], v[168:169], 0 op_sel_hi:[1,1,0]
	;; [unrolled: 1-line block ×3, first 2 shown]
	v_pk_fma_f32 v[120:121], v[178:179], v[164:165], v[120:121]
	v_pk_mul_f32 v[162:163], v[162:163], v[136:137]
	v_mul_lo_u32 v56, v56, v221
	v_pk_fma_f32 v[120:121], v[120:121], v[134:135], v[162:163] neg_lo:[0,0,1] neg_hi:[0,0,1]
	v_mov_b32_e32 v64, 0
	v_pk_add_f32 v[40:41], v[40:41], v[120:121]
	v_cvt_f32_i32_e32 v120, v56
	v_mul_lo_u32 v56, v60, v243
	v_cvt_f32_i32_e32 v178, v56
	v_mov_b32_e32 v56, 0
	v_dot4c_i32_i8_e32 v64, v205, v12
	v_dot4c_i32_i8_e32 v56, v228, v12
	;; [unrolled: 1-line block ×10, first 2 shown]
	v_mov_b32_e32 v8, 0
	v_dot4c_i32_i8_e32 v8, v191, v4
	v_mov_b32_e32 v70, 0
	v_dot4c_i32_i8_e32 v8, v192, v5
	v_dot4c_i32_i8_e32 v70, v222, v4
	v_dot4c_i32_i8_e32 v8, v190, v6
	v_dot4c_i32_i8_e32 v70, v239, v5
	v_dot4c_i32_i8_e32 v8, v185, v7
	v_dot4c_i32_i8_e32 v70, v240, v6
	v_dot4c_i32_i8_e32 v56, v251, v9
	v_dot4c_i32_i8_e32 v8, v186, v0
	v_dot4c_i32_i8_e32 v70, v241, v7
	v_dot4c_i32_i8_e32 v56, v252, v10
	v_dot4c_i32_i8_e32 v8, v187, v1
	v_dot4c_i32_i8_e32 v70, v242, v0
	v_dot4c_i32_i8_e32 v56, v253, v11
	v_dot4c_i32_i8_e32 v8, v188, v2
	v_dot4c_i32_i8_e32 v64, v236, v9
	v_dot4c_i32_i8_e32 v70, v244, v1
	v_dot4c_i32_i8_e32 v8, v189, v3
	v_mul_lo_u32 v0, v52, v149
	v_mul_lo_u32 v1, v56, v149
	v_dot4c_i32_i8_e32 v64, v237, v10
	v_cvt_f32_i32_e32 v1, v1
	v_cvt_f32_i32_e32 v0, v0
	v_mul_lo_u32 v4, v55, v184
	v_mul_lo_u32 v5, v8, v184
	v_dot4c_i32_i8_e32 v64, v238, v11
	v_dot4c_i32_i8_e32 v70, v245, v2
	v_cvt_f32_i32_e32 v5, v5
	v_cvt_f32_i32_e32 v4, v4
	v_dot4c_i32_i8_e32 v70, v246, v3
	v_mul_lo_u32 v64, v64, v221
	v_cvt_f32_i32_e32 v121, v64
	v_pk_fma_f32 v[2:3], v[148:149], v[170:171], 0 op_sel_hi:[0,1,0]
	v_mul_lo_u32 v60, v70, v243
	v_cvt_f32_i32_e32 v179, v60
	v_pk_fma_f32 v[0:1], v[0:1], v[168:169], 0 op_sel_hi:[1,1,0]
	v_pk_fma_f32 v[2:3], v[146:147], v[166:167], v[2:3] op_sel_hi:[0,1,1]
	v_pk_fma_f32 v[0:1], v[4:5], v[164:165], v[0:1]
	v_pk_mul_f32 v[2:3], v[2:3], v[144:145]
	v_pk_fma_f32 v[162:163], v[156:157], v[170:171], 0 op_sel_hi:[0,1,0]
	v_pk_fma_f32 v[0:1], v[0:1], v[142:143], v[2:3] neg_lo:[0,0,1] neg_hi:[0,0,1]
	v_pk_fma_f32 v[120:121], v[120:121], v[168:169], 0 op_sel_hi:[1,1,0]
	v_pk_fma_f32 v[162:163], v[160:161], v[166:167], v[162:163] op_sel_hi:[0,1,1]
	v_pk_add_f32 v[36:37], v[36:37], v[0:1]
	v_or_b32_e32 v0, s17, v97
	v_pk_fma_f32 v[120:121], v[178:179], v[164:165], v[120:121]
	v_pk_mul_f32 v[162:163], v[162:163], v[140:141]
	v_lshlrev_b32_e32 v1, 2, v0
	v_pk_fma_f32 v[120:121], v[120:121], v[138:139], v[162:163] neg_lo:[0,0,1] neg_hi:[0,0,1]
	v_lshrrev_b32_e32 v52, 1, v0
	ds_read_b128 v[12:15], v1 offset:16896
	ds_read_b128 v[8:11], v1 offset:16912
	;; [unrolled: 1-line block ×4, first 2 shown]
	ds_read_b64 v[162:163], v52 offset:27200
	v_mov_b32_e32 v64, 0
	v_mov_b32_e32 v70, 0
	;; [unrolled: 1-line block ×8, first 2 shown]
	s_waitcnt lgkmcnt(4)
	v_dot4c_i32_i8_e32 v64, v196, v12
	s_waitcnt lgkmcnt(2)
	v_dot4c_i32_i8_e32 v70, v195, v4
	v_dot4c_i32_i8_e32 v74, v193, v12
	;; [unrolled: 1-line block ×32, first 2 shown]
	s_waitcnt lgkmcnt(1)
	v_dot4c_i32_i8_e32 v70, v217, v0
	v_dot4c_i32_i8_e32 v74, v209, v8
	;; [unrolled: 1-line block ×15, first 2 shown]
	v_or_b32_e32 v0, s17, v103
	v_pk_add_f32 v[38:39], v[38:39], v[120:121]
	v_dot4c_i32_i8_e32 v64, v202, v10
	v_dot4c_i32_i8_e32 v70, v219, v2
	;; [unrolled: 1-line block ×8, first 2 shown]
	v_lshlrev_b32_e32 v1, 2, v0
	v_lshrrev_b32_e32 v120, 1, v0
	v_dot4c_i32_i8_e32 v64, v203, v11
	v_dot4c_i32_i8_e32 v70, v220, v3
	;; [unrolled: 1-line block ×8, first 2 shown]
	ds_read_b128 v[12:15], v1 offset:16896
	ds_read_b128 v[8:11], v1 offset:16912
	;; [unrolled: 1-line block ×4, first 2 shown]
	ds_read_b64 v[120:121], v120 offset:27200
	v_mov_b32_e32 v178, 0
	s_waitcnt lgkmcnt(4)
	v_dot4c_i32_i8_e32 v178, v196, v12
	v_dot4c_i32_i8_e32 v178, v197, v13
	v_mov_b32_e32 v179, 0
	v_dot4c_i32_i8_e32 v178, v198, v14
	s_waitcnt lgkmcnt(2)
	v_dot4c_i32_i8_e32 v179, v195, v4
	v_dot4c_i32_i8_e32 v178, v199, v15
	;; [unrolled: 1-line block ×8, first 2 shown]
	s_waitcnt lgkmcnt(1)
	v_dot4c_i32_i8_e32 v179, v217, v0
	v_dot4c_i32_i8_e32 v178, v203, v11
	;; [unrolled: 1-line block ×4, first 2 shown]
	s_waitcnt lgkmcnt(0)
	v_cvt_f32_f16_e32 v169, v120
	v_cvt_f32_f16_sdwa v171, v120 dst_sel:DWORD dst_unused:UNUSED_PAD src0_sel:WORD_1
	v_mul_lo_u32 v64, v64, v194
	v_mul_lo_u32 v120, v178, v194
	v_dot4c_i32_i8_e32 v179, v220, v3
	v_cvt_f32_f16_e32 v165, v121
	v_cvt_f32_f16_sdwa v167, v121 dst_sel:DWORD dst_unused:UNUSED_PAD src0_sel:WORD_1
	v_cvt_f32_i32_e32 v121, v120
	v_cvt_f32_i32_e32 v120, v64
	v_mul_lo_u32 v64, v70, v213
	v_mul_lo_u32 v70, v179, v213
	v_cvt_f32_i32_e32 v178, v64
	v_mov_b32_e32 v64, 0
	v_cvt_f32_i32_e32 v179, v70
	v_dot4c_i32_i8_e32 v64, v193, v12
	v_mov_b32_e32 v70, 0
	v_cvt_f32_f16_sdwa v170, v162 dst_sel:DWORD dst_unused:UNUSED_PAD src0_sel:WORD_1
	v_dot4c_i32_i8_e32 v64, v206, v13
	v_dot4c_i32_i8_e32 v70, v53, v4
	v_cvt_f32_f16_e32 v168, v162
	v_cvt_f32_f16_sdwa v166, v163 dst_sel:DWORD dst_unused:UNUSED_PAD src0_sel:WORD_1
	v_dot4c_i32_i8_e32 v64, v207, v14
	v_dot4c_i32_i8_e32 v70, v223, v5
	v_cvt_f32_f16_e32 v164, v163
	v_dot4c_i32_i8_e32 v64, v208, v15
	v_dot4c_i32_i8_e32 v70, v224, v6
	;; [unrolled: 1-line block ×4, first 2 shown]
	v_pk_fma_f32 v[162:163], v[150:151], v[170:171], 0 op_sel_hi:[0,1,0]
	v_dot4c_i32_i8_e32 v64, v210, v9
	v_dot4c_i32_i8_e32 v70, v226, v0
	v_pk_fma_f32 v[120:121], v[120:121], v[168:169], 0 op_sel_hi:[1,1,0]
	v_pk_fma_f32 v[162:163], v[154:155], v[166:167], v[162:163] op_sel_hi:[0,1,1]
	v_dot4c_i32_i8_e32 v64, v211, v10
	v_dot4c_i32_i8_e32 v70, v229, v1
	v_pk_fma_f32 v[120:121], v[178:179], v[164:165], v[120:121]
	v_pk_mul_f32 v[162:163], v[162:163], v[18:19]
	v_dot4c_i32_i8_e32 v64, v212, v11
	v_dot4c_i32_i8_e32 v70, v230, v2
	v_pk_fma_f32 v[120:121], v[120:121], v[16:17], v[162:163] neg_lo:[0,0,1] neg_hi:[0,0,1]
	v_dot4c_i32_i8_e32 v70, v231, v3
	v_mul_lo_u32 v74, v74, v204
	v_mul_lo_u32 v64, v64, v204
	v_pk_add_f32 v[34:35], v[34:35], v[120:121]
	v_cvt_f32_i32_e32 v121, v64
	v_cvt_f32_i32_e32 v120, v74
	v_mul_lo_u32 v64, v80, v227
	v_mul_lo_u32 v70, v70, v227
	v_cvt_f32_i32_e32 v179, v70
	v_cvt_f32_i32_e32 v178, v64
	v_pk_fma_f32 v[162:163], v[152:153], v[170:171], 0 op_sel_hi:[0,1,0]
	v_pk_fma_f32 v[120:121], v[120:121], v[168:169], 0 op_sel_hi:[1,1,0]
	v_pk_fma_f32 v[162:163], v[158:159], v[166:167], v[162:163] op_sel_hi:[0,1,1]
	v_pk_fma_f32 v[120:121], v[178:179], v[164:165], v[120:121]
	v_pk_mul_f32 v[162:163], v[162:163], v[136:137]
	v_mul_lo_u32 v56, v56, v221
	v_pk_fma_f32 v[120:121], v[120:121], v[134:135], v[162:163] neg_lo:[0,0,1] neg_hi:[0,0,1]
	v_mov_b32_e32 v64, 0
	v_pk_add_f32 v[32:33], v[32:33], v[120:121]
	v_cvt_f32_i32_e32 v120, v56
	v_mul_lo_u32 v56, v60, v243
	v_cvt_f32_i32_e32 v178, v56
	v_mov_b32_e32 v56, 0
	v_dot4c_i32_i8_e32 v64, v205, v12
	v_dot4c_i32_i8_e32 v56, v228, v12
	;; [unrolled: 1-line block ×10, first 2 shown]
	v_mov_b32_e32 v8, 0
	v_dot4c_i32_i8_e32 v8, v191, v4
	v_mov_b32_e32 v70, 0
	v_dot4c_i32_i8_e32 v8, v192, v5
	v_dot4c_i32_i8_e32 v70, v222, v4
	v_dot4c_i32_i8_e32 v8, v190, v6
	v_dot4c_i32_i8_e32 v70, v239, v5
	v_dot4c_i32_i8_e32 v8, v185, v7
	v_dot4c_i32_i8_e32 v70, v240, v6
	v_dot4c_i32_i8_e32 v56, v251, v9
	v_dot4c_i32_i8_e32 v8, v186, v0
	v_dot4c_i32_i8_e32 v70, v241, v7
	v_dot4c_i32_i8_e32 v56, v252, v10
	v_dot4c_i32_i8_e32 v8, v187, v1
	v_dot4c_i32_i8_e32 v70, v242, v0
	v_dot4c_i32_i8_e32 v56, v253, v11
	v_dot4c_i32_i8_e32 v8, v188, v2
	v_dot4c_i32_i8_e32 v70, v244, v1
	v_dot4c_i32_i8_e32 v8, v189, v3
	v_mul_lo_u32 v0, v52, v149
	v_mul_lo_u32 v1, v56, v149
	v_cvt_f32_i32_e32 v1, v1
	v_cvt_f32_i32_e32 v0, v0
	v_mul_lo_u32 v4, v55, v184
	v_mul_lo_u32 v5, v8, v184
	v_cvt_f32_i32_e32 v5, v5
	v_cvt_f32_i32_e32 v4, v4
	v_dot4c_i32_i8_e32 v70, v245, v2
	v_dot4c_i32_i8_e32 v70, v246, v3
	v_pk_fma_f32 v[2:3], v[148:149], v[170:171], 0 op_sel_hi:[0,1,0]
	v_pk_fma_f32 v[0:1], v[0:1], v[168:169], 0 op_sel_hi:[1,1,0]
	v_pk_fma_f32 v[2:3], v[146:147], v[166:167], v[2:3] op_sel_hi:[0,1,1]
	v_pk_fma_f32 v[0:1], v[4:5], v[164:165], v[0:1]
	v_pk_mul_f32 v[2:3], v[2:3], v[144:145]
	v_dot4c_i32_i8_e32 v64, v236, v9
	v_pk_fma_f32 v[0:1], v[0:1], v[142:143], v[2:3] neg_lo:[0,0,1] neg_hi:[0,0,1]
	v_dot4c_i32_i8_e32 v64, v237, v10
	v_pk_add_f32 v[28:29], v[28:29], v[0:1]
	v_or_b32_e32 v0, s17, v109
	v_lshlrev_b32_e32 v1, 2, v0
	v_dot4c_i32_i8_e32 v64, v238, v11
	v_pk_fma_f32 v[162:163], v[156:157], v[170:171], 0 op_sel_hi:[0,1,0]
	v_lshrrev_b32_e32 v52, 1, v0
	ds_read_b128 v[12:15], v1 offset:16896
	ds_read_b128 v[8:11], v1 offset:16912
	;; [unrolled: 1-line block ×4, first 2 shown]
	ds_read_b64 v[170:171], v52 offset:27200
	v_mul_lo_u32 v64, v64, v221
	v_mul_lo_u32 v60, v70, v243
	v_cvt_f32_i32_e32 v121, v64
	v_cvt_f32_i32_e32 v179, v60
	v_mov_b32_e32 v56, 0
	v_mov_b32_e32 v60, 0
	;; [unrolled: 1-line block ×8, first 2 shown]
	s_waitcnt lgkmcnt(4)
	v_dot4c_i32_i8_e32 v56, v196, v12
	s_waitcnt lgkmcnt(2)
	v_dot4c_i32_i8_e32 v60, v195, v4
	v_dot4c_i32_i8_e32 v64, v193, v12
	;; [unrolled: 1-line block ×31, first 2 shown]
	v_pk_fma_f32 v[120:121], v[120:121], v[168:169], 0 op_sel_hi:[1,1,0]
	v_pk_fma_f32 v[162:163], v[160:161], v[166:167], v[162:163] op_sel_hi:[0,1,1]
	v_dot4c_i32_i8_e32 v56, v200, v8
	s_waitcnt lgkmcnt(1)
	v_dot4c_i32_i8_e32 v60, v217, v0
	v_dot4c_i32_i8_e32 v64, v209, v8
	;; [unrolled: 1-line block ×7, first 2 shown]
	v_pk_fma_f32 v[120:121], v[178:179], v[164:165], v[120:121]
	v_pk_mul_f32 v[162:163], v[162:163], v[140:141]
	v_dot4c_i32_i8_e32 v56, v201, v9
	v_dot4c_i32_i8_e32 v60, v218, v1
	v_dot4c_i32_i8_e32 v64, v210, v9
	v_dot4c_i32_i8_e32 v70, v229, v1
	v_dot4c_i32_i8_e32 v52, v236, v9
	v_dot4c_i32_i8_e32 v55, v244, v1
	v_dot4c_i32_i8_e32 v255, v251, v9
	v_dot4c_i32_i8_e32 v254, v187, v1
	v_or_b32_e32 v0, s17, v115
	v_pk_fma_f32 v[120:121], v[120:121], v[138:139], v[162:163] neg_lo:[0,0,1] neg_hi:[0,0,1]
	v_dot4c_i32_i8_e32 v56, v202, v10
	v_dot4c_i32_i8_e32 v60, v219, v2
	;; [unrolled: 1-line block ×8, first 2 shown]
	v_lshlrev_b32_e32 v1, 2, v0
	v_pk_add_f32 v[30:31], v[30:31], v[120:121]
	v_dot4c_i32_i8_e32 v56, v203, v11
	v_dot4c_i32_i8_e32 v60, v220, v3
	;; [unrolled: 1-line block ×8, first 2 shown]
	v_lshrrev_b32_e32 v74, 1, v0
	ds_read_b128 v[12:15], v1 offset:16896
	ds_read_b128 v[8:11], v1 offset:16912
	ds_read_b128 v[4:7], v1 offset:16928
	ds_read_b128 v[0:3], v1 offset:16944
	ds_read_b64 v[120:121], v74 offset:27200
	v_mov_b32_e32 v80, 0
	v_mov_b32_e32 v74, 0
	s_waitcnt lgkmcnt(2)
	v_dot4c_i32_i8_e32 v80, v195, v4
	v_dot4c_i32_i8_e32 v74, v196, v12
	;; [unrolled: 1-line block ×8, first 2 shown]
	s_waitcnt lgkmcnt(1)
	v_dot4c_i32_i8_e32 v80, v217, v0
	v_dot4c_i32_i8_e32 v74, v200, v8
	;; [unrolled: 1-line block ×5, first 2 shown]
	v_mul_lo_u32 v56, v56, v194
	v_dot4c_i32_i8_e32 v74, v202, v10
	v_dot4c_i32_i8_e32 v80, v220, v3
	s_waitcnt lgkmcnt(0)
	v_cvt_f32_f16_e32 v169, v120
	v_cvt_f32_f16_sdwa v167, v120 dst_sel:DWORD dst_unused:UNUSED_PAD src0_sel:WORD_1
	v_cvt_f32_i32_e32 v120, v56
	v_mul_lo_u32 v56, v60, v213
	v_dot4c_i32_i8_e32 v74, v203, v11
	v_mul_lo_u32 v60, v80, v213
	v_cvt_f32_i32_e32 v178, v56
	v_mov_b32_e32 v56, 0
	v_cvt_f32_f16_sdwa v166, v170 dst_sel:DWORD dst_unused:UNUSED_PAD src0_sel:WORD_1
	v_mul_lo_u32 v74, v74, v194
	v_cvt_f32_i32_e32 v179, v60
	v_dot4c_i32_i8_e32 v56, v193, v12
	v_mov_b32_e32 v60, 0
	v_cvt_f32_f16_e32 v168, v170
	v_cvt_f32_f16_e32 v165, v121
	v_cvt_f32_f16_sdwa v163, v121 dst_sel:DWORD dst_unused:UNUSED_PAD src0_sel:WORD_1
	v_cvt_f32_f16_sdwa v162, v171 dst_sel:DWORD dst_unused:UNUSED_PAD src0_sel:WORD_1
	v_cvt_f32_i32_e32 v121, v74
	v_dot4c_i32_i8_e32 v56, v206, v13
	v_dot4c_i32_i8_e32 v60, v53, v4
	v_cvt_f32_f16_e32 v164, v171
	v_dot4c_i32_i8_e32 v56, v207, v14
	v_dot4c_i32_i8_e32 v60, v223, v5
	;; [unrolled: 1-line block ×4, first 2 shown]
	v_pk_fma_f32 v[170:171], v[150:151], v[166:167], 0 op_sel_hi:[0,1,0]
	v_dot4c_i32_i8_e32 v56, v209, v8
	v_dot4c_i32_i8_e32 v60, v225, v7
	v_pk_fma_f32 v[120:121], v[120:121], v[168:169], 0 op_sel_hi:[1,1,0]
	v_pk_fma_f32 v[170:171], v[154:155], v[162:163], v[170:171] op_sel_hi:[0,1,1]
	v_dot4c_i32_i8_e32 v56, v210, v9
	v_dot4c_i32_i8_e32 v60, v226, v0
	v_pk_fma_f32 v[120:121], v[178:179], v[164:165], v[120:121]
	v_pk_mul_f32 v[170:171], v[170:171], v[18:19]
	v_dot4c_i32_i8_e32 v56, v211, v10
	v_dot4c_i32_i8_e32 v60, v229, v1
	v_pk_fma_f32 v[120:121], v[120:121], v[16:17], v[170:171] neg_lo:[0,0,1] neg_hi:[0,0,1]
	v_dot4c_i32_i8_e32 v56, v212, v11
	v_dot4c_i32_i8_e32 v60, v230, v2
	v_mul_lo_u32 v53, v64, v204
	v_pk_add_f32 v[26:27], v[26:27], v[120:121]
	v_dot4c_i32_i8_e32 v60, v231, v3
	v_mul_lo_u32 v56, v56, v204
	v_cvt_f32_i32_e32 v120, v53
	v_mul_lo_u32 v53, v70, v227
	v_cvt_f32_i32_e32 v121, v56
	;; [unrolled: 2-line block ×3, first 2 shown]
	v_mov_b32_e32 v53, 0
	v_cvt_f32_i32_e32 v179, v56
	v_dot4c_i32_i8_e32 v53, v205, v12
	v_mov_b32_e32 v56, 0
	v_dot4c_i32_i8_e32 v53, v232, v13
	v_dot4c_i32_i8_e32 v56, v222, v4
	;; [unrolled: 1-line block ×12, first 2 shown]
	v_pk_fma_f32 v[170:171], v[152:153], v[166:167], 0 op_sel_hi:[0,1,0]
	v_dot4c_i32_i8_e32 v53, v238, v11
	v_dot4c_i32_i8_e32 v56, v245, v2
	v_pk_fma_f32 v[120:121], v[120:121], v[168:169], 0 op_sel_hi:[1,1,0]
	v_pk_fma_f32 v[170:171], v[158:159], v[162:163], v[170:171] op_sel_hi:[0,1,1]
	v_dot4c_i32_i8_e32 v56, v246, v3
	v_mul_lo_u32 v52, v52, v221
	v_mul_lo_u32 v53, v53, v221
	v_pk_fma_f32 v[120:121], v[178:179], v[164:165], v[120:121]
	v_pk_mul_f32 v[170:171], v[170:171], v[136:137]
	v_cvt_f32_i32_e32 v53, v53
	v_cvt_f32_i32_e32 v52, v52
	v_mul_lo_u32 v55, v55, v243
	v_mul_lo_u32 v56, v56, v243
	v_pk_fma_f32 v[120:121], v[120:121], v[134:135], v[170:171] neg_lo:[0,0,1] neg_hi:[0,0,1]
	v_cvt_f32_i32_e32 v171, v56
	v_cvt_f32_i32_e32 v170, v55
	v_pk_add_f32 v[24:25], v[24:25], v[120:121]
	v_pk_fma_f32 v[120:121], v[156:157], v[166:167], 0 op_sel_hi:[0,1,0]
	v_pk_fma_f32 v[52:53], v[52:53], v[168:169], 0 op_sel_hi:[1,1,0]
	;; [unrolled: 1-line block ×3, first 2 shown]
	v_pk_fma_f32 v[52:53], v[170:171], v[164:165], v[52:53]
	v_pk_mul_f32 v[120:121], v[120:121], v[140:141]
	s_mov_b32 s18, 8
	v_pk_fma_f32 v[52:53], v[52:53], v[138:139], v[120:121] neg_lo:[0,0,1] neg_hi:[0,0,1]
	s_and_b64 vcc, exec, s[4:5]
	v_pk_add_f32 v[22:23], v[22:23], v[52:53]
	v_mov_b32_e32 v52, 0
	v_dot4c_i32_i8_e32 v52, v228, v12
	v_dot4c_i32_i8_e32 v52, v247, v13
	;; [unrolled: 1-line block ×5, first 2 shown]
	v_mov_b32_e32 v8, 0
	v_dot4c_i32_i8_e32 v8, v191, v4
	v_dot4c_i32_i8_e32 v8, v192, v5
	;; [unrolled: 1-line block ×11, first 2 shown]
	v_mul_lo_u32 v0, v255, v149
	v_mul_lo_u32 v1, v52, v149
	v_cvt_f32_i32_e32 v1, v1
	v_cvt_f32_i32_e32 v0, v0
	v_mul_lo_u32 v4, v254, v184
	v_mul_lo_u32 v5, v8, v184
	v_cvt_f32_i32_e32 v5, v5
	v_cvt_f32_i32_e32 v4, v4
	v_pk_fma_f32 v[2:3], v[148:149], v[166:167], 0 op_sel_hi:[0,1,0]
	v_pk_fma_f32 v[0:1], v[0:1], v[168:169], 0 op_sel_hi:[1,1,0]
	;; [unrolled: 1-line block ×3, first 2 shown]
	v_pk_fma_f32 v[0:1], v[4:5], v[164:165], v[0:1]
	v_pk_mul_f32 v[2:3], v[2:3], v[144:145]
	s_mov_b64 s[4:5], 0
	v_pk_fma_f32 v[0:1], v[0:1], v[142:143], v[2:3] neg_lo:[0,0,1] neg_hi:[0,0,1]
	s_nop 0
	v_pk_add_f32 v[20:21], v[20:21], v[0:1]
	s_cbranch_vccnz .LBB152_6
; %bb.7:                                ;   in Loop: Header=BB152_5 Depth=1
	v_add_u32_e32 v14, s9, v92
	v_add_u32_e32 v0, v14, v71
	;; [unrolled: 1-line block ×6, first 2 shown]
	v_mad_i64_i32 v[0:1], s[4:5], v0, 36, v[126:127]
	v_mad_i64_i32 v[2:3], s[4:5], v2, 36, v[126:127]
	;; [unrolled: 1-line block ×5, first 2 shown]
	v_add_u32_e32 v10, v14, v101
	v_add_u32_e32 v12, v14, v107
	;; [unrolled: 1-line block ×3, first 2 shown]
	s_barrier
	v_mad_i64_i32 v[10:11], s[4:5], v10, 36, v[126:127]
	v_mad_i64_i32 v[12:13], s[4:5], v12, 36, v[126:127]
	;; [unrolled: 1-line block ×3, first 2 shown]
	global_load_dword v16, v[0:1], off offset:4
	s_nop 0
	global_load_dword v2, v[2:3], off offset:4
	s_nop 0
	;; [unrolled: 2-line block ×3, first 2 shown]
	global_load_dword v4, v[6:7], off offset:4
	global_load_dword v5, v[8:9], off offset:4
	s_nop 0
	global_load_dword v6, v[10:11], off offset:4
	global_load_dword v7, v[12:13], off offset:4
	;; [unrolled: 1-line block ×3, first 2 shown]
	v_add_u32_e32 v0, 4, v147
	v_mad_u64_u32 v[0:1], s[4:5], v0, 36, s[2:3]
	global_load_dword v0, v[0:1], off
	s_mov_b32 s4, 16
	s_mov_b32 s5, 0
	v_mov_b32_e32 v163, v172
	v_mov_b32_e32 v165, v161
	s_mov_b32 s9, 0
	v_mov_b32_e32 v184, v159
	s_waitcnt vmcnt(8)
	ds_write_b32 v73, v16
	s_waitcnt vmcnt(7)
	ds_write_b32 v81, v2
	;; [unrolled: 2-line block ×9, first 2 shown]
	s_waitcnt lgkmcnt(0)
	s_barrier
	ds_read_b32 v0, v119
	ds_read_b32 v1, v123 offset:128
	ds_read_b32 v2, v125 offset:256
	;; [unrolled: 1-line block ×3, first 2 shown]
	s_waitcnt lgkmcnt(2)
	v_cvt_f32_f16_e32 v138, v1
	v_cvt_f32_f16_e32 v134, v0
	v_cvt_f32_f16_sdwa v136, v0 dst_sel:DWORD dst_unused:UNUSED_PAD src0_sel:WORD_1
	v_cvt_f32_f16_sdwa v140, v1 dst_sel:DWORD dst_unused:UNUSED_PAD src0_sel:WORD_1
	s_waitcnt lgkmcnt(1)
	v_cvt_f32_f16_e32 v142, v2
	v_cvt_f32_f16_sdwa v144, v2 dst_sel:DWORD dst_unused:UNUSED_PAD src0_sel:WORD_1
	s_waitcnt lgkmcnt(0)
	v_cvt_f32_f16_e32 v146, v3
	v_cvt_f32_f16_sdwa v148, v3 dst_sel:DWORD dst_unused:UNUSED_PAD src0_sel:WORD_1
	v_mov_b32_e32 v135, v134
	v_mov_b32_e32 v137, v136
	;; [unrolled: 1-line block ×8, first 2 shown]
.LBB152_8:                              ;   Parent Loop BB152_5 Depth=1
                                        ; =>  This Inner Loop Header: Depth=2
	ds_read_b128 v[16:19], v163
	ds_read_b128 v[12:15], v163 offset:16
	ds_read_b128 v[8:11], v163 offset:32
	;; [unrolled: 1-line block ×3, first 2 shown]
	ds_read2_b64 v[0:3], v165 offset1:16
	ds_read2_b32 v[120:121], v184 offset1:1
	ds_read2_b32 v[166:167], v184 offset0:2 offset1:3
	ds_read2_b32 v[168:169], v184 offset0:4 offset1:5
	;; [unrolled: 1-line block ×3, first 2 shown]
	s_lshr_b32 s17, s4, 2
	s_and_b32 s17, s17, 0x3ffffffc
	v_add_u32_e32 v70, s5, v173
	s_waitcnt lgkmcnt(3)
	v_lshrrev_b32_e32 v60, 4, v121
	v_add3_u32 v53, v177, s17, v70
	v_and_b32_e32 v225, 0xf0f0f0f, v60
	s_waitcnt lgkmcnt(2)
	v_lshrrev_b32_e32 v60, 4, v166
	ds_read_u16 v55, v53 offset:25088
	ds_read_u16 v53, v53 offset:25096
	v_and_b32_e32 v226, 0xf0f0f0f, v60
	v_lshrrev_b32_e32 v60, 4, v167
	v_and_b32_e32 v227, 0xf0f0f0f, v60
	s_waitcnt lgkmcnt(3)
	v_lshrrev_b32_e32 v60, 4, v168
	v_and_b32_e32 v228, 0xf0f0f0f, v60
	v_lshrrev_b32_e32 v60, 4, v169
	v_and_b32_e32 v229, 0xf0f0f0f, v60
	s_waitcnt lgkmcnt(2)
	v_lshrrev_b32_e32 v60, 4, v170
	s_waitcnt lgkmcnt(1)
	v_and_b32_e32 v211, 0xff, v55
	v_and_b32_e32 v230, 0xf0f0f0f, v60
	v_lshrrev_b32_e32 v60, 4, v171
	v_lshrrev_b16_e32 v224, 8, v55
	v_add_u32_e32 v55, 0x1080, v184
	v_and_b32_e32 v202, 0xf0f0f0f, v120
	v_and_b32_e32 v201, 0xf0f0f0f, v121
	v_lshrrev_b32_e32 v56, 4, v120
	v_and_b32_e32 v233, 0xf0f0f0f, v60
	ds_read2_b32 v[120:121], v55 offset1:1
	v_add_u32_e32 v60, 0x1088, v184
	v_and_b32_e32 v204, 0xf0f0f0f, v166
	v_and_b32_e32 v205, 0xf0f0f0f, v167
	ds_read2_b32 v[166:167], v60 offset1:1
	v_add_u32_e32 v60, 0x1090, v184
	v_and_b32_e32 v208, 0xf0f0f0f, v168
	;; [unrolled: 4-line block ×3, first 2 shown]
	v_and_b32_e32 v214, 0xf0f0f0f, v171
	ds_read2_b32 v[170:171], v60 offset1:1
	s_waitcnt lgkmcnt(3)
	v_lshrrev_b32_e32 v74, 4, v121
	v_and_b32_e32 v235, 0xf0f0f0f, v74
	s_waitcnt lgkmcnt(2)
	v_lshrrev_b32_e32 v74, 4, v166
	v_cvt_f32_ubyte0_e32 v154, v53
	v_cvt_f32_ubyte1_e32 v158, v53
	v_add3_u32 v53, v176, s17, v70
	v_and_b32_e32 v237, 0xf0f0f0f, v74
	v_lshrrev_b32_e32 v74, 4, v167
	ds_read_u16 v60, v53 offset:25600
	ds_read_u16 v53, v53 offset:25608
	v_and_b32_e32 v239, 0xf0f0f0f, v74
	s_waitcnt lgkmcnt(3)
	v_lshrrev_b32_e32 v74, 4, v168
	v_and_b32_e32 v241, 0xf0f0f0f, v74
	v_lshrrev_b32_e32 v74, 4, v169
	v_and_b32_e32 v244, 0xf0f0f0f, v74
	s_waitcnt lgkmcnt(2)
	v_lshrrev_b32_e32 v74, 4, v170
	v_and_b32_e32 v245, 0xf0f0f0f, v74
	v_lshrrev_b32_e32 v74, 4, v171
	s_waitcnt lgkmcnt(1)
	v_and_b32_e32 v218, 0xff, v60
	v_and_b32_e32 v247, 0xf0f0f0f, v74
	v_lshrrev_b16_e32 v242, 8, v60
	v_add_u32_e32 v60, 0x2100, v184
	v_add_u32_e32 v74, 0x2108, v184
	v_and_b32_e32 v203, 0xf0f0f0f, v120
	v_and_b32_e32 v206, 0xf0f0f0f, v121
	v_and_b32_e32 v210, 0xf0f0f0f, v166
	v_and_b32_e32 v212, 0xf0f0f0f, v167
	v_lshrrev_b32_e32 v64, 4, v120
	ds_read2_b32 v[120:121], v60 offset1:1
	ds_read2_b32 v[166:167], v74 offset1:1
	v_add_u32_e32 v74, 0x2110, v184
	v_and_b32_e32 v216, 0xf0f0f0f, v168
	v_and_b32_e32 v217, 0xf0f0f0f, v169
	s_waitcnt lgkmcnt(2)
	v_cvt_f32_ubyte0_e32 v156, v53
	v_cvt_f32_ubyte1_e32 v162, v53
	v_add3_u32 v53, v175, s17, v70
	ds_read2_b32 v[168:169], v74 offset1:1
	v_add_u32_e32 v74, 0x2118, v184
	v_and_b32_e32 v219, 0xf0f0f0f, v170
	v_and_b32_e32 v220, 0xf0f0f0f, v171
	ds_read2_b32 v[170:171], v74 offset1:1
	ds_read_u16 v80, v53 offset:26112
	ds_read_u16 v150, v53 offset:26120
	s_waitcnt lgkmcnt(5)
	v_lshrrev_b32_e32 v53, 4, v120
	v_and_b32_e32 v221, 0xf0f0f0f, v120
	v_and_b32_e32 v223, 0xf0f0f0f, v121
	s_waitcnt lgkmcnt(1)
	v_and_b32_e32 v234, 0xff, v80
	v_lshrrev_b16_e32 v253, 8, v80
	v_add3_u32 v80, v174, s17, v70
	v_add_u32_e32 v70, 0x3180, v184
	v_and_b32_e32 v246, 0xf0f0f0f, v53
	v_lshrrev_b32_e32 v53, 4, v121
	ds_read2_b32 v[120:121], v70 offset1:1
	v_mov_b32_e32 v52, 0
	v_mov_b32_e32 v55, 0
	;; [unrolled: 1-line block ×4, first 2 shown]
	s_waitcnt lgkmcnt(0)
	v_and_b32_e32 v248, 0xf0f0f0f, v120
	v_dot4c_i32_i8_e32 v52, v202, v16
	v_dot4c_i32_i8_e32 v55, v203, v16
	;; [unrolled: 1-line block ×4, first 2 shown]
	v_and_b32_e32 v207, 0xf0f0f0f, v121
	v_add_u32_e32 v16, 0x3188, v184
	v_dot4c_i32_i8_e32 v52, v201, v17
	v_dot4c_i32_i8_e32 v55, v206, v17
	v_dot4c_i32_i8_e32 v60, v223, v17
	v_dot4c_i32_i8_e32 v70, v207, v17
	ds_read2_b32 v[16:17], v16 offset1:1
	v_and_b32_e32 v231, 0xf0f0f0f, v166
	v_dot4c_i32_i8_e32 v52, v204, v18
	v_dot4c_i32_i8_e32 v55, v210, v18
	v_dot4c_i32_i8_e32 v60, v231, v18
	s_waitcnt lgkmcnt(0)
	v_and_b32_e32 v196, 0xf0f0f0f, v16
	v_and_b32_e32 v232, 0xf0f0f0f, v167
	v_dot4c_i32_i8_e32 v70, v196, v18
	v_and_b32_e32 v195, 0xf0f0f0f, v17
	v_add_u32_e32 v18, 0x3190, v184
	v_dot4c_i32_i8_e32 v52, v205, v19
	v_dot4c_i32_i8_e32 v55, v212, v19
	v_dot4c_i32_i8_e32 v60, v232, v19
	v_dot4c_i32_i8_e32 v70, v195, v19
	ds_read2_b32 v[18:19], v18 offset1:1
	v_and_b32_e32 v236, 0xf0f0f0f, v168
	v_dot4c_i32_i8_e32 v52, v208, v12
	v_dot4c_i32_i8_e32 v55, v216, v12
	v_dot4c_i32_i8_e32 v60, v236, v12
	s_waitcnt lgkmcnt(0)
	v_and_b32_e32 v197, 0xf0f0f0f, v18
	v_and_b32_e32 v238, 0xf0f0f0f, v169
	v_dot4c_i32_i8_e32 v70, v197, v12
	;; [unrolled: 15-line block ×3, first 2 shown]
	v_and_b32_e32 v200, 0xf0f0f0f, v13
	v_dot4c_i32_i8_e32 v52, v214, v15
	v_dot4c_i32_i8_e32 v55, v220, v15
	;; [unrolled: 1-line block ×4, first 2 shown]
	ds_read_u16 v14, v80 offset:26624
	ds_read_u16 v15, v80 offset:26632
	v_lshrrev_b32_e32 v80, 4, v120
	v_and_b32_e32 v215, 0xf0f0f0f, v56
	v_mov_b32_e32 v56, 0
	v_and_b32_e32 v222, 0xf0f0f0f, v64
	v_mov_b32_e32 v64, 0
	v_mov_b32_e32 v74, 0
	v_and_b32_e32 v191, 0xf0f0f0f, v80
	v_mov_b32_e32 v80, 0
	v_dot4c_i32_i8_e32 v56, v215, v8
	v_dot4c_i32_i8_e32 v64, v222, v8
	;; [unrolled: 1-line block ×4, first 2 shown]
	v_lshrrev_b32_e32 v8, 4, v121
	v_and_b32_e32 v249, 0xf0f0f0f, v53
	v_lshrrev_b32_e32 v53, 4, v166
	v_and_b32_e32 v194, 0xf0f0f0f, v8
	v_lshrrev_b32_e32 v8, 4, v16
	v_dot4c_i32_i8_e32 v56, v225, v9
	v_dot4c_i32_i8_e32 v64, v235, v9
	;; [unrolled: 1-line block ×3, first 2 shown]
	v_and_b32_e32 v250, 0xf0f0f0f, v53
	v_lshrrev_b32_e32 v53, 4, v167
	v_dot4c_i32_i8_e32 v80, v194, v9
	v_and_b32_e32 v193, 0xf0f0f0f, v8
	v_lshrrev_b32_e32 v8, 4, v17
	v_dot4c_i32_i8_e32 v56, v226, v10
	v_dot4c_i32_i8_e32 v64, v237, v10
	;; [unrolled: 1-line block ×3, first 2 shown]
	v_and_b32_e32 v251, 0xf0f0f0f, v53
	v_lshrrev_b32_e32 v53, 4, v168
	v_dot4c_i32_i8_e32 v80, v193, v10
	v_and_b32_e32 v187, 0xf0f0f0f, v8
	v_lshrrev_b32_e32 v8, 4, v18
	v_dot4c_i32_i8_e32 v56, v227, v11
	v_dot4c_i32_i8_e32 v64, v239, v11
	;; [unrolled: 1-line block ×3, first 2 shown]
	v_and_b32_e32 v252, 0xf0f0f0f, v53
	v_dot4c_i32_i8_e32 v80, v187, v11
	v_and_b32_e32 v188, 0xf0f0f0f, v8
	v_dot4c_i32_i8_e32 v56, v228, v4
	v_dot4c_i32_i8_e32 v64, v241, v4
	;; [unrolled: 1-line block ×3, first 2 shown]
	v_lshrrev_b32_e32 v53, 4, v169
	v_dot4c_i32_i8_e32 v80, v188, v4
	v_lshrrev_b32_e32 v4, 4, v19
	v_and_b32_e32 v254, 0xf0f0f0f, v53
	v_lshrrev_b32_e32 v53, 4, v170
	v_and_b32_e32 v189, 0xf0f0f0f, v4
	v_lshrrev_b32_e32 v4, 4, v12
	v_dot4c_i32_i8_e32 v56, v229, v5
	v_dot4c_i32_i8_e32 v64, v244, v5
	;; [unrolled: 1-line block ×3, first 2 shown]
	v_and_b32_e32 v255, 0xf0f0f0f, v53
	v_lshrrev_b32_e32 v53, 4, v171
	v_dot4c_i32_i8_e32 v80, v189, v5
	v_and_b32_e32 v190, 0xf0f0f0f, v4
	v_lshrrev_b32_e32 v4, 4, v13
	v_dot4c_i32_i8_e32 v56, v230, v6
	v_dot4c_i32_i8_e32 v64, v245, v6
	;; [unrolled: 1-line block ×3, first 2 shown]
	v_and_b32_e32 v53, 0xf0f0f0f, v53
	v_dot4c_i32_i8_e32 v80, v190, v6
	v_and_b32_e32 v192, 0xf0f0f0f, v4
	v_dot4c_i32_i8_e32 v56, v233, v7
	v_dot4c_i32_i8_e32 v64, v247, v7
	v_cvt_f32_ubyte0_e32 v160, v150
	v_dot4c_i32_i8_e32 v74, v53, v7
	v_cvt_f32_ubyte1_e32 v164, v150
	s_waitcnt lgkmcnt(1)
	v_and_b32_e32 v186, 0xff, v14
	s_waitcnt lgkmcnt(0)
	v_cvt_f32_ubyte0_e32 v152, v15
	v_dot4c_i32_i8_e32 v80, v192, v7
	v_lshrrev_b16_e32 v185, 8, v14
	v_cvt_f32_ubyte1_e32 v150, v15
	ds_read_b128 v[16:19], v163 offset:1024
	ds_read_b128 v[12:15], v163 offset:1040
	ds_read_b128 v[8:11], v163 offset:1056
	ds_read_b128 v[4:7], v163 offset:1072
	v_mov_b32_e32 v120, 0
	s_waitcnt lgkmcnt(3)
	v_dot4c_i32_i8_e32 v120, v202, v16
	v_mov_b32_e32 v178, 0
	v_dot4c_i32_i8_e32 v120, v201, v17
	s_waitcnt lgkmcnt(1)
	v_dot4c_i32_i8_e32 v178, v215, v8
	v_dot4c_i32_i8_e32 v120, v204, v18
	;; [unrolled: 1-line block ×8, first 2 shown]
	s_waitcnt lgkmcnt(0)
	v_dot4c_i32_i8_e32 v178, v228, v4
	v_dot4c_i32_i8_e32 v120, v213, v14
	;; [unrolled: 1-line block ×6, first 2 shown]
	v_cvt_f32_f16_e32 v169, v2
	v_cvt_f32_f16_e32 v168, v0
	v_cvt_f32_f16_sdwa v171, v2 dst_sel:DWORD dst_unused:UNUSED_PAD src0_sel:WORD_1
	v_cvt_f32_f16_sdwa v170, v0 dst_sel:DWORD dst_unused:UNUSED_PAD src0_sel:WORD_1
	v_cvt_f32_f16_e32 v166, v1
	v_cvt_f32_f16_sdwa v2, v1 dst_sel:DWORD dst_unused:UNUSED_PAD src0_sel:WORD_1
	v_mul_lo_u32 v0, v52, v211
	v_mul_lo_u32 v1, v120, v211
	v_cvt_f32_f16_e32 v167, v3
	v_cvt_f32_f16_sdwa v3, v3 dst_sel:DWORD dst_unused:UNUSED_PAD src0_sel:WORD_1
	v_cvt_f32_i32_e32 v1, v1
	v_cvt_f32_i32_e32 v0, v0
	v_mul_lo_u32 v52, v56, v224
	v_mul_lo_u32 v56, v178, v224
	v_cvt_f32_i32_e32 v179, v56
	v_cvt_f32_i32_e32 v178, v52
	v_pk_fma_f32 v[120:121], v[154:155], v[170:171], 0 op_sel_hi:[0,1,0]
	v_pk_fma_f32 v[0:1], v[168:169], v[0:1], 0 op_sel_hi:[1,1,0]
	v_pk_fma_f32 v[120:121], v[158:159], v[2:3], v[120:121] op_sel_hi:[0,1,1]
	v_pk_fma_f32 v[0:1], v[166:167], v[178:179], v[0:1]
	v_pk_mul_f32 v[120:121], v[120:121], v[136:137]
	v_mov_b32_e32 v52, 0
	v_pk_fma_f32 v[0:1], v[0:1], v[134:135], v[120:121] neg_lo:[0,0,1] neg_hi:[0,0,1]
	v_dot4c_i32_i8_e32 v52, v222, v8
	v_pk_add_f32 v[76:77], v[76:77], v[0:1]
	v_mov_b32_e32 v0, 0
	v_dot4c_i32_i8_e32 v0, v203, v16
	v_dot4c_i32_i8_e32 v0, v206, v17
	v_dot4c_i32_i8_e32 v0, v210, v18
	v_dot4c_i32_i8_e32 v52, v235, v9
	v_dot4c_i32_i8_e32 v0, v212, v19
	v_dot4c_i32_i8_e32 v52, v237, v10
	v_dot4c_i32_i8_e32 v0, v216, v12
	v_dot4c_i32_i8_e32 v52, v239, v11
	v_dot4c_i32_i8_e32 v0, v217, v13
	v_dot4c_i32_i8_e32 v52, v241, v4
	v_dot4c_i32_i8_e32 v0, v219, v14
	v_dot4c_i32_i8_e32 v52, v244, v5
	v_dot4c_i32_i8_e32 v0, v220, v15
	v_dot4c_i32_i8_e32 v52, v245, v6
	v_dot4c_i32_i8_e32 v52, v247, v7
	v_mul_lo_u32 v55, v55, v218
	v_mul_lo_u32 v0, v0, v218
	v_cvt_f32_i32_e32 v1, v0
	v_cvt_f32_i32_e32 v0, v55
	v_mul_lo_u32 v55, v64, v242
	v_mul_lo_u32 v52, v52, v242
	v_cvt_f32_i32_e32 v179, v52
	v_cvt_f32_i32_e32 v178, v55
	v_pk_fma_f32 v[120:121], v[156:157], v[170:171], 0 op_sel_hi:[0,1,0]
	v_pk_fma_f32 v[0:1], v[168:169], v[0:1], 0 op_sel_hi:[1,1,0]
	;; [unrolled: 1-line block ×3, first 2 shown]
	v_pk_fma_f32 v[0:1], v[166:167], v[178:179], v[0:1]
	v_pk_mul_f32 v[120:121], v[120:121], v[140:141]
	v_mov_b32_e32 v52, 0
	v_pk_fma_f32 v[0:1], v[0:1], v[138:139], v[120:121] neg_lo:[0,0,1] neg_hi:[0,0,1]
	v_dot4c_i32_i8_e32 v52, v246, v8
	v_pk_add_f32 v[68:69], v[68:69], v[0:1]
	v_mov_b32_e32 v0, 0
	v_dot4c_i32_i8_e32 v0, v221, v16
	v_dot4c_i32_i8_e32 v0, v223, v17
	;; [unrolled: 1-line block ×15, first 2 shown]
	v_mul_lo_u32 v55, v60, v234
	v_mul_lo_u32 v0, v0, v234
	v_cvt_f32_i32_e32 v1, v0
	v_cvt_f32_i32_e32 v0, v55
	v_mul_lo_u32 v55, v74, v253
	v_mul_lo_u32 v52, v52, v253
	v_cvt_f32_i32_e32 v179, v52
	v_cvt_f32_i32_e32 v178, v55
	v_pk_fma_f32 v[120:121], v[160:161], v[170:171], 0 op_sel_hi:[0,1,0]
	v_pk_fma_f32 v[0:1], v[168:169], v[0:1], 0 op_sel_hi:[1,1,0]
	;; [unrolled: 1-line block ×3, first 2 shown]
	v_pk_fma_f32 v[0:1], v[166:167], v[178:179], v[0:1]
	v_pk_mul_f32 v[120:121], v[120:121], v[144:145]
	v_mov_b32_e32 v60, 0
	v_pk_fma_f32 v[0:1], v[0:1], v[142:143], v[120:121] neg_lo:[0,0,1] neg_hi:[0,0,1]
	v_mov_b32_e32 v64, 0
	v_pk_add_f32 v[50:51], v[50:51], v[0:1]
	v_mov_b32_e32 v0, 0
	v_dot4c_i32_i8_e32 v0, v248, v16
	v_dot4c_i32_i8_e32 v0, v207, v17
	;; [unrolled: 1-line block ×5, first 2 shown]
	v_mov_b32_e32 v12, 0
	v_dot4c_i32_i8_e32 v12, v191, v8
	v_dot4c_i32_i8_e32 v12, v194, v9
	;; [unrolled: 1-line block ×11, first 2 shown]
	v_mul_lo_u32 v4, v70, v186
	v_mul_lo_u32 v0, v0, v186
	v_cvt_f32_i32_e32 v1, v0
	v_cvt_f32_i32_e32 v0, v4
	v_mul_lo_u32 v6, v80, v185
	v_mul_lo_u32 v7, v12, v185
	v_cvt_f32_i32_e32 v7, v7
	v_cvt_f32_i32_e32 v6, v6
	v_pk_fma_f32 v[4:5], v[152:153], v[170:171], 0 op_sel_hi:[0,1,0]
	v_pk_fma_f32 v[0:1], v[168:169], v[0:1], 0 op_sel_hi:[1,1,0]
	;; [unrolled: 1-line block ×3, first 2 shown]
	v_pk_fma_f32 v[0:1], v[166:167], v[6:7], v[0:1]
	v_pk_mul_f32 v[2:3], v[2:3], v[148:149]
	v_mov_b32_e32 v70, 0
	v_pk_fma_f32 v[0:1], v[0:1], v[146:147], v[2:3] neg_lo:[0,0,1] neg_hi:[0,0,1]
	v_mov_b32_e32 v74, 0
	v_pk_add_f32 v[44:45], v[44:45], v[0:1]
	ds_read_b128 v[8:11], v163 offset:2048
	ds_read_b128 v[12:15], v163 offset:2064
	ds_read2_b64 v[16:19], v165 offset0:32 offset1:48
	ds_read_b128 v[4:7], v163 offset:2080
	ds_read_b128 v[0:3], v163 offset:2096
	v_mov_b32_e32 v56, 0
	v_mov_b32_e32 v80, 0
	;; [unrolled: 1-line block ×4, first 2 shown]
	s_waitcnt lgkmcnt(4)
	v_dot4c_i32_i8_e32 v60, v202, v8
	s_waitcnt lgkmcnt(1)
	v_dot4c_i32_i8_e32 v64, v215, v4
	v_dot4c_i32_i8_e32 v70, v203, v8
	;; [unrolled: 1-line block ×32, first 2 shown]
	s_waitcnt lgkmcnt(0)
	v_dot4c_i32_i8_e32 v64, v228, v0
	v_dot4c_i32_i8_e32 v70, v216, v12
	;; [unrolled: 1-line block ×31, first 2 shown]
	ds_read_b128 v[12:15], v163 offset:3072
	ds_read_b128 v[8:11], v163 offset:3088
	;; [unrolled: 1-line block ×4, first 2 shown]
	v_mov_b32_e32 v120, 0
	s_waitcnt lgkmcnt(3)
	v_dot4c_i32_i8_e32 v120, v202, v12
	v_mov_b32_e32 v178, 0
	v_dot4c_i32_i8_e32 v120, v201, v13
	s_waitcnt lgkmcnt(1)
	v_dot4c_i32_i8_e32 v178, v215, v4
	v_dot4c_i32_i8_e32 v120, v204, v14
	;; [unrolled: 1-line block ×8, first 2 shown]
	s_waitcnt lgkmcnt(0)
	v_dot4c_i32_i8_e32 v178, v228, v0
	v_dot4c_i32_i8_e32 v120, v213, v10
	;; [unrolled: 1-line block ×6, first 2 shown]
	v_cvt_f32_f16_e32 v169, v18
	v_cvt_f32_f16_e32 v168, v16
	v_cvt_f32_f16_sdwa v171, v18 dst_sel:DWORD dst_unused:UNUSED_PAD src0_sel:WORD_1
	v_cvt_f32_f16_sdwa v170, v16 dst_sel:DWORD dst_unused:UNUSED_PAD src0_sel:WORD_1
	v_cvt_f32_f16_e32 v166, v17
	v_cvt_f32_f16_sdwa v18, v17 dst_sel:DWORD dst_unused:UNUSED_PAD src0_sel:WORD_1
	v_mul_lo_u32 v16, v60, v211
	v_mul_lo_u32 v17, v120, v211
	v_cvt_f32_f16_e32 v167, v19
	v_cvt_f32_f16_sdwa v19, v19 dst_sel:DWORD dst_unused:UNUSED_PAD src0_sel:WORD_1
	v_cvt_f32_i32_e32 v17, v17
	v_cvt_f32_i32_e32 v16, v16
	v_mul_lo_u32 v60, v64, v224
	v_mul_lo_u32 v64, v178, v224
	v_cvt_f32_i32_e32 v179, v64
	v_cvt_f32_i32_e32 v178, v60
	v_pk_fma_f32 v[120:121], v[154:155], v[170:171], 0 op_sel_hi:[0,1,0]
	v_pk_fma_f32 v[16:17], v[16:17], v[168:169], 0 op_sel_hi:[1,1,0]
	;; [unrolled: 1-line block ×3, first 2 shown]
	v_pk_fma_f32 v[16:17], v[178:179], v[166:167], v[16:17]
	v_pk_mul_f32 v[120:121], v[120:121], v[136:137]
	v_mov_b32_e32 v60, 0
	v_pk_fma_f32 v[16:17], v[16:17], v[134:135], v[120:121] neg_lo:[0,0,1] neg_hi:[0,0,1]
	v_dot4c_i32_i8_e32 v60, v222, v4
	v_pk_add_f32 v[42:43], v[42:43], v[16:17]
	v_mov_b32_e32 v16, 0
	v_dot4c_i32_i8_e32 v16, v203, v12
	v_dot4c_i32_i8_e32 v16, v206, v13
	;; [unrolled: 1-line block ×15, first 2 shown]
	v_mul_lo_u32 v64, v70, v218
	v_mul_lo_u32 v16, v16, v218
	v_cvt_f32_i32_e32 v17, v16
	v_cvt_f32_i32_e32 v16, v64
	v_mul_lo_u32 v64, v74, v242
	v_mul_lo_u32 v60, v60, v242
	v_cvt_f32_i32_e32 v179, v60
	v_cvt_f32_i32_e32 v178, v64
	v_pk_fma_f32 v[120:121], v[156:157], v[170:171], 0 op_sel_hi:[0,1,0]
	v_pk_fma_f32 v[16:17], v[16:17], v[168:169], 0 op_sel_hi:[1,1,0]
	;; [unrolled: 1-line block ×3, first 2 shown]
	v_pk_fma_f32 v[16:17], v[178:179], v[166:167], v[16:17]
	v_pk_mul_f32 v[120:121], v[120:121], v[140:141]
	v_mov_b32_e32 v60, 0
	v_pk_fma_f32 v[16:17], v[16:17], v[138:139], v[120:121] neg_lo:[0,0,1] neg_hi:[0,0,1]
	v_dot4c_i32_i8_e32 v60, v246, v4
	v_pk_add_f32 v[40:41], v[40:41], v[16:17]
	v_mov_b32_e32 v16, 0
	v_dot4c_i32_i8_e32 v16, v221, v12
	v_dot4c_i32_i8_e32 v16, v223, v13
	;; [unrolled: 1-line block ×15, first 2 shown]
	v_mul_lo_u32 v56, v56, v234
	v_mul_lo_u32 v16, v16, v234
	v_cvt_f32_i32_e32 v17, v16
	v_cvt_f32_i32_e32 v16, v56
	v_mul_lo_u32 v56, v80, v253
	v_mul_lo_u32 v60, v60, v253
	v_cvt_f32_i32_e32 v179, v60
	v_cvt_f32_i32_e32 v178, v56
	v_pk_fma_f32 v[120:121], v[160:161], v[170:171], 0 op_sel_hi:[0,1,0]
	v_pk_fma_f32 v[16:17], v[16:17], v[168:169], 0 op_sel_hi:[1,1,0]
	;; [unrolled: 1-line block ×3, first 2 shown]
	v_pk_fma_f32 v[16:17], v[178:179], v[166:167], v[16:17]
	v_pk_mul_f32 v[120:121], v[120:121], v[144:145]
	v_mov_b32_e32 v64, 0
	v_pk_fma_f32 v[16:17], v[16:17], v[142:143], v[120:121] neg_lo:[0,0,1] neg_hi:[0,0,1]
	v_mov_b32_e32 v70, 0
	v_pk_add_f32 v[38:39], v[38:39], v[16:17]
	v_mov_b32_e32 v16, 0
	v_dot4c_i32_i8_e32 v16, v248, v12
	v_dot4c_i32_i8_e32 v16, v207, v13
	;; [unrolled: 1-line block ×5, first 2 shown]
	v_mov_b32_e32 v8, 0
	v_dot4c_i32_i8_e32 v8, v191, v4
	v_dot4c_i32_i8_e32 v8, v194, v5
	;; [unrolled: 1-line block ×11, first 2 shown]
	v_mul_lo_u32 v0, v52, v186
	v_mul_lo_u32 v1, v16, v186
	v_cvt_f32_i32_e32 v1, v1
	v_cvt_f32_i32_e32 v0, v0
	v_mul_lo_u32 v4, v55, v185
	v_mul_lo_u32 v5, v8, v185
	v_cvt_f32_i32_e32 v5, v5
	v_cvt_f32_i32_e32 v4, v4
	v_pk_fma_f32 v[2:3], v[152:153], v[170:171], 0 op_sel_hi:[0,1,0]
	v_pk_fma_f32 v[0:1], v[0:1], v[168:169], 0 op_sel_hi:[1,1,0]
	;; [unrolled: 1-line block ×3, first 2 shown]
	v_pk_fma_f32 v[0:1], v[4:5], v[166:167], v[0:1]
	v_pk_mul_f32 v[2:3], v[2:3], v[148:149]
	v_mov_b32_e32 v74, 0
	v_pk_fma_f32 v[0:1], v[0:1], v[146:147], v[2:3] neg_lo:[0,0,1] neg_hi:[0,0,1]
	v_mov_b32_e32 v80, 0
	v_pk_add_f32 v[36:37], v[36:37], v[0:1]
	ds_read_b128 v[12:15], v163 offset:4096
	ds_read_b128 v[8:11], v163 offset:4112
	ds_read2_b64 v[16:19], v165 offset0:64 offset1:80
	ds_read_b128 v[4:7], v163 offset:4128
	ds_read_b128 v[0:3], v163 offset:4144
	v_mov_b32_e32 v56, 0
	v_mov_b32_e32 v60, 0
	;; [unrolled: 1-line block ×4, first 2 shown]
	s_waitcnt lgkmcnt(4)
	v_dot4c_i32_i8_e32 v64, v202, v12
	s_waitcnt lgkmcnt(1)
	v_dot4c_i32_i8_e32 v70, v215, v4
	v_dot4c_i32_i8_e32 v74, v203, v12
	;; [unrolled: 1-line block ×32, first 2 shown]
	s_waitcnt lgkmcnt(0)
	v_dot4c_i32_i8_e32 v70, v228, v0
	v_dot4c_i32_i8_e32 v74, v216, v8
	;; [unrolled: 1-line block ×31, first 2 shown]
	ds_read_b128 v[12:15], v163 offset:5120
	ds_read_b128 v[8:11], v163 offset:5136
	;; [unrolled: 1-line block ×4, first 2 shown]
	v_mov_b32_e32 v120, 0
	s_waitcnt lgkmcnt(3)
	v_dot4c_i32_i8_e32 v120, v202, v12
	v_mov_b32_e32 v178, 0
	v_dot4c_i32_i8_e32 v120, v201, v13
	s_waitcnt lgkmcnt(1)
	v_dot4c_i32_i8_e32 v178, v215, v4
	v_dot4c_i32_i8_e32 v120, v204, v14
	;; [unrolled: 1-line block ×8, first 2 shown]
	s_waitcnt lgkmcnt(0)
	v_dot4c_i32_i8_e32 v178, v228, v0
	v_dot4c_i32_i8_e32 v120, v213, v10
	;; [unrolled: 1-line block ×6, first 2 shown]
	v_cvt_f32_f16_e32 v169, v18
	v_cvt_f32_f16_e32 v168, v16
	v_cvt_f32_f16_sdwa v171, v18 dst_sel:DWORD dst_unused:UNUSED_PAD src0_sel:WORD_1
	v_cvt_f32_f16_sdwa v170, v16 dst_sel:DWORD dst_unused:UNUSED_PAD src0_sel:WORD_1
	v_cvt_f32_f16_e32 v166, v17
	v_cvt_f32_f16_sdwa v18, v17 dst_sel:DWORD dst_unused:UNUSED_PAD src0_sel:WORD_1
	v_mul_lo_u32 v16, v64, v211
	v_mul_lo_u32 v17, v120, v211
	v_cvt_f32_f16_e32 v167, v19
	v_cvt_f32_f16_sdwa v19, v19 dst_sel:DWORD dst_unused:UNUSED_PAD src0_sel:WORD_1
	v_cvt_f32_i32_e32 v17, v17
	v_cvt_f32_i32_e32 v16, v16
	v_mul_lo_u32 v64, v70, v224
	v_mul_lo_u32 v70, v178, v224
	v_cvt_f32_i32_e32 v179, v70
	v_cvt_f32_i32_e32 v178, v64
	v_pk_fma_f32 v[120:121], v[154:155], v[170:171], 0 op_sel_hi:[0,1,0]
	v_pk_fma_f32 v[16:17], v[16:17], v[168:169], 0 op_sel_hi:[1,1,0]
	;; [unrolled: 1-line block ×3, first 2 shown]
	v_pk_fma_f32 v[16:17], v[178:179], v[166:167], v[16:17]
	v_pk_mul_f32 v[120:121], v[120:121], v[136:137]
	v_mov_b32_e32 v64, 0
	v_pk_fma_f32 v[16:17], v[16:17], v[134:135], v[120:121] neg_lo:[0,0,1] neg_hi:[0,0,1]
	v_dot4c_i32_i8_e32 v64, v222, v4
	v_pk_add_f32 v[34:35], v[34:35], v[16:17]
	v_mov_b32_e32 v16, 0
	v_dot4c_i32_i8_e32 v16, v203, v12
	v_dot4c_i32_i8_e32 v16, v206, v13
	;; [unrolled: 1-line block ×15, first 2 shown]
	v_mul_lo_u32 v70, v74, v218
	v_mul_lo_u32 v16, v16, v218
	v_cvt_f32_i32_e32 v17, v16
	v_cvt_f32_i32_e32 v16, v70
	v_mul_lo_u32 v70, v80, v242
	v_mul_lo_u32 v64, v64, v242
	v_cvt_f32_i32_e32 v179, v64
	v_cvt_f32_i32_e32 v178, v70
	v_pk_fma_f32 v[120:121], v[156:157], v[170:171], 0 op_sel_hi:[0,1,0]
	v_pk_fma_f32 v[16:17], v[16:17], v[168:169], 0 op_sel_hi:[1,1,0]
	;; [unrolled: 1-line block ×3, first 2 shown]
	v_pk_fma_f32 v[16:17], v[178:179], v[166:167], v[16:17]
	v_pk_mul_f32 v[120:121], v[120:121], v[140:141]
	v_mov_b32_e32 v64, 0
	v_pk_fma_f32 v[16:17], v[16:17], v[138:139], v[120:121] neg_lo:[0,0,1] neg_hi:[0,0,1]
	v_dot4c_i32_i8_e32 v64, v246, v4
	v_pk_add_f32 v[32:33], v[32:33], v[16:17]
	v_mov_b32_e32 v16, 0
	v_dot4c_i32_i8_e32 v16, v221, v12
	v_dot4c_i32_i8_e32 v16, v223, v13
	;; [unrolled: 1-line block ×15, first 2 shown]
	v_mul_lo_u32 v56, v56, v234
	v_mul_lo_u32 v16, v16, v234
	v_cvt_f32_i32_e32 v17, v16
	v_cvt_f32_i32_e32 v16, v56
	v_mul_lo_u32 v56, v60, v253
	v_mul_lo_u32 v60, v64, v253
	v_cvt_f32_i32_e32 v179, v60
	v_cvt_f32_i32_e32 v178, v56
	v_pk_fma_f32 v[120:121], v[160:161], v[170:171], 0 op_sel_hi:[0,1,0]
	v_pk_fma_f32 v[16:17], v[16:17], v[168:169], 0 op_sel_hi:[1,1,0]
	;; [unrolled: 1-line block ×3, first 2 shown]
	v_pk_fma_f32 v[16:17], v[178:179], v[166:167], v[16:17]
	v_pk_mul_f32 v[120:121], v[120:121], v[144:145]
	v_mov_b32_e32 v74, 0
	v_pk_fma_f32 v[16:17], v[16:17], v[142:143], v[120:121] neg_lo:[0,0,1] neg_hi:[0,0,1]
	v_mov_b32_e32 v80, 0
	v_pk_add_f32 v[30:31], v[30:31], v[16:17]
	v_mov_b32_e32 v16, 0
	v_dot4c_i32_i8_e32 v16, v248, v12
	v_dot4c_i32_i8_e32 v16, v207, v13
	;; [unrolled: 1-line block ×5, first 2 shown]
	v_mov_b32_e32 v8, 0
	v_dot4c_i32_i8_e32 v8, v191, v4
	v_dot4c_i32_i8_e32 v8, v194, v5
	;; [unrolled: 1-line block ×11, first 2 shown]
	v_mul_lo_u32 v0, v52, v186
	v_mul_lo_u32 v1, v16, v186
	v_cvt_f32_i32_e32 v1, v1
	v_cvt_f32_i32_e32 v0, v0
	v_mul_lo_u32 v4, v55, v185
	v_mul_lo_u32 v5, v8, v185
	v_cvt_f32_i32_e32 v5, v5
	v_cvt_f32_i32_e32 v4, v4
	v_pk_fma_f32 v[2:3], v[152:153], v[170:171], 0 op_sel_hi:[0,1,0]
	v_pk_fma_f32 v[0:1], v[0:1], v[168:169], 0 op_sel_hi:[1,1,0]
	;; [unrolled: 1-line block ×3, first 2 shown]
	v_pk_fma_f32 v[0:1], v[4:5], v[166:167], v[0:1]
	v_pk_mul_f32 v[2:3], v[2:3], v[148:149]
	v_mov_b32_e32 v64, 0
	v_pk_fma_f32 v[0:1], v[0:1], v[146:147], v[2:3] neg_lo:[0,0,1] neg_hi:[0,0,1]
	v_mov_b32_e32 v70, 0
	v_pk_add_f32 v[28:29], v[28:29], v[0:1]
	ds_read_b128 v[0:3], v163 offset:6144
	ds_read_b128 v[4:7], v163 offset:6160
	ds_read2_b64 v[16:19], v165 offset0:96 offset1:112
	ds_read_b128 v[8:11], v163 offset:6176
	ds_read_b128 v[12:15], v163 offset:6192
	v_mov_b32_e32 v56, 0
	v_mov_b32_e32 v60, 0
	;; [unrolled: 1-line block ×4, first 2 shown]
	s_waitcnt lgkmcnt(4)
	v_dot4c_i32_i8_e32 v74, v202, v0
	s_waitcnt lgkmcnt(1)
	v_dot4c_i32_i8_e32 v80, v215, v8
	v_dot4c_i32_i8_e32 v64, v203, v0
	;; [unrolled: 1-line block ×32, first 2 shown]
	s_waitcnt lgkmcnt(0)
	v_dot4c_i32_i8_e32 v80, v228, v12
	v_dot4c_i32_i8_e32 v64, v216, v4
	;; [unrolled: 1-line block ×31, first 2 shown]
	ds_read_b128 v[8:11], v163 offset:7168
	ds_read_b128 v[12:15], v163 offset:7184
	;; [unrolled: 1-line block ×4, first 2 shown]
	v_mov_b32_e32 v120, 0
	s_waitcnt lgkmcnt(3)
	v_dot4c_i32_i8_e32 v120, v202, v8
	v_mov_b32_e32 v178, 0
	v_dot4c_i32_i8_e32 v120, v201, v9
	s_waitcnt lgkmcnt(1)
	v_dot4c_i32_i8_e32 v178, v215, v4
	v_dot4c_i32_i8_e32 v120, v204, v10
	;; [unrolled: 1-line block ×8, first 2 shown]
	s_waitcnt lgkmcnt(0)
	v_dot4c_i32_i8_e32 v178, v228, v0
	v_dot4c_i32_i8_e32 v120, v213, v14
	v_dot4c_i32_i8_e32 v178, v229, v1
	v_dot4c_i32_i8_e32 v120, v214, v15
	v_dot4c_i32_i8_e32 v178, v230, v2
	v_dot4c_i32_i8_e32 v178, v233, v3
	v_cvt_f32_f16_e32 v171, v18
	v_cvt_f32_f16_e32 v170, v16
	v_cvt_f32_f16_sdwa v169, v18 dst_sel:DWORD dst_unused:UNUSED_PAD src0_sel:WORD_1
	v_cvt_f32_f16_sdwa v168, v16 dst_sel:DWORD dst_unused:UNUSED_PAD src0_sel:WORD_1
	v_cvt_f32_f16_e32 v166, v17
	v_cvt_f32_f16_sdwa v18, v17 dst_sel:DWORD dst_unused:UNUSED_PAD src0_sel:WORD_1
	v_mul_lo_u32 v16, v74, v211
	v_mul_lo_u32 v17, v120, v211
	v_cvt_f32_f16_e32 v167, v19
	v_cvt_f32_f16_sdwa v19, v19 dst_sel:DWORD dst_unused:UNUSED_PAD src0_sel:WORD_1
	v_cvt_f32_i32_e32 v17, v17
	v_cvt_f32_i32_e32 v16, v16
	v_mul_lo_u32 v74, v80, v224
	v_mul_lo_u32 v80, v178, v224
	v_cvt_f32_i32_e32 v179, v80
	v_cvt_f32_i32_e32 v178, v74
	v_pk_fma_f32 v[120:121], v[154:155], v[168:169], 0 op_sel_hi:[0,1,0]
	v_pk_fma_f32 v[16:17], v[16:17], v[170:171], 0 op_sel_hi:[1,1,0]
	;; [unrolled: 1-line block ×3, first 2 shown]
	v_pk_fma_f32 v[16:17], v[178:179], v[166:167], v[16:17]
	v_pk_mul_f32 v[120:121], v[120:121], v[136:137]
	v_mov_b32_e32 v74, 0
	v_pk_fma_f32 v[16:17], v[16:17], v[134:135], v[120:121] neg_lo:[0,0,1] neg_hi:[0,0,1]
	v_dot4c_i32_i8_e32 v74, v222, v4
	v_pk_add_f32 v[26:27], v[26:27], v[16:17]
	v_mov_b32_e32 v16, 0
	v_dot4c_i32_i8_e32 v16, v203, v8
	v_dot4c_i32_i8_e32 v16, v206, v9
	;; [unrolled: 1-line block ×15, first 2 shown]
	v_mul_lo_u32 v64, v64, v218
	v_mul_lo_u32 v16, v16, v218
	v_cvt_f32_i32_e32 v17, v16
	v_cvt_f32_i32_e32 v16, v64
	v_mul_lo_u32 v64, v70, v242
	v_mul_lo_u32 v70, v74, v242
	v_cvt_f32_i32_e32 v179, v70
	v_cvt_f32_i32_e32 v178, v64
	v_pk_fma_f32 v[120:121], v[156:157], v[168:169], 0 op_sel_hi:[0,1,0]
	v_pk_fma_f32 v[16:17], v[16:17], v[170:171], 0 op_sel_hi:[1,1,0]
	;; [unrolled: 1-line block ×3, first 2 shown]
	v_pk_fma_f32 v[16:17], v[178:179], v[166:167], v[16:17]
	v_pk_mul_f32 v[120:121], v[120:121], v[140:141]
	v_mov_b32_e32 v64, 0
	v_pk_fma_f32 v[16:17], v[16:17], v[138:139], v[120:121] neg_lo:[0,0,1] neg_hi:[0,0,1]
	v_dot4c_i32_i8_e32 v64, v246, v4
	v_pk_add_f32 v[24:25], v[24:25], v[16:17]
	v_mov_b32_e32 v16, 0
	v_dot4c_i32_i8_e32 v16, v221, v8
	v_dot4c_i32_i8_e32 v16, v223, v9
	;; [unrolled: 1-line block ×15, first 2 shown]
	v_mul_lo_u32 v53, v56, v234
	v_mul_lo_u32 v16, v16, v234
	v_cvt_f32_i32_e32 v17, v16
	v_cvt_f32_i32_e32 v16, v53
	v_mul_lo_u32 v53, v60, v253
	v_mul_lo_u32 v56, v64, v253
	v_cvt_f32_i32_e32 v179, v56
	v_cvt_f32_i32_e32 v178, v53
	v_pk_fma_f32 v[120:121], v[160:161], v[168:169], 0 op_sel_hi:[0,1,0]
	v_pk_fma_f32 v[16:17], v[16:17], v[170:171], 0 op_sel_hi:[1,1,0]
	v_pk_fma_f32 v[120:121], v[164:165], v[18:19], v[120:121] op_sel_hi:[0,1,1]
	v_pk_fma_f32 v[16:17], v[178:179], v[166:167], v[16:17]
	v_pk_mul_f32 v[120:121], v[120:121], v[144:145]
	s_add_i32 s4, s4, 8
	v_pk_fma_f32 v[16:17], v[16:17], v[142:143], v[120:121] neg_lo:[0,0,1] neg_hi:[0,0,1]
	s_add_i32 s17, s9, 8
	v_pk_add_f32 v[22:23], v[22:23], v[16:17]
	v_mov_b32_e32 v16, 0
	v_dot4c_i32_i8_e32 v16, v248, v8
	v_mov_b32_e32 v8, 0
	v_dot4c_i32_i8_e32 v16, v207, v9
	v_dot4c_i32_i8_e32 v8, v191, v4
	;; [unrolled: 1-line block ×15, first 2 shown]
	v_mul_lo_u32 v0, v52, v186
	v_mul_lo_u32 v1, v16, v186
	v_cvt_f32_i32_e32 v1, v1
	v_cvt_f32_i32_e32 v0, v0
	v_mul_lo_u32 v4, v55, v185
	v_mul_lo_u32 v5, v8, v185
	v_cvt_f32_i32_e32 v5, v5
	v_cvt_f32_i32_e32 v4, v4
	v_pk_fma_f32 v[2:3], v[152:153], v[168:169], 0 op_sel_hi:[0,1,0]
	v_pk_fma_f32 v[0:1], v[0:1], v[170:171], 0 op_sel_hi:[1,1,0]
	;; [unrolled: 1-line block ×3, first 2 shown]
	v_pk_fma_f32 v[0:1], v[4:5], v[166:167], v[0:1]
	v_pk_mul_f32 v[2:3], v[2:3], v[148:149]
	s_add_i32 s9, s9, 16
	v_pk_fma_f32 v[0:1], v[0:1], v[146:147], v[2:3] neg_lo:[0,0,1] neg_hi:[0,0,1]
	s_add_i32 s5, s5, 2
	v_pk_add_f32 v[20:21], v[20:21], v[0:1]
	v_add_u32_e32 v184, 32, v184
	v_add_u32_e32 v165, 8, v165
	;; [unrolled: 1-line block ×3, first 2 shown]
	s_cmp_lt_u32 s9, 24
	s_mov_b32 s9, s17
	s_cbranch_scc1 .LBB152_8
; %bb.9:                                ;   in Loop: Header=BB152_5 Depth=1
	s_add_i32 s0, s0, 1
	s_cmp_eq_u32 s0, s7
	s_barrier
	s_cbranch_scc0 .LBB152_5
; %bb.10:
	scratch_load_dword v1, off, off offset:88 ; 4-byte Folded Reload
	scratch_load_dword v2, off, off offset:92 ; 4-byte Folded Reload
.LBB152_11:
	s_waitcnt vmcnt(0)
	v_cmp_gt_u32_e32 vcc, s10, v2
	s_and_saveexec_b64 s[0:1], vcc
	s_cbranch_execz .LBB152_62
; %bb.12:
	v_add_u32_e32 v0, s6, v47
	v_mul_lo_u32 v5, v2, s14
	v_cmp_gt_u32_e32 vcc, s14, v0
	s_and_saveexec_b64 s[0:1], vcc
	s_cbranch_execz .LBB152_14
; %bb.13:
	v_cvt_f16_f32_e32 v4, v76
	v_add_u32_e32 v2, v0, v5
	v_mov_b32_e32 v3, 0
	s_waitcnt lgkmcnt(0)
	v_lshl_add_u64 v[2:3], v[2:3], 1, s[12:13]
	global_store_short v[2:3], v4, off
.LBB152_14:
	s_or_b64 exec, exec, s[0:1]
	v_add_u32_e32 v2, 32, v0
	v_cmp_gt_u32_e64 s[0:1], s14, v2
	s_and_saveexec_b64 s[2:3], s[0:1]
	s_cbranch_execz .LBB152_16
; %bb.15:
	v_cvt_f16_f32_e32 v3, v68
	v_add_u32_e32 v6, v2, v5
	v_mov_b32_e32 v7, 0
	s_waitcnt lgkmcnt(0)
	v_lshl_add_u64 v[6:7], v[6:7], 1, s[12:13]
	global_store_short v[6:7], v3, off
.LBB152_16:
	s_or_b64 exec, exec, s[2:3]
	v_add_u32_e32 v3, 64, v0
	v_cmp_gt_u32_e64 s[2:3], s14, v3
	s_and_saveexec_b64 s[4:5], s[2:3]
	;; [unrolled: 13-line block ×3, first 2 shown]
	s_cbranch_execz .LBB152_20
; %bb.19:
	v_cvt_f16_f32_e32 v8, v44
	v_add_u32_e32 v6, v4, v5
	v_mov_b32_e32 v7, 0
	s_waitcnt lgkmcnt(0)
	v_lshl_add_u64 v[6:7], v[6:7], 1, s[12:13]
	global_store_short v[6:7], v8, off
.LBB152_20:
	s_or_b64 exec, exec, s[6:7]
	v_add3_u32 v5, v1, s15, 8
	v_cmp_gt_u32_e64 s[6:7], s10, v5
	s_and_b64 exec, exec, s[6:7]
	s_cbranch_execz .LBB152_62
; %bb.21:
	v_mul_lo_u32 v5, v5, s14
	s_and_saveexec_b64 s[6:7], vcc
	s_cbranch_execnz .LBB152_63
; %bb.22:
	s_or_b64 exec, exec, s[6:7]
	s_and_saveexec_b64 s[6:7], s[0:1]
	s_cbranch_execnz .LBB152_64
.LBB152_23:
	s_or_b64 exec, exec, s[6:7]
	s_and_saveexec_b64 s[6:7], s[2:3]
	s_cbranch_execnz .LBB152_65
.LBB152_24:
	s_or_b64 exec, exec, s[6:7]
	s_and_saveexec_b64 s[6:7], s[4:5]
	s_cbranch_execz .LBB152_26
.LBB152_25:
	v_cvt_f16_f32_e32 v8, v45
	v_add_u32_e32 v6, v5, v4
	v_mov_b32_e32 v7, 0
	s_waitcnt lgkmcnt(0)
	v_lshl_add_u64 v[6:7], v[6:7], 1, s[12:13]
	global_store_short v[6:7], v8, off
.LBB152_26:
	s_or_b64 exec, exec, s[6:7]
	v_add3_u32 v5, v1, s15, 16
	v_cmp_gt_u32_e64 s[6:7], s10, v5
	s_and_b64 exec, exec, s[6:7]
	s_cbranch_execz .LBB152_62
; %bb.27:
	v_mul_lo_u32 v5, v5, s14
	s_and_saveexec_b64 s[6:7], vcc
	s_cbranch_execnz .LBB152_66
; %bb.28:
	s_or_b64 exec, exec, s[6:7]
	s_and_saveexec_b64 s[6:7], s[0:1]
	s_cbranch_execnz .LBB152_67
.LBB152_29:
	s_or_b64 exec, exec, s[6:7]
	s_and_saveexec_b64 s[6:7], s[2:3]
	s_cbranch_execnz .LBB152_68
.LBB152_30:
	s_or_b64 exec, exec, s[6:7]
	s_and_saveexec_b64 s[6:7], s[4:5]
	s_cbranch_execz .LBB152_32
.LBB152_31:
	v_cvt_f16_f32_e32 v8, v36
	v_add_u32_e32 v6, v5, v4
	v_mov_b32_e32 v7, 0
	s_waitcnt lgkmcnt(0)
	v_lshl_add_u64 v[6:7], v[6:7], 1, s[12:13]
	global_store_short v[6:7], v8, off
.LBB152_32:
	s_or_b64 exec, exec, s[6:7]
	v_add3_u32 v5, v1, s15, 24
	v_cmp_gt_u32_e64 s[6:7], s10, v5
	s_and_b64 exec, exec, s[6:7]
	s_cbranch_execz .LBB152_62
; %bb.33:
	v_mul_lo_u32 v5, v5, s14
	s_and_saveexec_b64 s[6:7], vcc
	s_cbranch_execnz .LBB152_69
; %bb.34:
	s_or_b64 exec, exec, s[6:7]
	s_and_saveexec_b64 s[6:7], s[0:1]
	s_cbranch_execnz .LBB152_70
.LBB152_35:
	s_or_b64 exec, exec, s[6:7]
	s_and_saveexec_b64 s[6:7], s[2:3]
	s_cbranch_execnz .LBB152_71
.LBB152_36:
	s_or_b64 exec, exec, s[6:7]
	s_and_saveexec_b64 s[6:7], s[4:5]
	s_cbranch_execz .LBB152_38
.LBB152_37:
	v_cvt_f16_f32_e32 v8, v37
	v_add_u32_e32 v6, v5, v4
	v_mov_b32_e32 v7, 0
	s_waitcnt lgkmcnt(0)
	v_lshl_add_u64 v[6:7], v[6:7], 1, s[12:13]
	global_store_short v[6:7], v8, off
.LBB152_38:
	s_or_b64 exec, exec, s[6:7]
	v_add3_u32 v5, v1, s15, 32
	v_cmp_gt_u32_e64 s[6:7], s10, v5
	s_and_b64 exec, exec, s[6:7]
	s_cbranch_execz .LBB152_62
; %bb.39:
	v_mul_lo_u32 v5, v5, s14
	s_and_saveexec_b64 s[6:7], vcc
	s_cbranch_execnz .LBB152_72
; %bb.40:
	s_or_b64 exec, exec, s[6:7]
	s_and_saveexec_b64 s[6:7], s[0:1]
	s_cbranch_execnz .LBB152_73
.LBB152_41:
	s_or_b64 exec, exec, s[6:7]
	s_and_saveexec_b64 s[6:7], s[2:3]
	s_cbranch_execnz .LBB152_74
.LBB152_42:
	s_or_b64 exec, exec, s[6:7]
	s_and_saveexec_b64 s[6:7], s[4:5]
	s_cbranch_execz .LBB152_44
.LBB152_43:
	v_cvt_f16_f32_e32 v8, v28
	v_add_u32_e32 v6, v5, v4
	v_mov_b32_e32 v7, 0
	s_waitcnt lgkmcnt(0)
	v_lshl_add_u64 v[6:7], v[6:7], 1, s[12:13]
	global_store_short v[6:7], v8, off
.LBB152_44:
	s_or_b64 exec, exec, s[6:7]
	v_add3_u32 v5, v1, s15, 40
	v_cmp_gt_u32_e64 s[6:7], s10, v5
	s_and_b64 exec, exec, s[6:7]
	s_cbranch_execz .LBB152_62
; %bb.45:
	v_mul_lo_u32 v5, v5, s14
	s_and_saveexec_b64 s[6:7], vcc
	s_cbranch_execnz .LBB152_75
; %bb.46:
	s_or_b64 exec, exec, s[6:7]
	s_and_saveexec_b64 s[6:7], s[0:1]
	s_cbranch_execnz .LBB152_76
.LBB152_47:
	s_or_b64 exec, exec, s[6:7]
	s_and_saveexec_b64 s[6:7], s[2:3]
	s_cbranch_execnz .LBB152_77
.LBB152_48:
	s_or_b64 exec, exec, s[6:7]
	s_and_saveexec_b64 s[6:7], s[4:5]
	s_cbranch_execz .LBB152_50
.LBB152_49:
	v_cvt_f16_f32_e32 v8, v29
	v_add_u32_e32 v6, v5, v4
	v_mov_b32_e32 v7, 0
	s_waitcnt lgkmcnt(0)
	v_lshl_add_u64 v[6:7], v[6:7], 1, s[12:13]
	global_store_short v[6:7], v8, off
.LBB152_50:
	s_or_b64 exec, exec, s[6:7]
	v_add3_u32 v5, v1, s15, 48
	v_cmp_gt_u32_e64 s[6:7], s10, v5
	s_and_b64 exec, exec, s[6:7]
	s_cbranch_execz .LBB152_62
; %bb.51:
	v_mul_lo_u32 v5, v5, s14
	s_and_saveexec_b64 s[6:7], vcc
	s_cbranch_execnz .LBB152_78
; %bb.52:
	s_or_b64 exec, exec, s[6:7]
	s_and_saveexec_b64 s[6:7], s[0:1]
	s_cbranch_execnz .LBB152_79
.LBB152_53:
	s_or_b64 exec, exec, s[6:7]
	s_and_saveexec_b64 s[6:7], s[2:3]
	s_cbranch_execnz .LBB152_80
.LBB152_54:
	s_or_b64 exec, exec, s[6:7]
	s_and_saveexec_b64 s[6:7], s[4:5]
	s_cbranch_execz .LBB152_56
.LBB152_55:
	v_cvt_f16_f32_e32 v8, v20
	v_add_u32_e32 v6, v5, v4
	v_mov_b32_e32 v7, 0
	s_waitcnt lgkmcnt(0)
	v_lshl_add_u64 v[6:7], v[6:7], 1, s[12:13]
	global_store_short v[6:7], v8, off
.LBB152_56:
	s_or_b64 exec, exec, s[6:7]
	v_add3_u32 v1, v1, s15, 56
	v_cmp_gt_u32_e64 s[6:7], s10, v1
	s_and_b64 exec, exec, s[6:7]
	s_cbranch_execz .LBB152_62
; %bb.57:
	v_mul_lo_u32 v1, v1, s14
	s_and_saveexec_b64 s[6:7], vcc
	s_cbranch_execnz .LBB152_81
; %bb.58:
	s_or_b64 exec, exec, s[6:7]
	s_and_saveexec_b64 s[6:7], s[0:1]
	s_cbranch_execnz .LBB152_82
.LBB152_59:
	s_or_b64 exec, exec, s[6:7]
	s_and_saveexec_b64 s[0:1], s[2:3]
	s_cbranch_execnz .LBB152_83
.LBB152_60:
	s_or_b64 exec, exec, s[0:1]
	s_and_b64 exec, exec, s[4:5]
	s_cbranch_execz .LBB152_62
.LBB152_61:
	v_cvt_f16_f32_e32 v2, v21
	v_add_u32_e32 v0, v1, v4
	v_mov_b32_e32 v1, 0
	s_waitcnt lgkmcnt(0)
	v_lshl_add_u64 v[0:1], v[0:1], 1, s[12:13]
	global_store_short v[0:1], v2, off
.LBB152_62:
	s_endpgm
.LBB152_63:
	v_cvt_f16_f32_e32 v8, v77
	v_add_u32_e32 v6, v5, v0
	v_mov_b32_e32 v7, 0
	s_waitcnt lgkmcnt(0)
	v_lshl_add_u64 v[6:7], v[6:7], 1, s[12:13]
	global_store_short v[6:7], v8, off
	s_or_b64 exec, exec, s[6:7]
	s_and_saveexec_b64 s[6:7], s[0:1]
	s_cbranch_execz .LBB152_23
.LBB152_64:
	v_cvt_f16_f32_e32 v8, v69
	v_add_u32_e32 v6, v5, v2
	v_mov_b32_e32 v7, 0
	s_waitcnt lgkmcnt(0)
	v_lshl_add_u64 v[6:7], v[6:7], 1, s[12:13]
	global_store_short v[6:7], v8, off
	s_or_b64 exec, exec, s[6:7]
	s_and_saveexec_b64 s[6:7], s[2:3]
	s_cbranch_execz .LBB152_24
.LBB152_65:
	v_cvt_f16_f32_e32 v8, v51
	v_add_u32_e32 v6, v5, v3
	v_mov_b32_e32 v7, 0
	s_waitcnt lgkmcnt(0)
	v_lshl_add_u64 v[6:7], v[6:7], 1, s[12:13]
	global_store_short v[6:7], v8, off
	s_or_b64 exec, exec, s[6:7]
	s_and_saveexec_b64 s[6:7], s[4:5]
	s_cbranch_execnz .LBB152_25
	s_branch .LBB152_26
.LBB152_66:
	v_cvt_f16_f32_e32 v8, v42
	v_add_u32_e32 v6, v5, v0
	v_mov_b32_e32 v7, 0
	s_waitcnt lgkmcnt(0)
	v_lshl_add_u64 v[6:7], v[6:7], 1, s[12:13]
	global_store_short v[6:7], v8, off
	s_or_b64 exec, exec, s[6:7]
	s_and_saveexec_b64 s[6:7], s[0:1]
	s_cbranch_execz .LBB152_29
.LBB152_67:
	v_cvt_f16_f32_e32 v8, v40
	v_add_u32_e32 v6, v5, v2
	v_mov_b32_e32 v7, 0
	s_waitcnt lgkmcnt(0)
	v_lshl_add_u64 v[6:7], v[6:7], 1, s[12:13]
	global_store_short v[6:7], v8, off
	s_or_b64 exec, exec, s[6:7]
	s_and_saveexec_b64 s[6:7], s[2:3]
	s_cbranch_execz .LBB152_30
.LBB152_68:
	v_cvt_f16_f32_e32 v8, v38
	v_add_u32_e32 v6, v5, v3
	v_mov_b32_e32 v7, 0
	s_waitcnt lgkmcnt(0)
	v_lshl_add_u64 v[6:7], v[6:7], 1, s[12:13]
	global_store_short v[6:7], v8, off
	s_or_b64 exec, exec, s[6:7]
	s_and_saveexec_b64 s[6:7], s[4:5]
	s_cbranch_execnz .LBB152_31
	s_branch .LBB152_32
.LBB152_69:
	v_cvt_f16_f32_e32 v8, v43
	v_add_u32_e32 v6, v5, v0
	v_mov_b32_e32 v7, 0
	s_waitcnt lgkmcnt(0)
	v_lshl_add_u64 v[6:7], v[6:7], 1, s[12:13]
	global_store_short v[6:7], v8, off
	s_or_b64 exec, exec, s[6:7]
	s_and_saveexec_b64 s[6:7], s[0:1]
	s_cbranch_execz .LBB152_35
.LBB152_70:
	v_cvt_f16_f32_e32 v8, v41
	v_add_u32_e32 v6, v5, v2
	v_mov_b32_e32 v7, 0
	s_waitcnt lgkmcnt(0)
	v_lshl_add_u64 v[6:7], v[6:7], 1, s[12:13]
	global_store_short v[6:7], v8, off
	s_or_b64 exec, exec, s[6:7]
	s_and_saveexec_b64 s[6:7], s[2:3]
	s_cbranch_execz .LBB152_36
.LBB152_71:
	v_cvt_f16_f32_e32 v8, v39
	v_add_u32_e32 v6, v5, v3
	v_mov_b32_e32 v7, 0
	s_waitcnt lgkmcnt(0)
	v_lshl_add_u64 v[6:7], v[6:7], 1, s[12:13]
	global_store_short v[6:7], v8, off
	s_or_b64 exec, exec, s[6:7]
	s_and_saveexec_b64 s[6:7], s[4:5]
	s_cbranch_execnz .LBB152_37
	s_branch .LBB152_38
.LBB152_72:
	v_cvt_f16_f32_e32 v8, v34
	v_add_u32_e32 v6, v5, v0
	v_mov_b32_e32 v7, 0
	s_waitcnt lgkmcnt(0)
	v_lshl_add_u64 v[6:7], v[6:7], 1, s[12:13]
	global_store_short v[6:7], v8, off
	s_or_b64 exec, exec, s[6:7]
	s_and_saveexec_b64 s[6:7], s[0:1]
	s_cbranch_execz .LBB152_41
.LBB152_73:
	v_cvt_f16_f32_e32 v8, v32
	v_add_u32_e32 v6, v5, v2
	v_mov_b32_e32 v7, 0
	s_waitcnt lgkmcnt(0)
	v_lshl_add_u64 v[6:7], v[6:7], 1, s[12:13]
	global_store_short v[6:7], v8, off
	s_or_b64 exec, exec, s[6:7]
	s_and_saveexec_b64 s[6:7], s[2:3]
	s_cbranch_execz .LBB152_42
.LBB152_74:
	v_cvt_f16_f32_e32 v8, v30
	v_add_u32_e32 v6, v5, v3
	v_mov_b32_e32 v7, 0
	s_waitcnt lgkmcnt(0)
	v_lshl_add_u64 v[6:7], v[6:7], 1, s[12:13]
	global_store_short v[6:7], v8, off
	s_or_b64 exec, exec, s[6:7]
	s_and_saveexec_b64 s[6:7], s[4:5]
	s_cbranch_execnz .LBB152_43
	s_branch .LBB152_44
.LBB152_75:
	v_cvt_f16_f32_e32 v8, v35
	v_add_u32_e32 v6, v5, v0
	v_mov_b32_e32 v7, 0
	s_waitcnt lgkmcnt(0)
	v_lshl_add_u64 v[6:7], v[6:7], 1, s[12:13]
	global_store_short v[6:7], v8, off
	s_or_b64 exec, exec, s[6:7]
	s_and_saveexec_b64 s[6:7], s[0:1]
	s_cbranch_execz .LBB152_47
.LBB152_76:
	v_cvt_f16_f32_e32 v8, v33
	v_add_u32_e32 v6, v5, v2
	v_mov_b32_e32 v7, 0
	s_waitcnt lgkmcnt(0)
	v_lshl_add_u64 v[6:7], v[6:7], 1, s[12:13]
	global_store_short v[6:7], v8, off
	s_or_b64 exec, exec, s[6:7]
	s_and_saveexec_b64 s[6:7], s[2:3]
	s_cbranch_execz .LBB152_48
.LBB152_77:
	v_cvt_f16_f32_e32 v8, v31
	v_add_u32_e32 v6, v5, v3
	v_mov_b32_e32 v7, 0
	s_waitcnt lgkmcnt(0)
	v_lshl_add_u64 v[6:7], v[6:7], 1, s[12:13]
	global_store_short v[6:7], v8, off
	s_or_b64 exec, exec, s[6:7]
	s_and_saveexec_b64 s[6:7], s[4:5]
	s_cbranch_execnz .LBB152_49
	s_branch .LBB152_50
.LBB152_78:
	v_cvt_f16_f32_e32 v8, v26
	v_add_u32_e32 v6, v5, v0
	v_mov_b32_e32 v7, 0
	s_waitcnt lgkmcnt(0)
	v_lshl_add_u64 v[6:7], v[6:7], 1, s[12:13]
	global_store_short v[6:7], v8, off
	s_or_b64 exec, exec, s[6:7]
	s_and_saveexec_b64 s[6:7], s[0:1]
	s_cbranch_execz .LBB152_53
.LBB152_79:
	v_cvt_f16_f32_e32 v8, v24
	v_add_u32_e32 v6, v5, v2
	v_mov_b32_e32 v7, 0
	s_waitcnt lgkmcnt(0)
	v_lshl_add_u64 v[6:7], v[6:7], 1, s[12:13]
	global_store_short v[6:7], v8, off
	s_or_b64 exec, exec, s[6:7]
	s_and_saveexec_b64 s[6:7], s[2:3]
	s_cbranch_execz .LBB152_54
.LBB152_80:
	v_cvt_f16_f32_e32 v8, v22
	v_add_u32_e32 v6, v5, v3
	v_mov_b32_e32 v7, 0
	s_waitcnt lgkmcnt(0)
	v_lshl_add_u64 v[6:7], v[6:7], 1, s[12:13]
	global_store_short v[6:7], v8, off
	s_or_b64 exec, exec, s[6:7]
	s_and_saveexec_b64 s[6:7], s[4:5]
	s_cbranch_execnz .LBB152_55
	s_branch .LBB152_56
.LBB152_81:
	v_cvt_f16_f32_e32 v5, v27
	v_add_u32_e32 v6, v1, v0
	v_mov_b32_e32 v7, 0
	s_waitcnt lgkmcnt(0)
	v_lshl_add_u64 v[6:7], v[6:7], 1, s[12:13]
	global_store_short v[6:7], v5, off
	s_or_b64 exec, exec, s[6:7]
	s_and_saveexec_b64 s[6:7], s[0:1]
	s_cbranch_execz .LBB152_59
.LBB152_82:
	v_cvt_f16_f32_e32 v0, v25
	v_add_u32_e32 v6, v1, v2
	v_mov_b32_e32 v7, 0
	s_waitcnt lgkmcnt(0)
	v_lshl_add_u64 v[6:7], v[6:7], 1, s[12:13]
	global_store_short v[6:7], v0, off
	s_or_b64 exec, exec, s[6:7]
	s_and_saveexec_b64 s[0:1], s[2:3]
	s_cbranch_execz .LBB152_60
.LBB152_83:
	v_cvt_f16_f32_e32 v0, v23
	v_add_u32_e32 v2, v1, v3
	v_mov_b32_e32 v3, 0
	s_waitcnt lgkmcnt(0)
	v_lshl_add_u64 v[2:3], v[2:3], 1, s[12:13]
	global_store_short v[2:3], v0, off
	s_or_b64 exec, exec, s[0:1]
	s_and_b64 exec, exec, s[4:5]
	s_cbranch_execnz .LBB152_61
	s_branch .LBB152_62
	.section	.rodata,"a",@progbits
	.p2align	6, 0x0
	.amdhsa_kernel _ZL12mul_mat_q4_KIN3c104HalfELb1EEvPKvS3_PT_iiiii
		.amdhsa_group_segment_fixed_size 28752
		.amdhsa_private_segment_fixed_size 100
		.amdhsa_kernarg_size 44
		.amdhsa_user_sgpr_count 2
		.amdhsa_user_sgpr_dispatch_ptr 0
		.amdhsa_user_sgpr_queue_ptr 0
		.amdhsa_user_sgpr_kernarg_segment_ptr 1
		.amdhsa_user_sgpr_dispatch_id 0
		.amdhsa_user_sgpr_kernarg_preload_length 0
		.amdhsa_user_sgpr_kernarg_preload_offset 0
		.amdhsa_user_sgpr_private_segment_size 0
		.amdhsa_uses_dynamic_stack 0
		.amdhsa_enable_private_segment 1
		.amdhsa_system_sgpr_workgroup_id_x 1
		.amdhsa_system_sgpr_workgroup_id_y 1
		.amdhsa_system_sgpr_workgroup_id_z 0
		.amdhsa_system_sgpr_workgroup_info 0
		.amdhsa_system_vgpr_workitem_id 1
		.amdhsa_next_free_vgpr 256
		.amdhsa_next_free_sgpr 20
		.amdhsa_accum_offset 256
		.amdhsa_reserve_vcc 1
		.amdhsa_float_round_mode_32 0
		.amdhsa_float_round_mode_16_64 0
		.amdhsa_float_denorm_mode_32 3
		.amdhsa_float_denorm_mode_16_64 3
		.amdhsa_dx10_clamp 1
		.amdhsa_ieee_mode 1
		.amdhsa_fp16_overflow 0
		.amdhsa_tg_split 0
		.amdhsa_exception_fp_ieee_invalid_op 0
		.amdhsa_exception_fp_denorm_src 0
		.amdhsa_exception_fp_ieee_div_zero 0
		.amdhsa_exception_fp_ieee_overflow 0
		.amdhsa_exception_fp_ieee_underflow 0
		.amdhsa_exception_fp_ieee_inexact 0
		.amdhsa_exception_int_div_zero 0
	.end_amdhsa_kernel
	.section	.text._ZL12mul_mat_q4_KIN3c104HalfELb1EEvPKvS3_PT_iiiii,"axG",@progbits,_ZL12mul_mat_q4_KIN3c104HalfELb1EEvPKvS3_PT_iiiii,comdat
.Lfunc_end152:
	.size	_ZL12mul_mat_q4_KIN3c104HalfELb1EEvPKvS3_PT_iiiii, .Lfunc_end152-_ZL12mul_mat_q4_KIN3c104HalfELb1EEvPKvS3_PT_iiiii
                                        ; -- End function
	.section	.AMDGPU.csdata,"",@progbits
; Kernel info:
; codeLenInByte = 17024
; NumSgprs: 26
; NumVgprs: 256
; NumAgprs: 0
; TotalNumVgprs: 256
; ScratchSize: 100
; MemoryBound: 0
; FloatMode: 240
; IeeeMode: 1
; LDSByteSize: 28752 bytes/workgroup (compile time only)
; SGPRBlocks: 3
; VGPRBlocks: 31
; NumSGPRsForWavesPerEU: 26
; NumVGPRsForWavesPerEU: 256
; AccumOffset: 256
; Occupancy: 2
; WaveLimiterHint : 0
; COMPUTE_PGM_RSRC2:SCRATCH_EN: 1
; COMPUTE_PGM_RSRC2:USER_SGPR: 2
; COMPUTE_PGM_RSRC2:TRAP_HANDLER: 0
; COMPUTE_PGM_RSRC2:TGID_X_EN: 1
; COMPUTE_PGM_RSRC2:TGID_Y_EN: 1
; COMPUTE_PGM_RSRC2:TGID_Z_EN: 0
; COMPUTE_PGM_RSRC2:TIDIG_COMP_CNT: 1
; COMPUTE_PGM_RSRC3_GFX90A:ACCUM_OFFSET: 63
; COMPUTE_PGM_RSRC3_GFX90A:TG_SPLIT: 0
	.section	.text._ZL12mul_mat_q5_KIN3c104HalfELb0EEvPKvS3_PT_iiiii,"axG",@progbits,_ZL12mul_mat_q5_KIN3c104HalfELb0EEvPKvS3_PT_iiiii,comdat
	.globl	_ZL12mul_mat_q5_KIN3c104HalfELb0EEvPKvS3_PT_iiiii ; -- Begin function _ZL12mul_mat_q5_KIN3c104HalfELb0EEvPKvS3_PT_iiiii
	.p2align	8
	.type	_ZL12mul_mat_q5_KIN3c104HalfELb0EEvPKvS3_PT_iiiii,@function
_ZL12mul_mat_q5_KIN3c104HalfELb0EEvPKvS3_PT_iiiii: ; @_ZL12mul_mat_q5_KIN3c104HalfELb0EEvPKvS3_PT_iiiii
; %bb.0:
	s_load_dword s7, s[0:1], 0x18
	s_load_dwordx4 s[8:11], s[0:1], 0x20
	s_waitcnt lgkmcnt(0)
	s_lshl_b32 s11, s3, 6
	v_bfe_u32 v10, v0, 10, 10
	s_cmpk_gt_i32 s7, 0xff
	s_cbranch_scc1 .LBB153_2
; %bb.1:
	v_bfe_u32 v1, v0, 10, 10
	v_and_b32_e32 v49, 0x3ff, v0
	v_add_u32_e32 v2, s11, v1
	s_mov_b64 s[4:5], 0
	s_mov_b32 s3, 0
	s_branch .LBB153_3
.LBB153_2:
	s_mov_b64 s[4:5], -1
                                        ; implicit-def: $sgpr3
                                        ; implicit-def: $vgpr1
                                        ; implicit-def: $vgpr49
                                        ; implicit-def: $vgpr2
.LBB153_3:
	s_load_dwordx2 s[12:13], s[0:1], 0x10
	s_lshl_b32 s6, s2, 7
	s_andn2_b64 vcc, exec, s[4:5]
	v_mov_b32_e32 v17, s3
	v_mov_b32_e32 v16, s3
	v_mov_b32_e32 v25, s3
	v_mov_b32_e32 v24, s3
	v_mov_b32_e32 v33, s3
	v_mov_b32_e32 v32, s3
	v_mov_b32_e32 v41, s3
	v_mov_b32_e32 v40, s3
	v_mov_b32_e32 v19, s3
	v_mov_b32_e32 v18, s3
	v_mov_b32_e32 v27, s3
	v_mov_b32_e32 v26, s3
	v_mov_b32_e32 v35, s3
	v_mov_b32_e32 v34, s3
	v_mov_b32_e32 v43, s3
	v_mov_b32_e32 v42, s3
	v_mov_b32_e32 v21, s3
	v_mov_b32_e32 v20, s3
	v_mov_b32_e32 v29, s3
	v_mov_b32_e32 v28, s3
	v_mov_b32_e32 v37, s3
	v_mov_b32_e32 v36, s3
	v_mov_b32_e32 v45, s3
	v_mov_b32_e32 v44, s3
	v_mov_b32_e32 v23, s3
	v_mov_b32_e32 v22, s3
	v_mov_b32_e32 v31, s3
	v_mov_b32_e32 v30, s3
	v_mov_b32_e32 v39, s3
	v_mov_b32_e32 v38, s3
	v_mov_b32_e32 v47, s3
	v_mov_b32_e32 v46, s3
	s_cbranch_vccnz .LBB153_11
; %bb.4:
	s_ashr_i32 s4, s7, 31
	s_lshr_b32 s4, s4, 24
	s_load_dwordx4 s[0:3], s[0:1], 0x0
	s_add_i32 s7, s7, s4
	s_ashr_i32 s4, s9, 31
	s_lshr_b32 s4, s4, 27
	s_ashr_i32 s7, s7, 8
	s_add_i32 s4, s9, s4
	s_ashr_i32 s16, s4, 5
	s_mul_i32 s4, s7, s6
	v_and_b32_e32 v49, 0x3ff, v0
	s_mul_hi_i32 s5, s4, 0xb0
	s_mulk_i32 s4, 0xb0
	v_lshlrev_b32_e32 v0, 1, v49
	v_and_b32_e32 v2, 7, v49
	s_waitcnt lgkmcnt(0)
	s_add_u32 s14, s0, s4
	v_lshlrev_b32_e32 v3, 2, v49
	v_and_or_b32 v0, v0, 48, v2
	v_mul_i32_i24_e32 v2, s7, v10
	s_addc_u32 s15, s1, s5
	scratch_store_dwordx2 off, v[2:3], off  ; 8-byte Folded Spill
	v_mul_u32_u24_e32 v2, 0x41, v10
	s_lshl_b32 s1, s7, 3
	v_add_lshl_u32 v63, v0, v2, 2
	v_mov_b32_e32 v0, s1
	v_mad_i32_i24 v56, s7, v10, v0
	v_add_u32_e32 v58, s1, v56
	v_add_u32_e32 v60, s1, v58
	;; [unrolled: 1-line block ×13, first 2 shown]
	v_lshrrev_b32_e32 v1, 2, v49
	v_add_u32_e32 v0, s1, v82
	v_lshlrev_b32_e32 v119, 5, v10
	scratch_store_dwordx2 off, v[0:1], off offset:8 ; 8-byte Folded Spill
	v_add_u32_e32 v0, v119, v49
	v_and_b32_e32 v2, 0x7f, v0
	v_lshrrev_b32_e32 v0, 3, v0
	v_mul_i32_i24_e32 v4, s7, v2
	v_and_b32_e32 v0, 12, v0
	v_lshlrev_b32_e32 v2, 2, v2
	s_mov_b32 s1, 0xae40
	v_add3_u32 v135, v2, v0, s1
	v_and_b32_e32 v0, 3, v49
	v_add_u32_e32 v2, 0xfe, v0
	v_cmp_gt_u32_e32 vcc, 2, v0
	scratch_store_dwordx2 off, v[4:5], off offset:16 ; 8-byte Folded Spill
	v_lshlrev_b32_e32 v5, 3, v10
	v_cndmask_b32_e32 v2, v2, v0, vcc
	v_and_b32_e32 v59, 6, v1
	v_add_u32_e32 v8, v1, v5
	v_and_b32_e32 v6, 0xff, v2
	v_cmp_ne_u32_e32 vcc, 0, v0
	v_add_u16_e32 v1, v1, v5
	v_lshlrev_b32_e32 v143, 1, v6
	v_addc_co_u32_e32 v2, vcc, 0, v6, vcc
	v_and_b32_e32 v6, 0x7f, v8
	v_lshlrev_b32_e32 v9, 2, v0
	v_lshrrev_b16_e32 v1, 1, v1
	v_lshl_or_b32 v7, v6, 4, v9
	v_and_b32_e32 v1, 60, v1
	s_mov_b32 s4, 0xa200
	v_add3_u32 v165, v7, v1, s4
	v_xor_b32_e32 v1, 64, v6
	v_mul_i32_i24_e32 v90, s7, v1
	v_lshl_or_b32 v5, v1, 4, v9
	v_lshrrev_b32_e32 v1, 1, v1
	v_and_b32_e32 v1, 60, v1
	v_add3_u32 v167, v5, v1, s4
	v_and_b32_e32 v1, 63, v8
	s_add_i32 s4, s8, -1
	v_or_b32_e32 v8, s11, v1
	v_min_i32_e32 v8, s4, v8
	v_cmp_lt_u32_e32 vcc, 1, v0
	v_mul_i32_i24_e32 v88, s7, v6
	v_add_u32_e32 v11, s11, v10
	v_cvt_f64_i32_e32 v[6:7], s4
	v_mad_u64_u32 v[94:95], s[4:5], v8, s16, v[0:1]
	v_lshl_or_b32 v0, v1, 4, v9
	v_add_u32_e32 v95, 0xaa40, v0
	v_cvt_f64_u32_e32 v[0:1], v11
	v_min_f64 v[0:1], v[0:1], v[6:7]
	v_and_b32_e32 v5, 31, v49
	v_cvt_i32_f64_e32 v0, v[0:1]
	v_mul_lo_u32 v206, s16, v0
	v_or_b32_e32 v0, v119, v5
	v_mov_b32_e32 v8, 0x8200
	v_lshl_add_u32 v207, v0, 2, v8
	v_add_u32_e32 v0, 8, v11
	v_cvt_f64_u32_e32 v[0:1], v0
	v_min_f64 v[0:1], v[0:1], v[6:7]
	v_cvt_i32_f64_e32 v0, v[0:1]
	v_add_u32_e32 v209, 0x100, v119
	v_mul_lo_u32 v208, s16, v0
	v_or_b32_e32 v0, v209, v5
	v_lshl_add_u32 v210, v0, 2, v8
	v_add_u32_e32 v0, 16, v11
	v_cvt_f64_u32_e32 v[0:1], v0
	v_min_f64 v[0:1], v[0:1], v[6:7]
	v_cvt_i32_f64_e32 v0, v[0:1]
	v_add_u32_e32 v212, 0x200, v119
	v_mul_lo_u32 v211, s16, v0
	v_or_b32_e32 v0, v212, v5
	;; [unrolled: 8-line block ×6, first 2 shown]
	v_lshl_add_u32 v225, v0, 2, v8
	v_add_u32_e32 v0, 56, v11
	v_cvt_f64_u32_e32 v[0:1], v0
	v_min_f64 v[0:1], v[0:1], v[6:7]
	v_cvt_i32_f64_e32 v0, v[0:1]
	v_add_u32_e32 v227, 0x700, v119
	v_lshrrev_b32_e32 v48, 5, v49
	v_mul_lo_u32 v226, s16, v0
	v_or_b32_e32 v0, v227, v5
	v_lshl_add_u32 v228, v0, 2, v8
	v_lshlrev_b32_e32 v0, 2, v48
	v_add3_u32 v229, v0, v3, s1
	v_add_u32_e32 v0, 32, v49
	v_lshrrev_b32_e32 v230, 3, v0
	v_lshlrev_b32_e32 v1, 2, v0
	v_and_b32_e32 v0, 60, v230
	v_add3_u32 v231, v3, v0, s1
	v_add_u32_e32 v0, 64, v49
	v_lshlrev_b32_e32 v5, 2, v0
	v_lshrrev_b32_e32 v0, 3, v0
	v_and_b32_e32 v6, 60, v0
	v_add3_u32 v232, v3, v6, s1
	v_add_u32_e32 v6, 0x60, v49
	v_lshlrev_b32_e32 v7, 2, v6
	v_lshrrev_b32_e32 v6, 3, v6
	v_and_b32_e32 v8, 60, v6
	v_add3_u32 v233, v3, v8, s1
	s_movk_i32 s1, 0x104
	v_mov_b32_e32 v8, 0x2080
	v_mad_u32_u24 v235, v49, s1, v8
	v_mov_b32_e32 v8, 0x4100
	s_mov_b32 s0, 0
	v_mad_u32_u24 v236, v49, s1, v8
	v_mov_b32_e32 v8, 0x6180
	v_mov_b32_e32 v51, 0
	v_and_b32_e32 v4, 4, v3
	v_mad_u32_u24 v237, v49, s1, v8
	s_mov_b32 s1, s0
	v_and_b32_e32 v52, 28, v3
	v_mov_b32_e32 v53, v51
	v_cndmask_b32_e32 v137, 0, v4, vcc
	v_cndmask_b32_e64 v4, 0, 1, vcc
	v_lshrrev_b32_e32 v189, 3, v49
	v_mov_b64_e32 v[46:47], s[0:1]
	s_movk_i32 s9, 0xb0
	v_and_b32_e32 v50, 0x7c, v3
	v_or_b32_e32 v61, 1, v59
	v_add_u32_e32 v81, 0x4920, v63
	v_add_u32_e32 v83, 0x5140, v63
	;; [unrolled: 1-line block ×7, first 2 shown]
	v_lshl_add_u64 v[92:93], s[2:3], 0, v[52:53]
	v_mul_u32_u24_e32 v234, 0x104, v49
	s_mov_b32 s1, 0x10101010
	v_lshlrev_b32_e32 v96, 2, v2
	v_lshlrev_b32_e32 v98, 2, v4
	s_mov_b32 s16, 0x30303030
	v_mov_b32_e32 v97, v51
	v_mov_b32_e32 v99, v51
	v_lshlrev_b32_e32 v238, 2, v189
	v_lshlrev_b32_e32 v239, 2, v3
	;; [unrolled: 1-line block ×8, first 2 shown]
	v_mov_b64_e32 v[38:39], v[46:47]
	v_mov_b64_e32 v[30:31], v[46:47]
	;; [unrolled: 1-line block ×15, first 2 shown]
	scratch_store_dword off, v10, off offset:24 ; 4-byte Folded Spill
	scratch_store_dword off, v11, off offset:28 ; 4-byte Folded Spill
.LBB153_5:                              ; =>This Loop Header: Depth=1
                                        ;     Child Loop BB153_6 Depth 2
                                        ;     Child Loop BB153_8 Depth 2
	scratch_load_dwordx2 v[4:5], off, off   ; 8-byte Folded Reload
	s_mul_i32 s4, s0, 0xb0
	s_mul_hi_u32 s5, s0, 0xb0
	s_add_u32 s4, s14, s4
	s_addc_u32 s5, s15, s5
	v_mov_b64_e32 v[0:1], s[4:5]
	v_mad_u64_u32 v[2:3], s[4:5], v48, s9, v[0:1]
	v_mad_u64_u32 v[8:9], s[4:5], v56, s9, v[2:3]
	v_lshl_add_u64 v[10:11], v[8:9], 0, v[50:51]
	s_lshl_b32 s17, s0, 3
	v_add_u32_e32 v246, s17, v94
	s_mov_b32 s19, 0
	s_waitcnt vmcnt(0)
	v_mad_u64_u32 v[4:5], s[4:5], v4, s9, v[2:3]
	v_lshl_add_u64 v[6:7], v[4:5], 0, v[50:51]
	v_lshl_add_u64 v[4:5], v[4:5], 0, v[52:53]
	global_load_dword v12, v[6:7], off offset:48
	v_lshl_add_u64 v[6:7], v[8:9], 0, v[52:53]
	global_load_dword v13, v[4:5], off offset:16
	global_load_dword v14, v[10:11], off offset:48
	;; [unrolled: 1-line block ×3, first 2 shown]
	v_mad_u64_u32 v[4:5], s[4:5], v58, s9, v[2:3]
	v_lshl_add_u64 v[6:7], v[4:5], 0, v[50:51]
	v_lshl_add_u64 v[4:5], v[4:5], 0, v[52:53]
	global_load_dword v54, v[6:7], off offset:48
	global_load_dword v55, v[4:5], off offset:16
	v_mad_u64_u32 v[4:5], s[4:5], v60, s9, v[2:3]
	v_lshl_add_u64 v[6:7], v[4:5], 0, v[50:51]
	v_lshl_add_u64 v[4:5], v[4:5], 0, v[52:53]
	global_load_dword v57, v[6:7], off offset:48
	global_load_dword v84, v[4:5], off offset:16
	;; [unrolled: 5-line block ×6, first 2 shown]
	v_mad_u64_u32 v[4:5], s[4:5], v70, s9, v[2:3]
	v_lshl_add_u64 v[10:11], v[4:5], 0, v[50:51]
	v_lshl_add_u64 v[4:5], v[4:5], 0, v[52:53]
	global_load_dword v111, v[10:11], off offset:48
	v_mad_u64_u32 v[8:9], s[4:5], v72, s9, v[2:3]
	v_lshl_add_u64 v[6:7], v[8:9], 0, v[50:51]
	s_waitcnt vmcnt(16)
	v_and_b32_e32 v105, 0xf0f0f0f, v12
	v_lshrrev_b32_e32 v12, 4, v12
	s_waitcnt vmcnt(15)
	v_ashrrev_i32_e32 v106, v59, v13
	v_ashrrev_i32_e32 v13, v61, v13
	s_waitcnt vmcnt(14)
	v_and_b32_e32 v107, 0xf0f0f0f, v14
	v_lshrrev_b32_e32 v14, 4, v14
	s_waitcnt vmcnt(13)
	v_ashrrev_i32_e32 v108, v59, v15
	v_ashrrev_i32_e32 v15, v61, v15
	v_and_b32_e32 v12, 0xf0f0f0f, v12
	v_lshlrev_b32_e32 v106, 4, v106
	v_lshlrev_b32_e32 v13, 4, v13
	v_and_b32_e32 v14, 0xf0f0f0f, v14
	v_lshlrev_b32_e32 v108, 4, v108
	v_lshlrev_b32_e32 v10, 4, v15
	global_load_dword v15, v[4:5], off offset:16
	v_and_or_b32 v4, v106, s1, v105
	v_and_or_b32 v5, v13, s1, v12
	v_and_or_b32 v12, v108, s1, v107
	v_and_or_b32 v10, v10, s1, v14
	ds_write2_b32 v63, v4, v5 offset1:8
	v_add_u32_e32 v4, 0x820, v63
	s_waitcnt vmcnt(13)
	v_and_b32_e32 v109, 0xf0f0f0f, v54
	v_lshrrev_b32_e32 v54, 4, v54
	s_waitcnt vmcnt(12)
	v_ashrrev_i32_e32 v110, v59, v55
	v_ashrrev_i32_e32 v55, v61, v55
	ds_write2_b32 v4, v12, v10 offset1:8
	v_lshl_add_u64 v[4:5], v[8:9], 0, v[52:53]
	v_and_b32_e32 v11, 0xf0f0f0f, v54
	v_lshlrev_b32_e32 v54, 4, v110
	global_load_dword v13, v[6:7], off offset:48
	global_load_dword v12, v[4:5], off offset:16
	v_lshlrev_b32_e32 v4, 4, v55
	v_and_or_b32 v5, v54, s1, v109
	v_and_or_b32 v4, v4, s1, v11
	v_add_u32_e32 v6, 0x1040, v63
	ds_write2_b32 v6, v5, v4 offset1:8
	s_waitcnt vmcnt(13)
	v_lshrrev_b32_e32 v5, 4, v57
	s_waitcnt vmcnt(12)
	v_ashrrev_i32_e32 v6, v59, v84
	v_ashrrev_i32_e32 v7, v61, v84
	v_and_b32_e32 v4, 0xf0f0f0f, v57
	v_and_b32_e32 v5, 0xf0f0f0f, v5
	v_lshlrev_b32_e32 v6, 4, v6
	v_lshlrev_b32_e32 v7, 4, v7
	v_and_or_b32 v4, v6, s1, v4
	v_and_or_b32 v5, v7, s1, v5
	v_add_u32_e32 v6, 0x1860, v63
	ds_write2_b32 v6, v4, v5 offset1:8
	s_waitcnt vmcnt(11)
	v_lshrrev_b32_e32 v5, 4, v85
	s_waitcnt vmcnt(10)
	v_ashrrev_i32_e32 v6, v59, v86
	v_ashrrev_i32_e32 v7, v61, v86
	v_and_b32_e32 v4, 0xf0f0f0f, v85
	v_and_b32_e32 v5, 0xf0f0f0f, v5
	v_lshlrev_b32_e32 v6, 4, v6
	;; [unrolled: 13-line block ×4, first 2 shown]
	v_lshlrev_b32_e32 v7, 4, v7
	v_and_or_b32 v4, v6, s1, v4
	v_and_or_b32 v5, v7, s1, v5
	v_add_u32_e32 v6, 0x30c0, v63
	ds_write2_b32 v6, v4, v5 offset1:8
	s_waitcnt vmcnt(4)
	v_lshrrev_b32_e32 v5, 4, v103
	v_ashrrev_i32_e32 v6, v59, v104
	v_ashrrev_i32_e32 v7, v61, v104
	v_and_b32_e32 v4, 0xf0f0f0f, v103
	v_and_b32_e32 v5, 0xf0f0f0f, v5
	v_lshlrev_b32_e32 v6, 4, v6
	v_lshlrev_b32_e32 v7, 4, v7
	v_and_or_b32 v4, v6, s1, v4
	v_and_or_b32 v5, v7, s1, v5
	v_add_u32_e32 v6, 0x38e0, v63
	ds_write2_b32 v6, v4, v5 offset1:8
	v_mad_u64_u32 v[4:5], s[4:5], v74, s9, v[2:3]
	v_lshl_add_u64 v[6:7], v[4:5], 0, v[50:51]
	v_mad_u64_u32 v[8:9], s[4:5], v76, s9, v[2:3]
	v_lshl_add_u64 v[4:5], v[4:5], 0, v[52:53]
	v_lshl_add_u64 v[10:11], v[8:9], 0, v[50:51]
	;; [unrolled: 1-line block ×3, first 2 shown]
	global_load_dword v57, v[6:7], off offset:48
	global_load_dword v84, v[4:5], off offset:16
	;; [unrolled: 1-line block ×4, first 2 shown]
	scratch_load_dwordx2 v[54:55], off, off offset:8 ; 8-byte Folded Reload
	s_waitcnt vmcnt(8)
	v_lshrrev_b32_e32 v5, 4, v111
	s_waitcnt vmcnt(7)
	v_ashrrev_i32_e32 v6, v59, v15
	v_ashrrev_i32_e32 v7, v61, v15
	v_and_b32_e32 v4, 0xf0f0f0f, v111
	v_and_b32_e32 v5, 0xf0f0f0f, v5
	v_lshlrev_b32_e32 v6, 4, v6
	v_lshlrev_b32_e32 v7, 4, v7
	v_and_or_b32 v4, v6, s1, v4
	v_and_or_b32 v5, v7, s1, v5
	v_add_u32_e32 v6, 0x4100, v63
	ds_write2_b32 v6, v4, v5 offset1:8
	s_waitcnt vmcnt(6)
	v_lshrrev_b32_e32 v5, 4, v13
	s_waitcnt vmcnt(5)
	v_ashrrev_i32_e32 v6, v59, v12
	v_ashrrev_i32_e32 v7, v61, v12
	v_and_b32_e32 v4, 0xf0f0f0f, v13
	v_and_b32_e32 v5, 0xf0f0f0f, v5
	v_lshlrev_b32_e32 v6, 4, v6
	v_lshlrev_b32_e32 v7, 4, v7
	v_and_or_b32 v4, v6, s1, v4
	v_and_or_b32 v5, v7, s1, v5
	ds_write2_b32 v81, v4, v5 offset1:8
	v_mad_u64_u32 v[4:5], s[4:5], v78, s9, v[2:3]
	v_mad_u64_u32 v[8:9], s[4:5], v80, s9, v[2:3]
	;; [unrolled: 1-line block ×3, first 2 shown]
	v_lshl_add_u64 v[6:7], v[4:5], 0, v[50:51]
	v_lshl_add_u64 v[4:5], v[4:5], 0, v[52:53]
	;; [unrolled: 1-line block ×6, first 2 shown]
	s_waitcnt vmcnt(0)
	v_mad_u64_u32 v[2:3], s[4:5], v54, s9, v[2:3]
	v_lshl_add_u64 v[54:55], v[2:3], 0, v[50:51]
	v_lshl_add_u64 v[2:3], v[2:3], 0, v[52:53]
	global_load_dword v87, v[6:7], off offset:48
	global_load_dword v100, v[4:5], off offset:16
	;; [unrolled: 1-line block ×6, first 2 shown]
	s_nop 0
	global_load_dword v54, v[54:55], off offset:48
	s_nop 0
	global_load_dword v55, v[2:3], off offset:16
	s_nop 0
	scratch_load_dwordx2 v[2:3], off, off offset:16 ; 8-byte Folded Reload
	v_mad_u64_u32 v[4:5], s[4:5], v88, s9, v[0:1]
	v_lshl_add_u64 v[4:5], v[4:5], 0, 4
	v_lshl_add_u64 v[6:7], v[4:5], 0, v[96:97]
	;; [unrolled: 1-line block ×3, first 2 shown]
	v_add_u32_e32 v14, s17, v189
	v_add_u32_e32 v10, v14, v220
	v_add_u32_e32 v12, v14, v223
	v_mad_i64_i32 v[10:11], s[4:5], v10, 36, v[92:93]
	v_mad_i64_i32 v[12:13], s[4:5], v12, 36, v[92:93]
	s_waitcnt vmcnt(0)
	v_mad_u64_u32 v[2:3], s[4:5], v2, s9, v[0:1]
	v_mad_u64_u32 v[0:1], s[4:5], v90, s9, v[0:1]
	v_lshl_add_u64 v[0:1], v[0:1], 0, 4
	v_lshl_add_u64 v[8:9], v[0:1], 0, v[96:97]
	;; [unrolled: 1-line block ×3, first 2 shown]
	global_load_dword v105, v[2:3], off
	global_load_dword v106, v[6:7], off
	;; [unrolled: 1-line block ×5, first 2 shown]
	v_add_u32_e32 v0, v14, v206
	v_add_u32_e32 v2, v14, v208
	;; [unrolled: 1-line block ×5, first 2 shown]
	v_mad_i64_i32 v[0:1], s[4:5], v0, 36, v[92:93]
	v_mad_i64_i32 v[2:3], s[4:5], v2, 36, v[92:93]
	;; [unrolled: 1-line block ×5, first 2 shown]
	v_add_u32_e32 v14, v14, v226
	v_mad_i64_i32 v[14:15], s[4:5], v14, 36, v[92:93]
	global_load_dword v110, v[0:1], off offset:4
	s_nop 0
	global_load_dword v2, v[2:3], off offset:4
	s_nop 0
	;; [unrolled: 2-line block ×3, first 2 shown]
	global_load_dword v4, v[6:7], off offset:4
	global_load_dword v5, v[8:9], off offset:4
	s_nop 0
	global_load_dword v6, v[10:11], off offset:4
	global_load_dword v7, v[12:13], off offset:4
	;; [unrolled: 1-line block ×3, first 2 shown]
	v_mad_u64_u32 v[0:1], s[4:5], v246, 36, s[2:3]
	global_load_dword v0, v[0:1], off
	v_lshrrev_b32_e32 v9, 4, v57
	v_ashrrev_i32_e32 v10, v59, v84
	v_ashrrev_i32_e32 v11, v61, v84
	v_and_b32_e32 v1, 0xf0f0f0f, v57
	v_and_b32_e32 v9, 0xf0f0f0f, v9
	v_lshlrev_b32_e32 v10, 4, v10
	v_lshlrev_b32_e32 v11, 4, v11
	v_and_or_b32 v1, v10, s1, v1
	v_and_or_b32 v9, v11, s1, v9
	ds_write2_b32 v83, v1, v9 offset1:8
	v_lshrrev_b32_e32 v9, 4, v85
	v_ashrrev_i32_e32 v10, v59, v86
	v_ashrrev_i32_e32 v11, v61, v86
	v_and_b32_e32 v1, 0xf0f0f0f, v85
	v_and_b32_e32 v9, 0xf0f0f0f, v9
	v_lshlrev_b32_e32 v10, 4, v10
	v_lshlrev_b32_e32 v11, 4, v11
	v_and_or_b32 v1, v10, s1, v1
	v_and_or_b32 v9, v11, s1, v9
	ds_write2_b32 v65, v1, v9 offset1:8
	;; [unrolled: 10-line block ×6, first 2 shown]
	s_waitcnt vmcnt(13)
	ds_write_b32 v135, v105
	s_waitcnt vmcnt(12)
	v_ashrrev_i32_e32 v1, v137, v106
	v_and_b32_e32 v1, 0xf0f0f0f, v1
	s_waitcnt vmcnt(11)
	v_ashrrev_i32_e32 v9, v143, v107
	v_and_or_b32 v1, v9, s16, v1
	ds_write_b32 v165, v1
	s_waitcnt vmcnt(10)
	v_ashrrev_i32_e32 v1, v137, v108
	v_and_b32_e32 v1, 0xf0f0f0f, v1
	s_waitcnt vmcnt(9)
	v_ashrrev_i32_e32 v9, v143, v109
	v_and_or_b32 v1, v9, s16, v1
	ds_write_b32 v167, v1
	s_waitcnt vmcnt(8)
	ds_write_b32 v207, v110
	s_waitcnt vmcnt(7)
	;; [unrolled: 2-line block ×9, first 2 shown]
	ds_write_b32 v95, v0
	s_waitcnt lgkmcnt(0)
	s_barrier
	ds_read_b32 v0, v229
	ds_read_b32 v1, v231 offset:128
	ds_read_b32 v2, v232 offset:256
	;; [unrolled: 1-line block ×3, first 2 shown]
	s_mov_b64 s[4:5], -1
	s_waitcnt lgkmcnt(3)
	v_cvt_f32_f16_e32 v100, v0
	v_cvt_f32_f16_sdwa v102, v0 dst_sel:DWORD dst_unused:UNUSED_PAD src0_sel:WORD_1
	s_waitcnt lgkmcnt(2)
	v_cvt_f32_f16_e32 v104, v1
	v_cvt_f32_f16_sdwa v106, v1 dst_sel:DWORD dst_unused:UNUSED_PAD src0_sel:WORD_1
	;; [unrolled: 3-line block ×4, first 2 shown]
	v_mov_b32_e32 v101, v100
	v_mov_b32_e32 v103, v102
	;; [unrolled: 1-line block ×8, first 2 shown]
.LBB153_6:                              ;   Parent Loop BB153_5 Depth=1
                                        ; =>  This Inner Loop Header: Depth=2
	s_lshr_b32 s20, s19, 2
	s_lshl_b32 s18, s19, 1
	s_add_i32 s20, s20, 0xa200
	v_or_b32_e32 v0, s18, v119
	s_lshl_b32 s19, s19, 3
	v_lshlrev_b32_e32 v1, 2, v0
	v_add3_u32 v55, s20, v238, v239
	v_add_u32_e32 v57, s19, v234
	v_lshrrev_b32_e32 v54, 1, v0
	ds_read_b128 v[12:15], v1 offset:33280
	ds_read_b128 v[8:11], v1 offset:33296
	;; [unrolled: 1-line block ×4, first 2 shown]
	ds_read_b64 v[196:197], v54 offset:43584
	ds_read2_b32 v[168:169], v57 offset1:1
	ds_read2_b32 v[178:179], v57 offset0:2 offset1:3
	ds_read2_b32 v[182:183], v57 offset0:4 offset1:5
	;; [unrolled: 1-line block ×3, first 2 shown]
	ds_read_u16 v84, v55
	ds_read_u8 v85, v55 offset:8
	ds_read_u8 v55, v55 offset:9
	ds_read2_b32 v[162:163], v57 offset0:8 offset1:9
	ds_read2_b32 v[190:191], v57 offset0:10 offset1:11
	ds_read2_b32 v[192:193], v57 offset0:12 offset1:13
	ds_read2_b32 v[194:195], v57 offset0:14 offset1:15
	s_waitcnt lgkmcnt(4)
	v_cvt_f32_ubyte0_e32 v188, v55
	v_add3_u32 v55, s20, v240, v241
	v_add_u32_e32 v57, s19, v235
	v_and_b32_e32 v251, 0xff, v84
	v_cvt_f32_ubyte0_e32 v142, v85
	v_lshrrev_b16_e32 v254, 8, v84
	ds_read2_b32 v[128:129], v57 offset1:1
	ds_read2_b32 v[144:145], v57 offset0:2 offset1:3
	ds_read2_b32 v[146:147], v57 offset0:4 offset1:5
	;; [unrolled: 1-line block ×3, first 2 shown]
	ds_read_u16 v84, v55
	ds_read_u8 v85, v55 offset:8
	ds_read_u8 v55, v55 offset:9
	ds_read2_b32 v[138:139], v57 offset0:8 offset1:9
	ds_read2_b32 v[170:171], v57 offset0:10 offset1:11
	;; [unrolled: 1-line block ×4, first 2 shown]
	s_waitcnt lgkmcnt(6)
	v_and_b32_e32 v249, 0xff, v84
	v_lshrrev_b16_e32 v252, 8, v84
	v_add3_u32 v57, s20, v242, v243
	v_add_u32_e32 v84, s19, v236
	s_waitcnt lgkmcnt(5)
	v_cvt_f32_ubyte0_e32 v134, v85
	ds_read2_b32 v[130:131], v84 offset1:1
	ds_read2_b32 v[150:151], v84 offset0:2 offset1:3
	ds_read2_b32 v[152:153], v84 offset0:4 offset1:5
	;; [unrolled: 1-line block ×3, first 2 shown]
	ds_read_u16 v85, v57
	ds_read_u8 v87, v57 offset:8
	ds_read_u8 v57, v57 offset:9
	v_mov_b32_e32 v54, 0
	v_mov_b32_e32 v255, 0
	s_waitcnt lgkmcnt(2)
	v_and_b32_e32 v250, 0xff, v85
	v_lshrrev_b16_e32 v253, 8, v85
	v_add_u32_e32 v85, s19, v237
	ds_read2_b32 v[132:133], v85 offset1:1
	ds_read2_b32 v[156:157], v85 offset0:2 offset1:3
	ds_read2_b32 v[158:159], v85 offset0:4 offset1:5
	;; [unrolled: 1-line block ×3, first 2 shown]
	v_cvt_f32_ubyte0_e32 v164, v55
	v_mov_b32_e32 v55, 0
	s_waitcnt lgkmcnt(4)
	v_cvt_f32_ubyte0_e32 v166, v57
	v_mov_b32_e32 v57, 0
	v_dot4c_i32_i8_e32 v54, v168, v12
	v_dot4c_i32_i8_e32 v255, v128, v12
	;; [unrolled: 1-line block ×3, first 2 shown]
	s_waitcnt lgkmcnt(3)
	v_dot4c_i32_i8_e32 v57, v132, v12
	v_dot4c_i32_i8_e32 v54, v169, v13
	v_dot4c_i32_i8_e32 v255, v129, v13
	v_dot4c_i32_i8_e32 v55, v131, v13
	v_dot4c_i32_i8_e32 v57, v133, v13
	v_dot4c_i32_i8_e32 v54, v178, v14
	v_dot4c_i32_i8_e32 v255, v144, v14
	v_dot4c_i32_i8_e32 v55, v150, v14
	s_waitcnt lgkmcnt(2)
	v_dot4c_i32_i8_e32 v57, v156, v14
	v_dot4c_i32_i8_e32 v54, v179, v15
	;; [unrolled: 1-line block ×8, first 2 shown]
	s_waitcnt lgkmcnt(1)
	v_dot4c_i32_i8_e32 v57, v158, v8
	v_dot4c_i32_i8_e32 v54, v183, v9
	;; [unrolled: 1-line block ×4, first 2 shown]
	ds_read2_b32 v[140:141], v84 offset0:8 offset1:9
	ds_read2_b32 v[176:177], v84 offset0:10 offset1:11
	;; [unrolled: 1-line block ×4, first 2 shown]
	v_add3_u32 v84, s20, v244, v245
	v_dot4c_i32_i8_e32 v57, v159, v9
	v_dot4c_i32_i8_e32 v54, v186, v10
	;; [unrolled: 1-line block ×4, first 2 shown]
	s_waitcnt lgkmcnt(4)
	v_dot4c_i32_i8_e32 v57, v160, v10
	ds_read_u16 v8, v84
	ds_read_u8 v9, v84 offset:8
	ds_read_u8 v10, v84 offset:9
	ds_read2_b32 v[126:127], v85 offset0:8 offset1:9
	ds_read2_b32 v[120:121], v85 offset0:10 offset1:11
	;; [unrolled: 1-line block ×4, first 2 shown]
	v_mov_b32_e32 v86, 0
	v_mov_b32_e32 v69, 0
	;; [unrolled: 1-line block ×4, first 2 shown]
	v_dot4c_i32_i8_e32 v86, v162, v4
	v_dot4c_i32_i8_e32 v69, v138, v4
	s_waitcnt lgkmcnt(10)
	v_dot4c_i32_i8_e32 v71, v140, v4
	s_waitcnt lgkmcnt(3)
	v_dot4c_i32_i8_e32 v73, v126, v4
	v_dot4c_i32_i8_e32 v86, v163, v5
	v_dot4c_i32_i8_e32 v69, v139, v5
	v_dot4c_i32_i8_e32 v71, v141, v5
	v_dot4c_i32_i8_e32 v73, v127, v5
	v_dot4c_i32_i8_e32 v86, v190, v6
	v_dot4c_i32_i8_e32 v69, v170, v6
	v_dot4c_i32_i8_e32 v71, v176, v6
	s_waitcnt lgkmcnt(2)
	v_dot4c_i32_i8_e32 v73, v120, v6
	v_dot4c_i32_i8_e32 v86, v191, v7
	;; [unrolled: 1-line block ×8, first 2 shown]
	s_waitcnt lgkmcnt(1)
	v_dot4c_i32_i8_e32 v73, v122, v0
	v_dot4c_i32_i8_e32 v86, v193, v1
	;; [unrolled: 1-line block ×5, first 2 shown]
	v_or_b32_e32 v0, s18, v209
	v_dot4c_i32_i8_e32 v86, v194, v2
	v_dot4c_i32_i8_e32 v69, v174, v2
	;; [unrolled: 1-line block ×3, first 2 shown]
	s_waitcnt lgkmcnt(0)
	v_dot4c_i32_i8_e32 v73, v124, v2
	v_lshlrev_b32_e32 v1, 2, v0
	v_dot4c_i32_i8_e32 v54, v187, v11
	v_dot4c_i32_i8_e32 v86, v195, v3
	;; [unrolled: 1-line block ×7, first 2 shown]
	v_and_b32_e32 v248, 0xff, v8
	v_cvt_f32_ubyte0_e32 v118, v9
	v_dot4c_i32_i8_e32 v73, v125, v3
	v_lshrrev_b16_e32 v247, 8, v8
	v_cvt_f32_ubyte0_e32 v116, v10
	v_lshrrev_b32_e32 v84, 1, v0
	ds_read_b128 v[12:15], v1 offset:33280
	ds_read_b128 v[8:11], v1 offset:33296
	;; [unrolled: 1-line block ×4, first 2 shown]
	ds_read_b64 v[200:201], v84 offset:43584
	v_mov_b32_e32 v84, 0
	v_cvt_f32_ubyte0_e32 v136, v87
	s_waitcnt lgkmcnt(4)
	v_dot4c_i32_i8_e32 v84, v168, v12
	v_mov_b32_e32 v87, 0
	v_dot4c_i32_i8_e32 v84, v169, v13
	s_waitcnt lgkmcnt(2)
	v_dot4c_i32_i8_e32 v87, v162, v4
	v_dot4c_i32_i8_e32 v84, v178, v14
	v_dot4c_i32_i8_e32 v87, v163, v5
	v_dot4c_i32_i8_e32 v84, v179, v15
	v_dot4c_i32_i8_e32 v87, v190, v6
	v_dot4c_i32_i8_e32 v84, v182, v8
	v_dot4c_i32_i8_e32 v87, v191, v7
	v_dot4c_i32_i8_e32 v84, v183, v9
	s_waitcnt lgkmcnt(1)
	v_dot4c_i32_i8_e32 v87, v192, v0
	v_dot4c_i32_i8_e32 v84, v186, v10
	;; [unrolled: 1-line block ×6, first 2 shown]
	v_mul_lo_u32 v54, v54, v251
	v_mul_lo_u32 v84, v84, v251
	s_waitcnt lgkmcnt(0)
	v_cvt_f32_f16_e32 v203, v200
	v_cvt_f32_f16_e32 v202, v196
	v_cvt_f32_f16_sdwa v205, v200 dst_sel:DWORD dst_unused:UNUSED_PAD src0_sel:WORD_1
	v_cvt_f32_f16_sdwa v204, v196 dst_sel:DWORD dst_unused:UNUSED_PAD src0_sel:WORD_1
	v_cvt_f32_f16_e32 v198, v197
	v_cvt_f32_f16_sdwa v200, v197 dst_sel:DWORD dst_unused:UNUSED_PAD src0_sel:WORD_1
	v_cvt_f32_i32_e32 v197, v84
	v_cvt_f32_i32_e32 v196, v54
	v_mul_lo_u32 v54, v86, v254
	v_mul_lo_u32 v86, v87, v254
	v_cvt_f32_f16_e32 v199, v201
	v_cvt_f32_i32_e32 v87, v86
	v_cvt_f32_i32_e32 v86, v54
	v_mov_b32_e32 v54, 0
	v_pk_fma_f32 v[196:197], v[202:203], v[196:197], 0 op_sel_hi:[1,1,0]
	v_dot4c_i32_i8_e32 v54, v128, v12
	v_pk_fma_f32 v[86:87], v[198:199], v[86:87], v[196:197]
	v_dot4c_i32_i8_e32 v54, v129, v13
	v_mov_b32_e32 v196, 0
	v_cvt_f32_f16_sdwa v201, v201 dst_sel:DWORD dst_unused:UNUSED_PAD src0_sel:WORD_1
	v_dot4c_i32_i8_e32 v54, v144, v14
	v_dot4c_i32_i8_e32 v196, v138, v4
	;; [unrolled: 1-line block ×6, first 2 shown]
	v_pk_fma_f32 v[84:85], v[142:143], v[204:205], 0 op_sel_hi:[0,1,0]
	v_dot4c_i32_i8_e32 v54, v147, v9
	v_dot4c_i32_i8_e32 v196, v171, v7
	v_pk_fma_f32 v[84:85], v[188:189], v[200:201], v[84:85] op_sel_hi:[0,1,1]
	v_dot4c_i32_i8_e32 v54, v148, v10
	v_dot4c_i32_i8_e32 v196, v172, v0
	v_pk_mul_f32 v[84:85], v[84:85], v[102:103]
	v_dot4c_i32_i8_e32 v54, v149, v11
	v_dot4c_i32_i8_e32 v196, v173, v1
	v_pk_fma_f32 v[84:85], v[86:87], v[100:101], v[84:85] neg_lo:[0,0,1] neg_hi:[0,0,1]
	v_dot4c_i32_i8_e32 v196, v174, v2
	v_mul_lo_u32 v54, v54, v249
	v_pk_add_f32 v[46:47], v[46:47], v[84:85]
	v_dot4c_i32_i8_e32 v196, v175, v3
	v_cvt_f32_i32_e32 v85, v54
	v_mul_lo_u32 v54, v69, v252
	v_mul_lo_u32 v84, v255, v249
	;; [unrolled: 1-line block ×3, first 2 shown]
	v_cvt_f32_i32_e32 v196, v54
	v_mov_b32_e32 v54, 0
	v_cvt_f32_i32_e32 v197, v69
	v_dot4c_i32_i8_e32 v54, v130, v12
	v_mov_b32_e32 v69, 0
	v_cvt_f32_i32_e32 v84, v84
	v_dot4c_i32_i8_e32 v54, v131, v13
	v_dot4c_i32_i8_e32 v69, v140, v4
	;; [unrolled: 1-line block ×6, first 2 shown]
	v_pk_fma_f32 v[86:87], v[134:135], v[204:205], 0 op_sel_hi:[0,1,0]
	v_dot4c_i32_i8_e32 v54, v152, v8
	v_dot4c_i32_i8_e32 v69, v177, v7
	v_pk_fma_f32 v[84:85], v[202:203], v[84:85], 0 op_sel_hi:[1,1,0]
	v_pk_fma_f32 v[86:87], v[164:165], v[200:201], v[86:87] op_sel_hi:[0,1,1]
	v_dot4c_i32_i8_e32 v54, v153, v9
	v_dot4c_i32_i8_e32 v69, v180, v0
	v_pk_fma_f32 v[84:85], v[198:199], v[196:197], v[84:85]
	v_pk_mul_f32 v[86:87], v[86:87], v[106:107]
	v_dot4c_i32_i8_e32 v54, v154, v10
	v_dot4c_i32_i8_e32 v69, v181, v1
	v_pk_fma_f32 v[84:85], v[84:85], v[104:105], v[86:87] neg_lo:[0,0,1] neg_hi:[0,0,1]
	v_dot4c_i32_i8_e32 v54, v155, v11
	v_dot4c_i32_i8_e32 v69, v184, v2
	v_pk_add_f32 v[44:45], v[44:45], v[84:85]
	v_dot4c_i32_i8_e32 v69, v185, v3
	v_mul_lo_u32 v84, v55, v250
	v_mul_lo_u32 v54, v54, v250
	v_cvt_f32_i32_e32 v55, v54
	v_cvt_f32_i32_e32 v54, v84
	v_mul_lo_u32 v71, v71, v253
	v_mul_lo_u32 v69, v69, v253
	v_cvt_f32_i32_e32 v87, v69
	v_cvt_f32_i32_e32 v86, v71
	v_pk_fma_f32 v[84:85], v[136:137], v[204:205], 0 op_sel_hi:[0,1,0]
	v_pk_fma_f32 v[54:55], v[202:203], v[54:55], 0 op_sel_hi:[1,1,0]
	v_pk_fma_f32 v[84:85], v[166:167], v[200:201], v[84:85] op_sel_hi:[0,1,1]
	v_pk_fma_f32 v[54:55], v[198:199], v[86:87], v[54:55]
	v_pk_mul_f32 v[84:85], v[84:85], v[110:111]
	v_mov_b32_e32 v69, 0
	v_pk_fma_f32 v[54:55], v[54:55], v[108:109], v[84:85] neg_lo:[0,0,1] neg_hi:[0,0,1]
	v_mov_b32_e32 v71, 0
	v_pk_add_f32 v[42:43], v[42:43], v[54:55]
	v_mov_b32_e32 v54, 0
	v_dot4c_i32_i8_e32 v54, v132, v12
	v_dot4c_i32_i8_e32 v54, v133, v13
	;; [unrolled: 1-line block ×5, first 2 shown]
	v_mov_b32_e32 v8, 0
	v_dot4c_i32_i8_e32 v8, v126, v4
	v_dot4c_i32_i8_e32 v8, v127, v5
	;; [unrolled: 1-line block ×11, first 2 shown]
	v_mul_lo_u32 v0, v57, v248
	v_mul_lo_u32 v1, v54, v248
	v_cvt_f32_i32_e32 v1, v1
	v_cvt_f32_i32_e32 v0, v0
	v_mul_lo_u32 v4, v73, v247
	v_mul_lo_u32 v5, v8, v247
	v_cvt_f32_i32_e32 v5, v5
	v_cvt_f32_i32_e32 v4, v4
	v_pk_fma_f32 v[2:3], v[118:119], v[204:205], 0 op_sel_hi:[0,1,0]
	v_pk_fma_f32 v[0:1], v[202:203], v[0:1], 0 op_sel_hi:[1,1,0]
	;; [unrolled: 1-line block ×3, first 2 shown]
	v_pk_fma_f32 v[0:1], v[198:199], v[4:5], v[0:1]
	v_pk_mul_f32 v[2:3], v[2:3], v[114:115]
	v_mov_b32_e32 v57, 0
	v_pk_fma_f32 v[0:1], v[0:1], v[112:113], v[2:3] neg_lo:[0,0,1] neg_hi:[0,0,1]
	v_mov_b32_e32 v73, 0
	v_pk_add_f32 v[40:41], v[40:41], v[0:1]
	v_or_b32_e32 v0, s18, v212
	v_lshlrev_b32_e32 v1, 2, v0
	v_lshrrev_b32_e32 v54, 1, v0
	ds_read_b128 v[12:15], v1 offset:33280
	ds_read_b128 v[8:11], v1 offset:33296
	;; [unrolled: 1-line block ×4, first 2 shown]
	ds_read_b64 v[196:197], v54 offset:43584
	v_mov_b32_e32 v255, 0
	v_mov_b32_e32 v75, 0
	v_mov_b32_e32 v77, 0
	v_mov_b32_e32 v79, 0
	s_waitcnt lgkmcnt(4)
	v_dot4c_i32_i8_e32 v57, v168, v12
	s_waitcnt lgkmcnt(2)
	v_dot4c_i32_i8_e32 v69, v162, v4
	v_dot4c_i32_i8_e32 v71, v128, v12
	;; [unrolled: 1-line block ×32, first 2 shown]
	s_waitcnt lgkmcnt(1)
	v_dot4c_i32_i8_e32 v69, v192, v0
	v_dot4c_i32_i8_e32 v71, v146, v8
	;; [unrolled: 1-line block ×15, first 2 shown]
	v_or_b32_e32 v0, s18, v215
	v_dot4c_i32_i8_e32 v57, v186, v10
	v_dot4c_i32_i8_e32 v69, v194, v2
	;; [unrolled: 1-line block ×8, first 2 shown]
	v_lshlrev_b32_e32 v1, 2, v0
	v_lshrrev_b32_e32 v54, 1, v0
	v_dot4c_i32_i8_e32 v57, v187, v11
	v_dot4c_i32_i8_e32 v69, v195, v3
	;; [unrolled: 1-line block ×8, first 2 shown]
	ds_read_b128 v[12:15], v1 offset:33280
	ds_read_b128 v[8:11], v1 offset:33296
	;; [unrolled: 1-line block ×4, first 2 shown]
	ds_read_b64 v[54:55], v54 offset:43584
	v_mov_b32_e32 v84, 0
	s_waitcnt lgkmcnt(4)
	v_dot4c_i32_i8_e32 v84, v168, v12
	v_mov_b32_e32 v86, 0
	v_dot4c_i32_i8_e32 v84, v169, v13
	s_waitcnt lgkmcnt(2)
	v_dot4c_i32_i8_e32 v86, v162, v4
	v_dot4c_i32_i8_e32 v84, v178, v14
	v_dot4c_i32_i8_e32 v86, v163, v5
	v_dot4c_i32_i8_e32 v84, v179, v15
	v_dot4c_i32_i8_e32 v86, v190, v6
	v_dot4c_i32_i8_e32 v84, v182, v8
	v_dot4c_i32_i8_e32 v86, v191, v7
	v_dot4c_i32_i8_e32 v84, v183, v9
	s_waitcnt lgkmcnt(1)
	v_dot4c_i32_i8_e32 v86, v192, v0
	v_dot4c_i32_i8_e32 v84, v186, v10
	;; [unrolled: 1-line block ×6, first 2 shown]
	s_waitcnt lgkmcnt(0)
	v_cvt_f32_f16_e32 v203, v54
	v_cvt_f32_f16_sdwa v205, v54 dst_sel:DWORD dst_unused:UNUSED_PAD src0_sel:WORD_1
	v_cvt_f32_f16_sdwa v204, v196 dst_sel:DWORD dst_unused:UNUSED_PAD src0_sel:WORD_1
	v_cvt_f32_f16_e32 v199, v55
	v_cvt_f32_f16_sdwa v201, v55 dst_sel:DWORD dst_unused:UNUSED_PAD src0_sel:WORD_1
	v_mul_lo_u32 v54, v57, v251
	v_mul_lo_u32 v55, v84, v251
	v_cvt_f32_f16_e32 v202, v196
	v_cvt_f32_f16_sdwa v200, v197 dst_sel:DWORD dst_unused:UNUSED_PAD src0_sel:WORD_1
	v_cvt_f32_i32_e32 v55, v55
	v_cvt_f32_i32_e32 v54, v54
	v_mul_lo_u32 v57, v69, v254
	v_mul_lo_u32 v69, v86, v254
	v_cvt_f32_f16_e32 v198, v197
	v_cvt_f32_i32_e32 v87, v69
	v_cvt_f32_i32_e32 v86, v57
	v_pk_fma_f32 v[84:85], v[142:143], v[204:205], 0 op_sel_hi:[0,1,0]
	v_pk_fma_f32 v[54:55], v[54:55], v[202:203], 0 op_sel_hi:[1,1,0]
	;; [unrolled: 1-line block ×3, first 2 shown]
	v_pk_fma_f32 v[54:55], v[86:87], v[198:199], v[54:55]
	v_pk_mul_f32 v[84:85], v[84:85], v[102:103]
	v_mov_b32_e32 v57, 0
	v_pk_fma_f32 v[54:55], v[54:55], v[100:101], v[84:85] neg_lo:[0,0,1] neg_hi:[0,0,1]
	v_dot4c_i32_i8_e32 v57, v138, v4
	v_pk_add_f32 v[38:39], v[38:39], v[54:55]
	v_mov_b32_e32 v54, 0
	v_dot4c_i32_i8_e32 v54, v128, v12
	v_dot4c_i32_i8_e32 v54, v129, v13
	;; [unrolled: 1-line block ×15, first 2 shown]
	v_mul_lo_u32 v69, v71, v249
	v_mul_lo_u32 v54, v54, v249
	v_cvt_f32_i32_e32 v55, v54
	v_cvt_f32_i32_e32 v54, v69
	v_mul_lo_u32 v69, v73, v252
	v_mul_lo_u32 v57, v57, v252
	v_cvt_f32_i32_e32 v87, v57
	v_cvt_f32_i32_e32 v86, v69
	v_pk_fma_f32 v[84:85], v[134:135], v[204:205], 0 op_sel_hi:[0,1,0]
	v_pk_fma_f32 v[54:55], v[54:55], v[202:203], 0 op_sel_hi:[1,1,0]
	;; [unrolled: 1-line block ×3, first 2 shown]
	v_pk_fma_f32 v[54:55], v[86:87], v[198:199], v[54:55]
	v_pk_mul_f32 v[84:85], v[84:85], v[106:107]
	v_mov_b32_e32 v57, 0
	v_pk_fma_f32 v[54:55], v[54:55], v[104:105], v[84:85] neg_lo:[0,0,1] neg_hi:[0,0,1]
	v_dot4c_i32_i8_e32 v57, v140, v4
	v_pk_add_f32 v[36:37], v[36:37], v[54:55]
	v_mov_b32_e32 v54, 0
	v_dot4c_i32_i8_e32 v54, v130, v12
	v_dot4c_i32_i8_e32 v54, v131, v13
	;; [unrolled: 1-line block ×15, first 2 shown]
	v_mul_lo_u32 v69, v255, v250
	v_mul_lo_u32 v54, v54, v250
	v_cvt_f32_i32_e32 v55, v54
	v_cvt_f32_i32_e32 v54, v69
	v_mul_lo_u32 v69, v75, v253
	v_mul_lo_u32 v57, v57, v253
	v_cvt_f32_i32_e32 v87, v57
	v_cvt_f32_i32_e32 v86, v69
	v_pk_fma_f32 v[84:85], v[136:137], v[204:205], 0 op_sel_hi:[0,1,0]
	v_pk_fma_f32 v[54:55], v[54:55], v[202:203], 0 op_sel_hi:[1,1,0]
	;; [unrolled: 1-line block ×3, first 2 shown]
	v_pk_fma_f32 v[54:55], v[86:87], v[198:199], v[54:55]
	v_pk_mul_f32 v[84:85], v[84:85], v[110:111]
	v_mov_b32_e32 v57, 0
	v_pk_fma_f32 v[54:55], v[54:55], v[108:109], v[84:85] neg_lo:[0,0,1] neg_hi:[0,0,1]
	v_mov_b32_e32 v69, 0
	v_pk_add_f32 v[34:35], v[34:35], v[54:55]
	v_mov_b32_e32 v54, 0
	v_dot4c_i32_i8_e32 v54, v132, v12
	v_dot4c_i32_i8_e32 v54, v133, v13
	;; [unrolled: 1-line block ×5, first 2 shown]
	v_mov_b32_e32 v8, 0
	v_dot4c_i32_i8_e32 v8, v126, v4
	v_dot4c_i32_i8_e32 v8, v127, v5
	v_dot4c_i32_i8_e32 v8, v120, v6
	v_dot4c_i32_i8_e32 v8, v121, v7
	v_dot4c_i32_i8_e32 v54, v159, v9
	v_dot4c_i32_i8_e32 v8, v122, v0
	v_dot4c_i32_i8_e32 v54, v160, v10
	v_dot4c_i32_i8_e32 v8, v123, v1
	v_dot4c_i32_i8_e32 v54, v161, v11
	v_dot4c_i32_i8_e32 v8, v124, v2
	v_dot4c_i32_i8_e32 v8, v125, v3
	v_mul_lo_u32 v0, v77, v248
	v_mul_lo_u32 v1, v54, v248
	v_cvt_f32_i32_e32 v1, v1
	v_cvt_f32_i32_e32 v0, v0
	v_mul_lo_u32 v4, v79, v247
	v_mul_lo_u32 v5, v8, v247
	v_cvt_f32_i32_e32 v5, v5
	v_cvt_f32_i32_e32 v4, v4
	v_pk_fma_f32 v[2:3], v[118:119], v[204:205], 0 op_sel_hi:[0,1,0]
	v_pk_fma_f32 v[0:1], v[0:1], v[202:203], 0 op_sel_hi:[1,1,0]
	;; [unrolled: 1-line block ×3, first 2 shown]
	v_pk_fma_f32 v[0:1], v[4:5], v[198:199], v[0:1]
	v_pk_mul_f32 v[2:3], v[2:3], v[114:115]
	v_mov_b32_e32 v71, 0
	v_pk_fma_f32 v[0:1], v[0:1], v[112:113], v[2:3] neg_lo:[0,0,1] neg_hi:[0,0,1]
	v_mov_b32_e32 v73, 0
	v_pk_add_f32 v[32:33], v[32:33], v[0:1]
	v_or_b32_e32 v0, s18, v218
	v_lshlrev_b32_e32 v1, 2, v0
	v_lshrrev_b32_e32 v54, 1, v0
	ds_read_b128 v[12:15], v1 offset:33280
	ds_read_b128 v[8:11], v1 offset:33296
	;; [unrolled: 1-line block ×4, first 2 shown]
	ds_read_b64 v[196:197], v54 offset:43584
	v_mov_b32_e32 v75, 0
	v_mov_b32_e32 v77, 0
	;; [unrolled: 1-line block ×4, first 2 shown]
	s_waitcnt lgkmcnt(4)
	v_dot4c_i32_i8_e32 v57, v168, v12
	s_waitcnt lgkmcnt(2)
	v_dot4c_i32_i8_e32 v69, v162, v4
	v_dot4c_i32_i8_e32 v71, v128, v12
	;; [unrolled: 1-line block ×32, first 2 shown]
	s_waitcnt lgkmcnt(1)
	v_dot4c_i32_i8_e32 v69, v192, v0
	v_dot4c_i32_i8_e32 v71, v146, v8
	v_dot4c_i32_i8_e32 v73, v172, v0
	v_dot4c_i32_i8_e32 v75, v152, v8
	v_dot4c_i32_i8_e32 v77, v180, v0
	v_dot4c_i32_i8_e32 v79, v158, v8
	v_dot4c_i32_i8_e32 v255, v122, v0
	v_dot4c_i32_i8_e32 v57, v183, v9
	v_dot4c_i32_i8_e32 v69, v193, v1
	v_dot4c_i32_i8_e32 v71, v147, v9
	v_dot4c_i32_i8_e32 v73, v173, v1
	v_dot4c_i32_i8_e32 v75, v153, v9
	v_dot4c_i32_i8_e32 v77, v181, v1
	v_dot4c_i32_i8_e32 v79, v159, v9
	v_dot4c_i32_i8_e32 v255, v123, v1
	v_or_b32_e32 v0, s18, v221
	v_dot4c_i32_i8_e32 v57, v186, v10
	v_dot4c_i32_i8_e32 v69, v194, v2
	;; [unrolled: 1-line block ×8, first 2 shown]
	v_lshlrev_b32_e32 v1, 2, v0
	v_lshrrev_b32_e32 v54, 1, v0
	v_dot4c_i32_i8_e32 v57, v187, v11
	v_dot4c_i32_i8_e32 v69, v195, v3
	;; [unrolled: 1-line block ×8, first 2 shown]
	ds_read_b128 v[12:15], v1 offset:33280
	ds_read_b128 v[8:11], v1 offset:33296
	;; [unrolled: 1-line block ×4, first 2 shown]
	ds_read_b64 v[54:55], v54 offset:43584
	v_mov_b32_e32 v84, 0
	s_waitcnt lgkmcnt(4)
	v_dot4c_i32_i8_e32 v84, v168, v12
	v_mov_b32_e32 v86, 0
	v_dot4c_i32_i8_e32 v84, v169, v13
	s_waitcnt lgkmcnt(2)
	v_dot4c_i32_i8_e32 v86, v162, v4
	v_dot4c_i32_i8_e32 v84, v178, v14
	;; [unrolled: 1-line block ×8, first 2 shown]
	s_waitcnt lgkmcnt(1)
	v_dot4c_i32_i8_e32 v86, v192, v0
	v_dot4c_i32_i8_e32 v84, v186, v10
	;; [unrolled: 1-line block ×6, first 2 shown]
	s_waitcnt lgkmcnt(0)
	v_cvt_f32_f16_e32 v203, v54
	v_cvt_f32_f16_sdwa v205, v54 dst_sel:DWORD dst_unused:UNUSED_PAD src0_sel:WORD_1
	v_cvt_f32_f16_sdwa v204, v196 dst_sel:DWORD dst_unused:UNUSED_PAD src0_sel:WORD_1
	v_cvt_f32_f16_e32 v199, v55
	v_cvt_f32_f16_sdwa v201, v55 dst_sel:DWORD dst_unused:UNUSED_PAD src0_sel:WORD_1
	v_mul_lo_u32 v54, v57, v251
	v_mul_lo_u32 v55, v84, v251
	v_cvt_f32_f16_e32 v202, v196
	v_cvt_f32_f16_sdwa v200, v197 dst_sel:DWORD dst_unused:UNUSED_PAD src0_sel:WORD_1
	v_cvt_f32_i32_e32 v55, v55
	v_cvt_f32_i32_e32 v54, v54
	v_mul_lo_u32 v57, v69, v254
	v_mul_lo_u32 v69, v86, v254
	v_cvt_f32_f16_e32 v198, v197
	v_cvt_f32_i32_e32 v87, v69
	v_cvt_f32_i32_e32 v86, v57
	v_pk_fma_f32 v[84:85], v[142:143], v[204:205], 0 op_sel_hi:[0,1,0]
	v_pk_fma_f32 v[54:55], v[54:55], v[202:203], 0 op_sel_hi:[1,1,0]
	;; [unrolled: 1-line block ×3, first 2 shown]
	v_pk_fma_f32 v[54:55], v[86:87], v[198:199], v[54:55]
	v_pk_mul_f32 v[84:85], v[84:85], v[102:103]
	v_mov_b32_e32 v57, 0
	v_pk_fma_f32 v[54:55], v[54:55], v[100:101], v[84:85] neg_lo:[0,0,1] neg_hi:[0,0,1]
	v_dot4c_i32_i8_e32 v57, v138, v4
	v_pk_add_f32 v[30:31], v[30:31], v[54:55]
	v_mov_b32_e32 v54, 0
	v_dot4c_i32_i8_e32 v54, v128, v12
	v_dot4c_i32_i8_e32 v54, v129, v13
	;; [unrolled: 1-line block ×15, first 2 shown]
	v_mul_lo_u32 v69, v71, v249
	v_mul_lo_u32 v54, v54, v249
	v_cvt_f32_i32_e32 v55, v54
	v_cvt_f32_i32_e32 v54, v69
	v_mul_lo_u32 v69, v73, v252
	v_mul_lo_u32 v57, v57, v252
	v_cvt_f32_i32_e32 v87, v57
	v_cvt_f32_i32_e32 v86, v69
	v_pk_fma_f32 v[84:85], v[134:135], v[204:205], 0 op_sel_hi:[0,1,0]
	v_pk_fma_f32 v[54:55], v[54:55], v[202:203], 0 op_sel_hi:[1,1,0]
	;; [unrolled: 1-line block ×3, first 2 shown]
	v_pk_fma_f32 v[54:55], v[86:87], v[198:199], v[54:55]
	v_pk_mul_f32 v[84:85], v[84:85], v[106:107]
	v_mov_b32_e32 v57, 0
	v_pk_fma_f32 v[54:55], v[54:55], v[104:105], v[84:85] neg_lo:[0,0,1] neg_hi:[0,0,1]
	v_dot4c_i32_i8_e32 v57, v140, v4
	v_pk_add_f32 v[28:29], v[28:29], v[54:55]
	v_mov_b32_e32 v54, 0
	v_dot4c_i32_i8_e32 v54, v130, v12
	v_dot4c_i32_i8_e32 v54, v131, v13
	;; [unrolled: 1-line block ×15, first 2 shown]
	v_mul_lo_u32 v69, v75, v250
	v_mul_lo_u32 v54, v54, v250
	v_cvt_f32_i32_e32 v55, v54
	v_cvt_f32_i32_e32 v54, v69
	v_mul_lo_u32 v69, v77, v253
	v_mul_lo_u32 v57, v57, v253
	v_cvt_f32_i32_e32 v87, v57
	v_cvt_f32_i32_e32 v86, v69
	v_pk_fma_f32 v[84:85], v[136:137], v[204:205], 0 op_sel_hi:[0,1,0]
	v_pk_fma_f32 v[54:55], v[54:55], v[202:203], 0 op_sel_hi:[1,1,0]
	;; [unrolled: 1-line block ×3, first 2 shown]
	v_pk_fma_f32 v[54:55], v[86:87], v[198:199], v[54:55]
	v_pk_mul_f32 v[84:85], v[84:85], v[110:111]
	v_mov_b32_e32 v57, 0
	v_pk_fma_f32 v[54:55], v[54:55], v[108:109], v[84:85] neg_lo:[0,0,1] neg_hi:[0,0,1]
	v_mov_b32_e32 v69, 0
	v_pk_add_f32 v[26:27], v[26:27], v[54:55]
	v_mov_b32_e32 v54, 0
	v_dot4c_i32_i8_e32 v54, v132, v12
	v_dot4c_i32_i8_e32 v54, v133, v13
	;; [unrolled: 1-line block ×5, first 2 shown]
	v_mov_b32_e32 v8, 0
	v_dot4c_i32_i8_e32 v8, v126, v4
	v_dot4c_i32_i8_e32 v8, v127, v5
	;; [unrolled: 1-line block ×11, first 2 shown]
	v_mul_lo_u32 v0, v79, v248
	v_mul_lo_u32 v1, v54, v248
	v_cvt_f32_i32_e32 v1, v1
	v_cvt_f32_i32_e32 v0, v0
	v_mul_lo_u32 v4, v255, v247
	v_mul_lo_u32 v5, v8, v247
	v_cvt_f32_i32_e32 v5, v5
	v_cvt_f32_i32_e32 v4, v4
	v_pk_fma_f32 v[2:3], v[118:119], v[204:205], 0 op_sel_hi:[0,1,0]
	v_pk_fma_f32 v[0:1], v[0:1], v[202:203], 0 op_sel_hi:[1,1,0]
	;; [unrolled: 1-line block ×3, first 2 shown]
	v_pk_fma_f32 v[0:1], v[4:5], v[198:199], v[0:1]
	v_pk_mul_f32 v[2:3], v[2:3], v[114:115]
	v_mov_b32_e32 v71, 0
	v_pk_fma_f32 v[0:1], v[0:1], v[112:113], v[2:3] neg_lo:[0,0,1] neg_hi:[0,0,1]
	v_mov_b32_e32 v73, 0
	v_pk_add_f32 v[24:25], v[24:25], v[0:1]
	v_or_b32_e32 v0, s18, v224
	v_lshlrev_b32_e32 v1, 2, v0
	v_lshrrev_b32_e32 v54, 1, v0
	ds_read_b128 v[12:15], v1 offset:33280
	ds_read_b128 v[8:11], v1 offset:33296
	;; [unrolled: 1-line block ×4, first 2 shown]
	ds_read_b64 v[196:197], v54 offset:43584
	v_mov_b32_e32 v75, 0
	v_mov_b32_e32 v77, 0
	v_mov_b32_e32 v199, 0
	v_mov_b32_e32 v198, 0
	s_waitcnt lgkmcnt(4)
	v_dot4c_i32_i8_e32 v57, v168, v12
	s_waitcnt lgkmcnt(2)
	v_dot4c_i32_i8_e32 v69, v162, v4
	v_dot4c_i32_i8_e32 v71, v128, v12
	;; [unrolled: 1-line block ×32, first 2 shown]
	s_waitcnt lgkmcnt(1)
	v_dot4c_i32_i8_e32 v69, v192, v0
	v_dot4c_i32_i8_e32 v71, v146, v8
	v_dot4c_i32_i8_e32 v73, v172, v0
	v_dot4c_i32_i8_e32 v75, v152, v8
	v_dot4c_i32_i8_e32 v77, v180, v0
	v_dot4c_i32_i8_e32 v199, v158, v8
	v_dot4c_i32_i8_e32 v198, v122, v0
	v_dot4c_i32_i8_e32 v57, v183, v9
	v_dot4c_i32_i8_e32 v69, v193, v1
	v_dot4c_i32_i8_e32 v71, v147, v9
	v_dot4c_i32_i8_e32 v73, v173, v1
	v_dot4c_i32_i8_e32 v75, v153, v9
	v_dot4c_i32_i8_e32 v77, v181, v1
	v_dot4c_i32_i8_e32 v199, v159, v9
	v_dot4c_i32_i8_e32 v198, v123, v1
	v_or_b32_e32 v0, s18, v227
	v_dot4c_i32_i8_e32 v57, v186, v10
	v_dot4c_i32_i8_e32 v69, v194, v2
	;; [unrolled: 1-line block ×8, first 2 shown]
	v_lshlrev_b32_e32 v1, 2, v0
	v_lshrrev_b32_e32 v54, 1, v0
	v_dot4c_i32_i8_e32 v57, v187, v11
	v_dot4c_i32_i8_e32 v69, v195, v3
	;; [unrolled: 1-line block ×8, first 2 shown]
	ds_read_b128 v[12:15], v1 offset:33280
	ds_read_b128 v[8:11], v1 offset:33296
	;; [unrolled: 1-line block ×4, first 2 shown]
	ds_read_b64 v[54:55], v54 offset:43584
	v_mov_b32_e32 v79, 0
	s_waitcnt lgkmcnt(4)
	v_dot4c_i32_i8_e32 v79, v168, v12
	v_mov_b32_e32 v86, 0
	v_dot4c_i32_i8_e32 v79, v169, v13
	s_waitcnt lgkmcnt(2)
	v_dot4c_i32_i8_e32 v86, v162, v4
	v_dot4c_i32_i8_e32 v79, v178, v14
	;; [unrolled: 1-line block ×8, first 2 shown]
	s_waitcnt lgkmcnt(1)
	v_dot4c_i32_i8_e32 v86, v192, v0
	v_dot4c_i32_i8_e32 v79, v186, v10
	;; [unrolled: 1-line block ×6, first 2 shown]
	s_waitcnt lgkmcnt(0)
	v_cvt_f32_f16_e32 v183, v54
	v_cvt_f32_f16_sdwa v179, v54 dst_sel:DWORD dst_unused:UNUSED_PAD src0_sel:WORD_1
	v_cvt_f32_f16_sdwa v178, v196 dst_sel:DWORD dst_unused:UNUSED_PAD src0_sel:WORD_1
	v_cvt_f32_f16_e32 v169, v55
	v_cvt_f32_f16_sdwa v163, v55 dst_sel:DWORD dst_unused:UNUSED_PAD src0_sel:WORD_1
	v_mul_lo_u32 v54, v57, v251
	v_mul_lo_u32 v55, v79, v251
	v_cvt_f32_f16_e32 v182, v196
	v_cvt_f32_f16_sdwa v162, v197 dst_sel:DWORD dst_unused:UNUSED_PAD src0_sel:WORD_1
	v_cvt_f32_i32_e32 v55, v55
	v_cvt_f32_i32_e32 v54, v54
	v_mul_lo_u32 v57, v69, v254
	v_mul_lo_u32 v69, v86, v254
	v_cvt_f32_f16_e32 v168, v197
	v_cvt_f32_i32_e32 v87, v69
	v_cvt_f32_i32_e32 v86, v57
	v_pk_fma_f32 v[84:85], v[142:143], v[178:179], 0 op_sel_hi:[0,1,0]
	v_pk_fma_f32 v[54:55], v[54:55], v[182:183], 0 op_sel_hi:[1,1,0]
	;; [unrolled: 1-line block ×3, first 2 shown]
	v_pk_fma_f32 v[54:55], v[86:87], v[168:169], v[54:55]
	v_pk_mul_f32 v[84:85], v[84:85], v[102:103]
	v_mov_b32_e32 v57, 0
	v_pk_fma_f32 v[54:55], v[54:55], v[100:101], v[84:85] neg_lo:[0,0,1] neg_hi:[0,0,1]
	v_dot4c_i32_i8_e32 v57, v138, v4
	v_pk_add_f32 v[22:23], v[22:23], v[54:55]
	v_mov_b32_e32 v54, 0
	v_dot4c_i32_i8_e32 v54, v128, v12
	v_dot4c_i32_i8_e32 v54, v129, v13
	;; [unrolled: 1-line block ×15, first 2 shown]
	v_mul_lo_u32 v69, v71, v249
	v_mul_lo_u32 v54, v54, v249
	v_cvt_f32_i32_e32 v55, v54
	v_cvt_f32_i32_e32 v54, v69
	v_mul_lo_u32 v69, v73, v252
	v_mul_lo_u32 v57, v57, v252
	v_cvt_f32_i32_e32 v87, v57
	v_cvt_f32_i32_e32 v86, v69
	v_pk_fma_f32 v[84:85], v[134:135], v[178:179], 0 op_sel_hi:[0,1,0]
	v_pk_fma_f32 v[54:55], v[54:55], v[182:183], 0 op_sel_hi:[1,1,0]
	;; [unrolled: 1-line block ×3, first 2 shown]
	v_pk_fma_f32 v[54:55], v[86:87], v[168:169], v[54:55]
	v_pk_mul_f32 v[84:85], v[84:85], v[106:107]
	v_mov_b32_e32 v128, 0
	v_pk_fma_f32 v[54:55], v[54:55], v[104:105], v[84:85] neg_lo:[0,0,1] neg_hi:[0,0,1]
	v_dot4c_i32_i8_e32 v128, v132, v12
	v_pk_add_f32 v[20:21], v[20:21], v[54:55]
	v_mov_b32_e32 v54, 0
	v_dot4c_i32_i8_e32 v54, v130, v12
	v_dot4c_i32_i8_e32 v54, v131, v13
	;; [unrolled: 1-line block ×8, first 2 shown]
	v_mov_b32_e32 v57, 0
	v_dot4c_i32_i8_e32 v128, v158, v8
	v_mov_b32_e32 v8, 0
	v_dot4c_i32_i8_e32 v57, v140, v4
	v_dot4c_i32_i8_e32 v8, v126, v4
	;; [unrolled: 1-line block ×21, first 2 shown]
	v_mul_lo_u32 v69, v75, v250
	v_mul_lo_u32 v54, v54, v250
	v_dot4c_i32_i8_e32 v8, v125, v3
	v_mul_lo_u32 v0, v199, v248
	v_mul_lo_u32 v1, v128, v248
	v_cvt_f32_i32_e32 v55, v54
	v_cvt_f32_i32_e32 v54, v69
	v_mul_lo_u32 v69, v77, v253
	v_mul_lo_u32 v57, v57, v253
	v_cvt_f32_i32_e32 v1, v1
	v_cvt_f32_i32_e32 v0, v0
	;; [unrolled: 4-line block ×3, first 2 shown]
	v_cvt_f32_i32_e32 v5, v5
	v_cvt_f32_i32_e32 v4, v4
	v_pk_fma_f32 v[84:85], v[136:137], v[178:179], 0 op_sel_hi:[0,1,0]
	v_pk_fma_f32 v[2:3], v[118:119], v[178:179], 0 op_sel_hi:[0,1,0]
	;; [unrolled: 1-line block ×6, first 2 shown]
	v_pk_fma_f32 v[54:55], v[86:87], v[168:169], v[54:55]
	v_pk_mul_f32 v[84:85], v[84:85], v[110:111]
	v_pk_fma_f32 v[0:1], v[4:5], v[168:169], v[0:1]
	v_pk_mul_f32 v[2:3], v[2:3], v[114:115]
	v_pk_fma_f32 v[54:55], v[54:55], v[108:109], v[84:85] neg_lo:[0,0,1] neg_hi:[0,0,1]
	v_pk_fma_f32 v[0:1], v[0:1], v[112:113], v[2:3] neg_lo:[0,0,1] neg_hi:[0,0,1]
	v_pk_add_f32 v[18:19], v[18:19], v[54:55]
	v_pk_add_f32 v[16:17], v[16:17], v[0:1]
	s_mov_b32 s19, 8
	s_and_b64 vcc, exec, s[4:5]
	s_mov_b64 s[4:5], 0
	s_cbranch_vccnz .LBB153_6
; %bb.7:                                ;   in Loop: Header=BB153_5 Depth=1
	v_add_u32_e32 v14, s17, v230
	v_add_u32_e32 v0, v14, v206
	v_add_u32_e32 v2, v14, v208
	v_add_u32_e32 v4, v14, v211
	v_add_u32_e32 v6, v14, v214
	v_add_u32_e32 v8, v14, v217
	v_mad_i64_i32 v[0:1], s[4:5], v0, 36, v[92:93]
	v_mad_i64_i32 v[2:3], s[4:5], v2, 36, v[92:93]
	;; [unrolled: 1-line block ×5, first 2 shown]
	v_add_u32_e32 v10, v14, v220
	v_add_u32_e32 v12, v14, v223
	v_add_u32_e32 v14, v14, v226
	s_barrier
	v_mad_i64_i32 v[10:11], s[4:5], v10, 36, v[92:93]
	v_mad_i64_i32 v[12:13], s[4:5], v12, 36, v[92:93]
	;; [unrolled: 1-line block ×3, first 2 shown]
	global_load_dword v54, v[0:1], off offset:4
	s_nop 0
	global_load_dword v2, v[2:3], off offset:4
	s_nop 0
	;; [unrolled: 2-line block ×3, first 2 shown]
	global_load_dword v4, v[6:7], off offset:4
	global_load_dword v5, v[8:9], off offset:4
	s_nop 0
	global_load_dword v6, v[10:11], off offset:4
	global_load_dword v7, v[12:13], off offset:4
	;; [unrolled: 1-line block ×3, first 2 shown]
	v_add_u32_e32 v0, 4, v246
	v_mad_u64_u32 v[0:1], s[4:5], v0, 36, s[2:3]
	global_load_dword v0, v[0:1], off
	s_mov_b32 s4, 16
	s_waitcnt vmcnt(8)
	ds_write_b32 v207, v54
	s_waitcnt vmcnt(7)
	ds_write_b32 v210, v2
	;; [unrolled: 2-line block ×9, first 2 shown]
	s_waitcnt lgkmcnt(0)
	s_barrier
	ds_read_b32 v0, v229
	ds_read_b32 v1, v231 offset:128
	ds_read_b32 v2, v232 offset:256
	;; [unrolled: 1-line block ×3, first 2 shown]
	s_waitcnt lgkmcnt(2)
	v_cvt_f32_f16_e32 v104, v1
	v_cvt_f32_f16_e32 v100, v0
	v_cvt_f32_f16_sdwa v102, v0 dst_sel:DWORD dst_unused:UNUSED_PAD src0_sel:WORD_1
	v_cvt_f32_f16_sdwa v106, v1 dst_sel:DWORD dst_unused:UNUSED_PAD src0_sel:WORD_1
	s_waitcnt lgkmcnt(1)
	v_cvt_f32_f16_e32 v108, v2
	v_cvt_f32_f16_sdwa v110, v2 dst_sel:DWORD dst_unused:UNUSED_PAD src0_sel:WORD_1
	s_waitcnt lgkmcnt(0)
	v_cvt_f32_f16_e32 v112, v3
	v_cvt_f32_f16_sdwa v114, v3 dst_sel:DWORD dst_unused:UNUSED_PAD src0_sel:WORD_1
	v_mov_b32_e32 v101, v100
	v_mov_b32_e32 v103, v102
	;; [unrolled: 1-line block ×8, first 2 shown]
.LBB153_8:                              ;   Parent Loop BB153_5 Depth=1
                                        ; =>  This Inner Loop Header: Depth=2
	s_lshr_b32 s5, s4, 2
	s_and_b32 s17, s5, 0x3ffffffe
	s_lshl_b32 s5, s4, 1
	s_and_b32 s5, s5, 16
	v_or_b32_e32 v0, s5, v119
	v_lshlrev_b32_e32 v1, 2, v0
	v_lshrrev_b32_e32 v54, 1, v0
	s_add_i32 s17, s17, 0xa200
	s_lshl_b32 s18, s4, 3
	ds_read_b128 v[12:15], v1 offset:33280
	ds_read_b128 v[8:11], v1 offset:33296
	;; [unrolled: 1-line block ×4, first 2 shown]
	ds_read_b64 v[196:197], v54 offset:43584
	v_add3_u32 v54, s17, v238, v239
	v_add_u32_e32 v55, s18, v234
	ds_read2_b32 v[180:181], v55 offset1:1
	ds_read2_b32 v[182:183], v55 offset0:2 offset1:3
	ds_read2_b32 v[184:185], v55 offset0:4 offset1:5
	;; [unrolled: 1-line block ×3, first 2 shown]
	ds_read_u16 v57, v54
	ds_read_u16 v54, v54 offset:8
	ds_read2_b32 v[162:163], v55 offset0:8 offset1:9
	ds_read2_b32 v[190:191], v55 offset0:10 offset1:11
	;; [unrolled: 1-line block ×4, first 2 shown]
	s_waitcnt lgkmcnt(4)
	v_cvt_f32_ubyte0_e32 v142, v54
	v_cvt_f32_ubyte1_e32 v188, v54
	v_add3_u32 v54, s17, v240, v241
	v_add_u32_e32 v55, s18, v235
	v_and_b32_e32 v250, 0xff, v57
	v_lshrrev_b16_e32 v253, 8, v57
	ds_read2_b32 v[132:133], v55 offset1:1
	ds_read2_b32 v[150:151], v55 offset0:2 offset1:3
	ds_read2_b32 v[156:157], v55 offset0:4 offset1:5
	;; [unrolled: 1-line block ×3, first 2 shown]
	ds_read_u16 v57, v54
	ds_read_u16 v54, v54 offset:8
	ds_read2_b32 v[140:141], v55 offset0:8 offset1:9
	ds_read2_b32 v[170:171], v55 offset0:10 offset1:11
	;; [unrolled: 1-line block ×4, first 2 shown]
	s_waitcnt lgkmcnt(4)
	v_cvt_f32_ubyte0_e32 v136, v54
	v_cvt_f32_ubyte1_e32 v166, v54
	v_add3_u32 v54, s17, v242, v243
	v_add_u32_e32 v55, s18, v236
	ds_read2_b32 v[130:131], v55 offset1:1
	ds_read2_b32 v[146:147], v55 offset0:2 offset1:3
	ds_read2_b32 v[152:153], v55 offset0:4 offset1:5
	ds_read2_b32 v[158:159], v55 offset0:6 offset1:7
	ds_read_u16 v75, v54
	ds_read_u16 v54, v54 offset:8
	v_mov_b32_e32 v69, 0
	v_mov_b32_e32 v254, 0
	v_and_b32_e32 v249, 0xff, v57
	s_waitcnt lgkmcnt(1)
	v_and_b32_e32 v248, 0xff, v75
	v_lshrrev_b16_e32 v251, 8, v75
	v_add_u32_e32 v75, s18, v237
	ds_read2_b32 v[128:129], v75 offset1:1
	ds_read2_b32 v[144:145], v75 offset0:2 offset1:3
	ds_read2_b32 v[148:149], v75 offset0:4 offset1:5
	;; [unrolled: 1-line block ×3, first 2 shown]
	v_lshrrev_b16_e32 v252, 8, v57
	v_mov_b32_e32 v57, 0
	ds_read2_b32 v[138:139], v55 offset0:8 offset1:9
	ds_read2_b32 v[168:169], v55 offset0:10 offset1:11
	;; [unrolled: 1-line block ×4, first 2 shown]
	v_mov_b32_e32 v55, 0
	v_dot4c_i32_i8_e32 v69, v180, v12
	v_dot4c_i32_i8_e32 v254, v132, v12
	;; [unrolled: 1-line block ×3, first 2 shown]
	s_waitcnt lgkmcnt(7)
	v_dot4c_i32_i8_e32 v55, v128, v12
	v_dot4c_i32_i8_e32 v69, v181, v13
	;; [unrolled: 1-line block ×8, first 2 shown]
	s_waitcnt lgkmcnt(6)
	v_dot4c_i32_i8_e32 v55, v144, v14
	v_dot4c_i32_i8_e32 v69, v183, v15
	;; [unrolled: 1-line block ×8, first 2 shown]
	v_cvt_f32_ubyte0_e32 v134, v54
	v_cvt_f32_ubyte1_e32 v164, v54
	v_add3_u32 v54, s17, v244, v245
	s_waitcnt lgkmcnt(5)
	v_dot4c_i32_i8_e32 v55, v148, v8
	v_dot4c_i32_i8_e32 v69, v185, v9
	;; [unrolled: 1-line block ×5, first 2 shown]
	ds_read_u16 v8, v54
	ds_read_u16 v9, v54 offset:8
	ds_read2_b32 v[126:127], v75 offset0:8 offset1:9
	ds_read2_b32 v[120:121], v75 offset0:10 offset1:11
	ds_read2_b32 v[122:123], v75 offset0:12 offset1:13
	ds_read2_b32 v[124:125], v75 offset0:14 offset1:15
	v_mov_b32_e32 v71, 0
	v_mov_b32_e32 v73, 0
	;; [unrolled: 1-line block ×4, first 2 shown]
	v_dot4c_i32_i8_e32 v71, v162, v4
	v_dot4c_i32_i8_e32 v73, v140, v4
	s_waitcnt lgkmcnt(9)
	v_dot4c_i32_i8_e32 v77, v138, v4
	s_waitcnt lgkmcnt(3)
	v_dot4c_i32_i8_e32 v54, v126, v4
	v_dot4c_i32_i8_e32 v71, v163, v5
	;; [unrolled: 1-line block ×8, first 2 shown]
	s_waitcnt lgkmcnt(2)
	v_dot4c_i32_i8_e32 v54, v120, v6
	v_dot4c_i32_i8_e32 v71, v191, v7
	;; [unrolled: 1-line block ×8, first 2 shown]
	s_waitcnt lgkmcnt(1)
	v_dot4c_i32_i8_e32 v54, v122, v0
	v_dot4c_i32_i8_e32 v71, v193, v1
	;; [unrolled: 1-line block ×5, first 2 shown]
	v_or_b32_e32 v0, s5, v209
	v_dot4c_i32_i8_e32 v69, v186, v10
	v_dot4c_i32_i8_e32 v71, v194, v2
	v_dot4c_i32_i8_e32 v254, v160, v10
	v_dot4c_i32_i8_e32 v73, v178, v2
	v_dot4c_i32_i8_e32 v57, v158, v10
	v_dot4c_i32_i8_e32 v77, v176, v2
	v_dot4c_i32_i8_e32 v55, v154, v10
	s_waitcnt lgkmcnt(0)
	v_dot4c_i32_i8_e32 v54, v124, v2
	v_lshlrev_b32_e32 v1, 2, v0
	v_dot4c_i32_i8_e32 v69, v187, v11
	v_dot4c_i32_i8_e32 v71, v195, v3
	;; [unrolled: 1-line block ×7, first 2 shown]
	v_and_b32_e32 v247, 0xff, v8
	v_cvt_f32_ubyte0_e32 v118, v9
	v_dot4c_i32_i8_e32 v54, v125, v3
	v_lshrrev_b16_e32 v246, 8, v8
	v_cvt_f32_ubyte1_e32 v116, v9
	v_lshrrev_b32_e32 v75, 1, v0
	ds_read_b128 v[12:15], v1 offset:33280
	ds_read_b128 v[8:11], v1 offset:33296
	;; [unrolled: 1-line block ×4, first 2 shown]
	ds_read_b64 v[84:85], v75 offset:43584
	v_mov_b32_e32 v79, 0
	v_mov_b32_e32 v75, 0
	s_waitcnt lgkmcnt(2)
	v_dot4c_i32_i8_e32 v79, v162, v4
	v_dot4c_i32_i8_e32 v79, v163, v5
	;; [unrolled: 1-line block ×7, first 2 shown]
	s_waitcnt lgkmcnt(1)
	v_dot4c_i32_i8_e32 v79, v192, v0
	v_dot4c_i32_i8_e32 v75, v183, v15
	;; [unrolled: 1-line block ×5, first 2 shown]
	v_mul_lo_u32 v69, v69, v250
	v_dot4c_i32_i8_e32 v75, v185, v9
	v_dot4c_i32_i8_e32 v79, v195, v3
	s_waitcnt lgkmcnt(0)
	v_cvt_f32_f16_e32 v203, v84
	v_cvt_f32_f16_sdwa v205, v84 dst_sel:DWORD dst_unused:UNUSED_PAD src0_sel:WORD_1
	v_cvt_f32_i32_e32 v84, v69
	v_mul_lo_u32 v69, v71, v253
	v_dot4c_i32_i8_e32 v75, v186, v10
	v_cvt_f32_f16_e32 v202, v196
	v_cvt_f32_f16_sdwa v204, v196 dst_sel:DWORD dst_unused:UNUSED_PAD src0_sel:WORD_1
	v_mul_lo_u32 v71, v79, v253
	v_cvt_f32_i32_e32 v196, v69
	v_mov_b32_e32 v69, 0
	v_dot4c_i32_i8_e32 v75, v187, v11
	v_cvt_f32_f16_e32 v198, v197
	v_cvt_f32_f16_sdwa v200, v197 dst_sel:DWORD dst_unused:UNUSED_PAD src0_sel:WORD_1
	v_cvt_f32_i32_e32 v197, v71
	v_dot4c_i32_i8_e32 v69, v132, v12
	v_mov_b32_e32 v71, 0
	v_mul_lo_u32 v75, v75, v250
	v_dot4c_i32_i8_e32 v69, v133, v13
	v_dot4c_i32_i8_e32 v71, v140, v4
	v_cvt_f32_f16_e32 v199, v85
	v_cvt_f32_f16_sdwa v201, v85 dst_sel:DWORD dst_unused:UNUSED_PAD src0_sel:WORD_1
	v_cvt_f32_i32_e32 v85, v75
	v_dot4c_i32_i8_e32 v69, v150, v14
	v_dot4c_i32_i8_e32 v71, v141, v5
	;; [unrolled: 1-line block ×6, first 2 shown]
	v_pk_fma_f32 v[86:87], v[142:143], v[204:205], 0 op_sel_hi:[0,1,0]
	v_dot4c_i32_i8_e32 v69, v157, v9
	v_dot4c_i32_i8_e32 v71, v174, v0
	v_pk_fma_f32 v[84:85], v[202:203], v[84:85], 0 op_sel_hi:[1,1,0]
	v_pk_fma_f32 v[86:87], v[188:189], v[200:201], v[86:87] op_sel_hi:[0,1,1]
	v_dot4c_i32_i8_e32 v69, v160, v10
	v_dot4c_i32_i8_e32 v71, v175, v1
	v_pk_fma_f32 v[84:85], v[198:199], v[196:197], v[84:85]
	v_pk_mul_f32 v[86:87], v[86:87], v[102:103]
	v_dot4c_i32_i8_e32 v69, v161, v11
	v_dot4c_i32_i8_e32 v71, v178, v2
	v_pk_fma_f32 v[84:85], v[84:85], v[100:101], v[86:87] neg_lo:[0,0,1] neg_hi:[0,0,1]
	v_dot4c_i32_i8_e32 v71, v179, v3
	v_mul_lo_u32 v75, v254, v249
	v_mul_lo_u32 v69, v69, v249
	v_pk_add_f32 v[46:47], v[46:47], v[84:85]
	v_cvt_f32_i32_e32 v85, v69
	v_cvt_f32_i32_e32 v84, v75
	v_mul_lo_u32 v69, v73, v252
	v_mul_lo_u32 v71, v71, v252
	v_cvt_f32_i32_e32 v197, v71
	v_cvt_f32_i32_e32 v196, v69
	v_pk_fma_f32 v[86:87], v[136:137], v[204:205], 0 op_sel_hi:[0,1,0]
	v_pk_fma_f32 v[84:85], v[202:203], v[84:85], 0 op_sel_hi:[1,1,0]
	v_pk_fma_f32 v[86:87], v[166:167], v[200:201], v[86:87] op_sel_hi:[0,1,1]
	v_pk_fma_f32 v[84:85], v[198:199], v[196:197], v[84:85]
	v_pk_mul_f32 v[86:87], v[86:87], v[106:107]
	v_mul_lo_u32 v57, v57, v248
	v_pk_fma_f32 v[84:85], v[84:85], v[104:105], v[86:87] neg_lo:[0,0,1] neg_hi:[0,0,1]
	v_mov_b32_e32 v69, 0
	v_pk_add_f32 v[44:45], v[44:45], v[84:85]
	v_cvt_f32_i32_e32 v84, v57
	v_mul_lo_u32 v57, v77, v251
	v_cvt_f32_i32_e32 v196, v57
	v_mov_b32_e32 v57, 0
	v_dot4c_i32_i8_e32 v69, v130, v12
	v_dot4c_i32_i8_e32 v57, v128, v12
	;; [unrolled: 1-line block ×10, first 2 shown]
	v_mov_b32_e32 v8, 0
	v_dot4c_i32_i8_e32 v8, v126, v4
	v_mov_b32_e32 v71, 0
	v_dot4c_i32_i8_e32 v8, v127, v5
	v_dot4c_i32_i8_e32 v71, v138, v4
	;; [unrolled: 1-line block ×16, first 2 shown]
	v_mul_lo_u32 v0, v55, v247
	v_mul_lo_u32 v1, v57, v247
	v_dot4c_i32_i8_e32 v69, v153, v9
	v_cvt_f32_i32_e32 v1, v1
	v_cvt_f32_i32_e32 v0, v0
	v_mul_lo_u32 v4, v54, v246
	v_mul_lo_u32 v5, v8, v246
	v_dot4c_i32_i8_e32 v69, v158, v10
	v_cvt_f32_i32_e32 v5, v5
	v_cvt_f32_i32_e32 v4, v4
	v_dot4c_i32_i8_e32 v69, v159, v11
	v_dot4c_i32_i8_e32 v71, v176, v2
	;; [unrolled: 1-line block ×3, first 2 shown]
	v_pk_fma_f32 v[2:3], v[118:119], v[204:205], 0 op_sel_hi:[0,1,0]
	v_mul_lo_u32 v69, v69, v248
	v_cvt_f32_i32_e32 v85, v69
	v_mul_lo_u32 v69, v71, v251
	v_pk_fma_f32 v[0:1], v[202:203], v[0:1], 0 op_sel_hi:[1,1,0]
	v_pk_fma_f32 v[2:3], v[116:117], v[200:201], v[2:3] op_sel_hi:[0,1,1]
	v_cvt_f32_i32_e32 v197, v69
	v_pk_fma_f32 v[0:1], v[198:199], v[4:5], v[0:1]
	v_pk_mul_f32 v[2:3], v[2:3], v[114:115]
	v_pk_fma_f32 v[84:85], v[202:203], v[84:85], 0 op_sel_hi:[1,1,0]
	v_pk_fma_f32 v[0:1], v[0:1], v[112:113], v[2:3] neg_lo:[0,0,1] neg_hi:[0,0,1]
	v_pk_fma_f32 v[84:85], v[198:199], v[196:197], v[84:85]
	v_pk_add_f32 v[40:41], v[40:41], v[0:1]
	v_or_b32_e32 v0, s5, v212
	v_lshlrev_b32_e32 v1, 2, v0
	v_lshrrev_b32_e32 v54, 1, v0
	ds_read_b128 v[12:15], v1 offset:33280
	ds_read_b128 v[8:11], v1 offset:33296
	;; [unrolled: 1-line block ×4, first 2 shown]
	ds_read_b64 v[196:197], v54 offset:43584
	v_mov_b32_e32 v57, 0
	v_mov_b32_e32 v69, 0
	;; [unrolled: 1-line block ×8, first 2 shown]
	s_waitcnt lgkmcnt(4)
	v_dot4c_i32_i8_e32 v57, v180, v12
	s_waitcnt lgkmcnt(2)
	v_dot4c_i32_i8_e32 v69, v162, v4
	v_dot4c_i32_i8_e32 v71, v132, v12
	;; [unrolled: 1-line block ×31, first 2 shown]
	v_pk_fma_f32 v[86:87], v[134:135], v[204:205], 0 op_sel_hi:[0,1,0]
	v_dot4c_i32_i8_e32 v57, v184, v8
	s_waitcnt lgkmcnt(1)
	v_dot4c_i32_i8_e32 v69, v192, v0
	v_dot4c_i32_i8_e32 v71, v156, v8
	;; [unrolled: 1-line block ×7, first 2 shown]
	v_pk_fma_f32 v[86:87], v[164:165], v[200:201], v[86:87] op_sel_hi:[0,1,1]
	v_dot4c_i32_i8_e32 v57, v185, v9
	v_dot4c_i32_i8_e32 v69, v193, v1
	;; [unrolled: 1-line block ×8, first 2 shown]
	v_or_b32_e32 v0, s5, v215
	v_pk_mul_f32 v[86:87], v[86:87], v[110:111]
	v_dot4c_i32_i8_e32 v57, v186, v10
	v_dot4c_i32_i8_e32 v69, v194, v2
	;; [unrolled: 1-line block ×8, first 2 shown]
	v_lshlrev_b32_e32 v1, 2, v0
	v_lshrrev_b32_e32 v54, 1, v0
	v_pk_fma_f32 v[84:85], v[84:85], v[108:109], v[86:87] neg_lo:[0,0,1] neg_hi:[0,0,1]
	v_dot4c_i32_i8_e32 v57, v187, v11
	v_dot4c_i32_i8_e32 v69, v195, v3
	;; [unrolled: 1-line block ×8, first 2 shown]
	ds_read_b128 v[12:15], v1 offset:33280
	ds_read_b128 v[8:11], v1 offset:33296
	;; [unrolled: 1-line block ×4, first 2 shown]
	ds_read_b64 v[54:55], v54 offset:43584
	v_pk_add_f32 v[42:43], v[42:43], v[84:85]
	v_mov_b32_e32 v84, 0
	s_waitcnt lgkmcnt(4)
	v_dot4c_i32_i8_e32 v84, v180, v12
	v_mov_b32_e32 v86, 0
	v_dot4c_i32_i8_e32 v84, v181, v13
	s_waitcnt lgkmcnt(2)
	v_dot4c_i32_i8_e32 v86, v162, v4
	v_dot4c_i32_i8_e32 v84, v182, v14
	;; [unrolled: 1-line block ×8, first 2 shown]
	s_waitcnt lgkmcnt(1)
	v_dot4c_i32_i8_e32 v86, v192, v0
	v_dot4c_i32_i8_e32 v84, v186, v10
	;; [unrolled: 1-line block ×6, first 2 shown]
	s_waitcnt lgkmcnt(0)
	v_cvt_f32_f16_e32 v203, v54
	v_cvt_f32_f16_sdwa v205, v54 dst_sel:DWORD dst_unused:UNUSED_PAD src0_sel:WORD_1
	v_cvt_f32_f16_sdwa v204, v196 dst_sel:DWORD dst_unused:UNUSED_PAD src0_sel:WORD_1
	v_cvt_f32_f16_e32 v199, v55
	v_cvt_f32_f16_sdwa v201, v55 dst_sel:DWORD dst_unused:UNUSED_PAD src0_sel:WORD_1
	v_mul_lo_u32 v54, v57, v250
	v_mul_lo_u32 v55, v84, v250
	v_cvt_f32_f16_e32 v202, v196
	v_cvt_f32_f16_sdwa v200, v197 dst_sel:DWORD dst_unused:UNUSED_PAD src0_sel:WORD_1
	v_cvt_f32_i32_e32 v55, v55
	v_cvt_f32_i32_e32 v54, v54
	v_mul_lo_u32 v57, v69, v253
	v_mul_lo_u32 v69, v86, v253
	v_cvt_f32_f16_e32 v198, v197
	v_cvt_f32_i32_e32 v87, v69
	v_cvt_f32_i32_e32 v86, v57
	v_pk_fma_f32 v[84:85], v[142:143], v[204:205], 0 op_sel_hi:[0,1,0]
	v_pk_fma_f32 v[54:55], v[54:55], v[202:203], 0 op_sel_hi:[1,1,0]
	;; [unrolled: 1-line block ×3, first 2 shown]
	v_pk_fma_f32 v[54:55], v[86:87], v[198:199], v[54:55]
	v_pk_mul_f32 v[84:85], v[84:85], v[102:103]
	v_mov_b32_e32 v57, 0
	v_pk_fma_f32 v[54:55], v[54:55], v[100:101], v[84:85] neg_lo:[0,0,1] neg_hi:[0,0,1]
	v_dot4c_i32_i8_e32 v57, v140, v4
	v_pk_add_f32 v[38:39], v[38:39], v[54:55]
	v_mov_b32_e32 v54, 0
	v_dot4c_i32_i8_e32 v54, v132, v12
	v_dot4c_i32_i8_e32 v54, v133, v13
	;; [unrolled: 1-line block ×15, first 2 shown]
	v_mul_lo_u32 v69, v71, v249
	v_mul_lo_u32 v54, v54, v249
	v_cvt_f32_i32_e32 v55, v54
	v_cvt_f32_i32_e32 v54, v69
	v_mul_lo_u32 v69, v73, v252
	v_mul_lo_u32 v57, v57, v252
	v_cvt_f32_i32_e32 v87, v57
	v_cvt_f32_i32_e32 v86, v69
	v_pk_fma_f32 v[84:85], v[136:137], v[204:205], 0 op_sel_hi:[0,1,0]
	v_pk_fma_f32 v[54:55], v[54:55], v[202:203], 0 op_sel_hi:[1,1,0]
	;; [unrolled: 1-line block ×3, first 2 shown]
	v_pk_fma_f32 v[54:55], v[86:87], v[198:199], v[54:55]
	v_pk_mul_f32 v[84:85], v[84:85], v[106:107]
	v_mov_b32_e32 v57, 0
	v_pk_fma_f32 v[54:55], v[54:55], v[104:105], v[84:85] neg_lo:[0,0,1] neg_hi:[0,0,1]
	v_dot4c_i32_i8_e32 v57, v138, v4
	v_pk_add_f32 v[36:37], v[36:37], v[54:55]
	v_mov_b32_e32 v54, 0
	v_dot4c_i32_i8_e32 v54, v130, v12
	v_dot4c_i32_i8_e32 v54, v131, v13
	;; [unrolled: 1-line block ×15, first 2 shown]
	v_mul_lo_u32 v69, v75, v248
	v_mul_lo_u32 v54, v54, v248
	v_cvt_f32_i32_e32 v55, v54
	v_cvt_f32_i32_e32 v54, v69
	v_mul_lo_u32 v69, v77, v251
	v_mul_lo_u32 v57, v57, v251
	v_cvt_f32_i32_e32 v87, v57
	v_cvt_f32_i32_e32 v86, v69
	v_pk_fma_f32 v[84:85], v[134:135], v[204:205], 0 op_sel_hi:[0,1,0]
	v_pk_fma_f32 v[54:55], v[54:55], v[202:203], 0 op_sel_hi:[1,1,0]
	;; [unrolled: 1-line block ×3, first 2 shown]
	v_pk_fma_f32 v[54:55], v[86:87], v[198:199], v[54:55]
	v_pk_mul_f32 v[84:85], v[84:85], v[110:111]
	v_mov_b32_e32 v57, 0
	v_pk_fma_f32 v[54:55], v[54:55], v[108:109], v[84:85] neg_lo:[0,0,1] neg_hi:[0,0,1]
	v_mov_b32_e32 v69, 0
	v_pk_add_f32 v[34:35], v[34:35], v[54:55]
	v_mov_b32_e32 v54, 0
	v_dot4c_i32_i8_e32 v54, v128, v12
	v_dot4c_i32_i8_e32 v54, v129, v13
	;; [unrolled: 1-line block ×5, first 2 shown]
	v_mov_b32_e32 v8, 0
	v_dot4c_i32_i8_e32 v8, v126, v4
	v_dot4c_i32_i8_e32 v8, v127, v5
	v_dot4c_i32_i8_e32 v8, v120, v6
	v_dot4c_i32_i8_e32 v8, v121, v7
	v_dot4c_i32_i8_e32 v54, v149, v9
	v_dot4c_i32_i8_e32 v8, v122, v0
	v_dot4c_i32_i8_e32 v54, v154, v10
	v_dot4c_i32_i8_e32 v8, v123, v1
	v_dot4c_i32_i8_e32 v54, v155, v11
	v_dot4c_i32_i8_e32 v8, v124, v2
	v_dot4c_i32_i8_e32 v8, v125, v3
	v_mul_lo_u32 v0, v79, v247
	v_mul_lo_u32 v1, v54, v247
	v_cvt_f32_i32_e32 v1, v1
	v_cvt_f32_i32_e32 v0, v0
	v_mul_lo_u32 v4, v254, v246
	v_mul_lo_u32 v5, v8, v246
	v_cvt_f32_i32_e32 v5, v5
	v_cvt_f32_i32_e32 v4, v4
	v_pk_fma_f32 v[2:3], v[118:119], v[204:205], 0 op_sel_hi:[0,1,0]
	v_pk_fma_f32 v[0:1], v[0:1], v[202:203], 0 op_sel_hi:[1,1,0]
	;; [unrolled: 1-line block ×3, first 2 shown]
	v_pk_fma_f32 v[0:1], v[4:5], v[198:199], v[0:1]
	v_pk_mul_f32 v[2:3], v[2:3], v[114:115]
	v_mov_b32_e32 v71, 0
	v_pk_fma_f32 v[0:1], v[0:1], v[112:113], v[2:3] neg_lo:[0,0,1] neg_hi:[0,0,1]
	v_mov_b32_e32 v73, 0
	v_pk_add_f32 v[32:33], v[32:33], v[0:1]
	v_or_b32_e32 v0, s5, v218
	v_lshlrev_b32_e32 v1, 2, v0
	v_lshrrev_b32_e32 v54, 1, v0
	ds_read_b128 v[12:15], v1 offset:33280
	ds_read_b128 v[8:11], v1 offset:33296
	;; [unrolled: 1-line block ×4, first 2 shown]
	ds_read_b64 v[196:197], v54 offset:43584
	v_mov_b32_e32 v75, 0
	v_mov_b32_e32 v77, 0
	;; [unrolled: 1-line block ×4, first 2 shown]
	s_waitcnt lgkmcnt(4)
	v_dot4c_i32_i8_e32 v57, v180, v12
	s_waitcnt lgkmcnt(2)
	v_dot4c_i32_i8_e32 v69, v162, v4
	v_dot4c_i32_i8_e32 v71, v132, v12
	;; [unrolled: 1-line block ×32, first 2 shown]
	s_waitcnt lgkmcnt(1)
	v_dot4c_i32_i8_e32 v69, v192, v0
	v_dot4c_i32_i8_e32 v71, v156, v8
	v_dot4c_i32_i8_e32 v73, v174, v0
	v_dot4c_i32_i8_e32 v75, v152, v8
	v_dot4c_i32_i8_e32 v77, v172, v0
	v_dot4c_i32_i8_e32 v79, v148, v8
	v_dot4c_i32_i8_e32 v254, v122, v0
	v_dot4c_i32_i8_e32 v57, v185, v9
	v_dot4c_i32_i8_e32 v69, v193, v1
	v_dot4c_i32_i8_e32 v71, v157, v9
	v_dot4c_i32_i8_e32 v73, v175, v1
	v_dot4c_i32_i8_e32 v75, v153, v9
	v_dot4c_i32_i8_e32 v77, v173, v1
	v_dot4c_i32_i8_e32 v79, v149, v9
	v_dot4c_i32_i8_e32 v254, v123, v1
	v_or_b32_e32 v0, s5, v221
	v_dot4c_i32_i8_e32 v57, v186, v10
	v_dot4c_i32_i8_e32 v69, v194, v2
	;; [unrolled: 1-line block ×8, first 2 shown]
	v_lshlrev_b32_e32 v1, 2, v0
	v_lshrrev_b32_e32 v54, 1, v0
	v_dot4c_i32_i8_e32 v57, v187, v11
	v_dot4c_i32_i8_e32 v69, v195, v3
	;; [unrolled: 1-line block ×8, first 2 shown]
	ds_read_b128 v[12:15], v1 offset:33280
	ds_read_b128 v[8:11], v1 offset:33296
	;; [unrolled: 1-line block ×4, first 2 shown]
	ds_read_b64 v[54:55], v54 offset:43584
	v_mov_b32_e32 v84, 0
	s_waitcnt lgkmcnt(4)
	v_dot4c_i32_i8_e32 v84, v180, v12
	v_mov_b32_e32 v86, 0
	v_dot4c_i32_i8_e32 v84, v181, v13
	s_waitcnt lgkmcnt(2)
	v_dot4c_i32_i8_e32 v86, v162, v4
	v_dot4c_i32_i8_e32 v84, v182, v14
	;; [unrolled: 1-line block ×8, first 2 shown]
	s_waitcnt lgkmcnt(1)
	v_dot4c_i32_i8_e32 v86, v192, v0
	v_dot4c_i32_i8_e32 v84, v186, v10
	;; [unrolled: 1-line block ×6, first 2 shown]
	s_waitcnt lgkmcnt(0)
	v_cvt_f32_f16_e32 v203, v54
	v_cvt_f32_f16_sdwa v205, v54 dst_sel:DWORD dst_unused:UNUSED_PAD src0_sel:WORD_1
	v_cvt_f32_f16_sdwa v204, v196 dst_sel:DWORD dst_unused:UNUSED_PAD src0_sel:WORD_1
	v_cvt_f32_f16_e32 v199, v55
	v_cvt_f32_f16_sdwa v201, v55 dst_sel:DWORD dst_unused:UNUSED_PAD src0_sel:WORD_1
	v_mul_lo_u32 v54, v57, v250
	v_mul_lo_u32 v55, v84, v250
	v_cvt_f32_f16_e32 v202, v196
	v_cvt_f32_f16_sdwa v200, v197 dst_sel:DWORD dst_unused:UNUSED_PAD src0_sel:WORD_1
	v_cvt_f32_i32_e32 v55, v55
	v_cvt_f32_i32_e32 v54, v54
	v_mul_lo_u32 v57, v69, v253
	v_mul_lo_u32 v69, v86, v253
	v_cvt_f32_f16_e32 v198, v197
	v_cvt_f32_i32_e32 v87, v69
	v_cvt_f32_i32_e32 v86, v57
	v_pk_fma_f32 v[84:85], v[142:143], v[204:205], 0 op_sel_hi:[0,1,0]
	v_pk_fma_f32 v[54:55], v[54:55], v[202:203], 0 op_sel_hi:[1,1,0]
	;; [unrolled: 1-line block ×3, first 2 shown]
	v_pk_fma_f32 v[54:55], v[86:87], v[198:199], v[54:55]
	v_pk_mul_f32 v[84:85], v[84:85], v[102:103]
	v_mov_b32_e32 v57, 0
	v_pk_fma_f32 v[54:55], v[54:55], v[100:101], v[84:85] neg_lo:[0,0,1] neg_hi:[0,0,1]
	v_dot4c_i32_i8_e32 v57, v140, v4
	v_pk_add_f32 v[30:31], v[30:31], v[54:55]
	v_mov_b32_e32 v54, 0
	v_dot4c_i32_i8_e32 v54, v132, v12
	v_dot4c_i32_i8_e32 v54, v133, v13
	;; [unrolled: 1-line block ×15, first 2 shown]
	v_mul_lo_u32 v69, v71, v249
	v_mul_lo_u32 v54, v54, v249
	v_cvt_f32_i32_e32 v55, v54
	v_cvt_f32_i32_e32 v54, v69
	v_mul_lo_u32 v69, v73, v252
	v_mul_lo_u32 v57, v57, v252
	v_cvt_f32_i32_e32 v87, v57
	v_cvt_f32_i32_e32 v86, v69
	v_pk_fma_f32 v[84:85], v[136:137], v[204:205], 0 op_sel_hi:[0,1,0]
	v_pk_fma_f32 v[54:55], v[54:55], v[202:203], 0 op_sel_hi:[1,1,0]
	;; [unrolled: 1-line block ×3, first 2 shown]
	v_pk_fma_f32 v[54:55], v[86:87], v[198:199], v[54:55]
	v_pk_mul_f32 v[84:85], v[84:85], v[106:107]
	v_mov_b32_e32 v57, 0
	v_pk_fma_f32 v[54:55], v[54:55], v[104:105], v[84:85] neg_lo:[0,0,1] neg_hi:[0,0,1]
	v_dot4c_i32_i8_e32 v57, v138, v4
	v_pk_add_f32 v[28:29], v[28:29], v[54:55]
	v_mov_b32_e32 v54, 0
	v_dot4c_i32_i8_e32 v54, v130, v12
	v_dot4c_i32_i8_e32 v54, v131, v13
	;; [unrolled: 1-line block ×15, first 2 shown]
	v_mul_lo_u32 v69, v75, v248
	v_mul_lo_u32 v54, v54, v248
	v_cvt_f32_i32_e32 v55, v54
	v_cvt_f32_i32_e32 v54, v69
	v_mul_lo_u32 v69, v77, v251
	v_mul_lo_u32 v57, v57, v251
	v_cvt_f32_i32_e32 v87, v57
	v_cvt_f32_i32_e32 v86, v69
	v_pk_fma_f32 v[84:85], v[134:135], v[204:205], 0 op_sel_hi:[0,1,0]
	v_pk_fma_f32 v[54:55], v[54:55], v[202:203], 0 op_sel_hi:[1,1,0]
	;; [unrolled: 1-line block ×3, first 2 shown]
	v_pk_fma_f32 v[54:55], v[86:87], v[198:199], v[54:55]
	v_pk_mul_f32 v[84:85], v[84:85], v[110:111]
	v_mov_b32_e32 v57, 0
	v_pk_fma_f32 v[54:55], v[54:55], v[108:109], v[84:85] neg_lo:[0,0,1] neg_hi:[0,0,1]
	v_mov_b32_e32 v69, 0
	v_pk_add_f32 v[26:27], v[26:27], v[54:55]
	v_mov_b32_e32 v54, 0
	v_dot4c_i32_i8_e32 v54, v128, v12
	v_dot4c_i32_i8_e32 v54, v129, v13
	;; [unrolled: 1-line block ×5, first 2 shown]
	v_mov_b32_e32 v8, 0
	v_dot4c_i32_i8_e32 v8, v126, v4
	v_dot4c_i32_i8_e32 v8, v127, v5
	;; [unrolled: 1-line block ×11, first 2 shown]
	v_mul_lo_u32 v0, v79, v247
	v_mul_lo_u32 v1, v54, v247
	v_cvt_f32_i32_e32 v1, v1
	v_cvt_f32_i32_e32 v0, v0
	v_mul_lo_u32 v4, v254, v246
	v_mul_lo_u32 v5, v8, v246
	v_cvt_f32_i32_e32 v5, v5
	v_cvt_f32_i32_e32 v4, v4
	v_pk_fma_f32 v[2:3], v[118:119], v[204:205], 0 op_sel_hi:[0,1,0]
	v_pk_fma_f32 v[0:1], v[0:1], v[202:203], 0 op_sel_hi:[1,1,0]
	;; [unrolled: 1-line block ×3, first 2 shown]
	v_pk_fma_f32 v[0:1], v[4:5], v[198:199], v[0:1]
	v_pk_mul_f32 v[2:3], v[2:3], v[114:115]
	v_mov_b32_e32 v71, 0
	v_pk_fma_f32 v[0:1], v[0:1], v[112:113], v[2:3] neg_lo:[0,0,1] neg_hi:[0,0,1]
	v_mov_b32_e32 v73, 0
	v_pk_add_f32 v[24:25], v[24:25], v[0:1]
	v_or_b32_e32 v0, s5, v224
	v_lshlrev_b32_e32 v1, 2, v0
	v_lshrrev_b32_e32 v54, 1, v0
	ds_read_b128 v[12:15], v1 offset:33280
	ds_read_b128 v[8:11], v1 offset:33296
	;; [unrolled: 1-line block ×4, first 2 shown]
	ds_read_b64 v[196:197], v54 offset:43584
	v_mov_b32_e32 v75, 0
	v_mov_b32_e32 v77, 0
	;; [unrolled: 1-line block ×4, first 2 shown]
	s_waitcnt lgkmcnt(4)
	v_dot4c_i32_i8_e32 v57, v180, v12
	s_waitcnt lgkmcnt(2)
	v_dot4c_i32_i8_e32 v69, v162, v4
	v_dot4c_i32_i8_e32 v71, v132, v12
	;; [unrolled: 1-line block ×32, first 2 shown]
	s_waitcnt lgkmcnt(1)
	v_dot4c_i32_i8_e32 v69, v192, v0
	v_dot4c_i32_i8_e32 v71, v156, v8
	;; [unrolled: 1-line block ×15, first 2 shown]
	v_or_b32_e32 v0, s5, v227
	v_dot4c_i32_i8_e32 v57, v186, v10
	v_dot4c_i32_i8_e32 v69, v194, v2
	;; [unrolled: 1-line block ×8, first 2 shown]
	v_lshlrev_b32_e32 v1, 2, v0
	v_lshrrev_b32_e32 v54, 1, v0
	v_dot4c_i32_i8_e32 v57, v187, v11
	v_dot4c_i32_i8_e32 v69, v195, v3
	;; [unrolled: 1-line block ×8, first 2 shown]
	ds_read_b128 v[12:15], v1 offset:33280
	ds_read_b128 v[8:11], v1 offset:33296
	;; [unrolled: 1-line block ×4, first 2 shown]
	ds_read_b64 v[54:55], v54 offset:43584
	v_mov_b32_e32 v79, 0
	s_waitcnt lgkmcnt(4)
	v_dot4c_i32_i8_e32 v79, v180, v12
	v_mov_b32_e32 v86, 0
	v_dot4c_i32_i8_e32 v79, v181, v13
	s_waitcnt lgkmcnt(2)
	v_dot4c_i32_i8_e32 v86, v162, v4
	v_dot4c_i32_i8_e32 v79, v182, v14
	;; [unrolled: 1-line block ×8, first 2 shown]
	s_waitcnt lgkmcnt(1)
	v_dot4c_i32_i8_e32 v86, v192, v0
	v_dot4c_i32_i8_e32 v79, v186, v10
	;; [unrolled: 1-line block ×6, first 2 shown]
	s_waitcnt lgkmcnt(0)
	v_cvt_f32_f16_e32 v185, v54
	v_cvt_f32_f16_sdwa v183, v54 dst_sel:DWORD dst_unused:UNUSED_PAD src0_sel:WORD_1
	v_cvt_f32_f16_sdwa v182, v196 dst_sel:DWORD dst_unused:UNUSED_PAD src0_sel:WORD_1
	v_cvt_f32_f16_e32 v181, v55
	v_cvt_f32_f16_sdwa v163, v55 dst_sel:DWORD dst_unused:UNUSED_PAD src0_sel:WORD_1
	v_mul_lo_u32 v54, v57, v250
	v_mul_lo_u32 v55, v79, v250
	v_cvt_f32_f16_e32 v184, v196
	v_cvt_f32_f16_sdwa v162, v197 dst_sel:DWORD dst_unused:UNUSED_PAD src0_sel:WORD_1
	v_cvt_f32_i32_e32 v55, v55
	v_cvt_f32_i32_e32 v54, v54
	v_mul_lo_u32 v57, v69, v253
	v_mul_lo_u32 v69, v86, v253
	v_cvt_f32_f16_e32 v180, v197
	v_cvt_f32_i32_e32 v87, v69
	v_cvt_f32_i32_e32 v86, v57
	v_pk_fma_f32 v[84:85], v[142:143], v[182:183], 0 op_sel_hi:[0,1,0]
	v_pk_fma_f32 v[54:55], v[54:55], v[184:185], 0 op_sel_hi:[1,1,0]
	;; [unrolled: 1-line block ×3, first 2 shown]
	v_pk_fma_f32 v[54:55], v[86:87], v[180:181], v[54:55]
	v_pk_mul_f32 v[84:85], v[84:85], v[102:103]
	v_mov_b32_e32 v57, 0
	v_pk_fma_f32 v[54:55], v[54:55], v[100:101], v[84:85] neg_lo:[0,0,1] neg_hi:[0,0,1]
	v_dot4c_i32_i8_e32 v57, v140, v4
	v_pk_add_f32 v[22:23], v[22:23], v[54:55]
	v_mov_b32_e32 v54, 0
	v_dot4c_i32_i8_e32 v54, v132, v12
	v_dot4c_i32_i8_e32 v54, v133, v13
	v_dot4c_i32_i8_e32 v54, v150, v14
	v_dot4c_i32_i8_e32 v57, v141, v5
	v_dot4c_i32_i8_e32 v54, v151, v15
	v_dot4c_i32_i8_e32 v57, v170, v6
	v_dot4c_i32_i8_e32 v54, v156, v8
	v_dot4c_i32_i8_e32 v57, v171, v7
	v_dot4c_i32_i8_e32 v54, v157, v9
	v_dot4c_i32_i8_e32 v57, v174, v0
	v_dot4c_i32_i8_e32 v54, v160, v10
	v_dot4c_i32_i8_e32 v57, v175, v1
	v_dot4c_i32_i8_e32 v54, v161, v11
	v_dot4c_i32_i8_e32 v57, v178, v2
	v_dot4c_i32_i8_e32 v57, v179, v3
	v_mul_lo_u32 v69, v71, v249
	v_mul_lo_u32 v54, v54, v249
	v_cvt_f32_i32_e32 v55, v54
	v_cvt_f32_i32_e32 v54, v69
	v_mul_lo_u32 v69, v73, v252
	v_mul_lo_u32 v57, v57, v252
	v_cvt_f32_i32_e32 v87, v57
	v_cvt_f32_i32_e32 v86, v69
	v_pk_fma_f32 v[84:85], v[136:137], v[182:183], 0 op_sel_hi:[0,1,0]
	v_pk_fma_f32 v[54:55], v[54:55], v[184:185], 0 op_sel_hi:[1,1,0]
	;; [unrolled: 1-line block ×3, first 2 shown]
	v_pk_fma_f32 v[54:55], v[86:87], v[180:181], v[54:55]
	v_pk_mul_f32 v[84:85], v[84:85], v[106:107]
	v_mov_b32_e32 v57, 0
	v_pk_fma_f32 v[54:55], v[54:55], v[104:105], v[84:85] neg_lo:[0,0,1] neg_hi:[0,0,1]
	v_dot4c_i32_i8_e32 v57, v138, v4
	v_pk_add_f32 v[20:21], v[20:21], v[54:55]
	v_mov_b32_e32 v54, 0
	v_dot4c_i32_i8_e32 v54, v130, v12
	v_mov_b32_e32 v130, 0
	v_dot4c_i32_i8_e32 v130, v128, v12
	v_dot4c_i32_i8_e32 v54, v131, v13
	;; [unrolled: 1-line block ×9, first 2 shown]
	v_mov_b32_e32 v8, 0
	v_dot4c_i32_i8_e32 v8, v126, v4
	v_dot4c_i32_i8_e32 v57, v139, v5
	;; [unrolled: 1-line block ×20, first 2 shown]
	v_mul_lo_u32 v69, v75, v248
	v_mul_lo_u32 v54, v54, v248
	v_dot4c_i32_i8_e32 v8, v125, v3
	v_mul_lo_u32 v0, v199, v247
	v_mul_lo_u32 v1, v130, v247
	v_cvt_f32_i32_e32 v55, v54
	v_cvt_f32_i32_e32 v54, v69
	v_mul_lo_u32 v69, v77, v251
	v_mul_lo_u32 v57, v57, v251
	v_cvt_f32_i32_e32 v1, v1
	v_cvt_f32_i32_e32 v0, v0
	;; [unrolled: 4-line block ×3, first 2 shown]
	v_cvt_f32_i32_e32 v5, v5
	v_cvt_f32_i32_e32 v4, v4
	v_pk_fma_f32 v[84:85], v[134:135], v[182:183], 0 op_sel_hi:[0,1,0]
	v_pk_fma_f32 v[2:3], v[118:119], v[182:183], 0 op_sel_hi:[0,1,0]
	;; [unrolled: 1-line block ×6, first 2 shown]
	v_pk_fma_f32 v[54:55], v[86:87], v[180:181], v[54:55]
	v_pk_mul_f32 v[84:85], v[84:85], v[110:111]
	v_pk_fma_f32 v[0:1], v[4:5], v[180:181], v[0:1]
	v_pk_mul_f32 v[2:3], v[2:3], v[114:115]
	v_pk_fma_f32 v[54:55], v[54:55], v[108:109], v[84:85] neg_lo:[0,0,1] neg_hi:[0,0,1]
	v_pk_fma_f32 v[0:1], v[0:1], v[112:113], v[2:3] neg_lo:[0,0,1] neg_hi:[0,0,1]
	s_add_i32 s5, s4, 8
	v_pk_add_f32 v[18:19], v[18:19], v[54:55]
	v_pk_add_f32 v[16:17], v[16:17], v[0:1]
	s_cmp_lt_u32 s4, 24
	s_mov_b32 s4, s5
	s_cbranch_scc1 .LBB153_8
; %bb.9:                                ;   in Loop: Header=BB153_5 Depth=1
	s_add_i32 s0, s0, 1
	s_cmp_eq_u32 s0, s7
	s_barrier
	s_cbranch_scc0 .LBB153_5
; %bb.10:
	scratch_load_dword v1, off, off offset:24 ; 4-byte Folded Reload
	scratch_load_dword v2, off, off offset:28 ; 4-byte Folded Reload
.LBB153_11:
	s_waitcnt vmcnt(0)
	v_cmp_gt_u32_e32 vcc, s8, v2
	s_and_saveexec_b64 s[0:1], vcc
	s_cbranch_execz .LBB153_62
; %bb.12:
	v_add_u32_e32 v0, s6, v49
	v_mul_lo_u32 v5, v2, s10
	v_cmp_gt_u32_e32 vcc, s10, v0
	s_and_saveexec_b64 s[0:1], vcc
	s_cbranch_execz .LBB153_14
; %bb.13:
	v_cvt_f16_f32_e32 v4, v46
	v_add_u32_e32 v2, v0, v5
	v_mov_b32_e32 v3, 0
	s_waitcnt lgkmcnt(0)
	v_lshl_add_u64 v[2:3], v[2:3], 1, s[12:13]
	global_store_short v[2:3], v4, off
.LBB153_14:
	s_or_b64 exec, exec, s[0:1]
	v_add_u32_e32 v2, 32, v0
	v_cmp_gt_u32_e64 s[0:1], s10, v2
	s_and_saveexec_b64 s[2:3], s[0:1]
	s_cbranch_execz .LBB153_16
; %bb.15:
	v_cvt_f16_f32_e32 v3, v44
	v_add_u32_e32 v6, v2, v5
	v_mov_b32_e32 v7, 0
	s_waitcnt lgkmcnt(0)
	v_lshl_add_u64 v[6:7], v[6:7], 1, s[12:13]
	global_store_short v[6:7], v3, off
.LBB153_16:
	s_or_b64 exec, exec, s[2:3]
	v_add_u32_e32 v3, 64, v0
	v_cmp_gt_u32_e64 s[2:3], s10, v3
	s_and_saveexec_b64 s[4:5], s[2:3]
	;; [unrolled: 13-line block ×3, first 2 shown]
	s_cbranch_execz .LBB153_20
; %bb.19:
	v_cvt_f16_f32_e32 v8, v40
	v_add_u32_e32 v6, v4, v5
	v_mov_b32_e32 v7, 0
	s_waitcnt lgkmcnt(0)
	v_lshl_add_u64 v[6:7], v[6:7], 1, s[12:13]
	global_store_short v[6:7], v8, off
.LBB153_20:
	s_or_b64 exec, exec, s[6:7]
	v_add3_u32 v5, v1, s11, 8
	v_cmp_gt_u32_e64 s[6:7], s8, v5
	s_and_b64 exec, exec, s[6:7]
	s_cbranch_execz .LBB153_62
; %bb.21:
	v_mul_lo_u32 v5, v5, s10
	s_and_saveexec_b64 s[6:7], vcc
	s_cbranch_execnz .LBB153_63
; %bb.22:
	s_or_b64 exec, exec, s[6:7]
	s_and_saveexec_b64 s[6:7], s[0:1]
	s_cbranch_execnz .LBB153_64
.LBB153_23:
	s_or_b64 exec, exec, s[6:7]
	s_and_saveexec_b64 s[6:7], s[2:3]
	s_cbranch_execnz .LBB153_65
.LBB153_24:
	s_or_b64 exec, exec, s[6:7]
	s_and_saveexec_b64 s[6:7], s[4:5]
	s_cbranch_execz .LBB153_26
.LBB153_25:
	v_cvt_f16_f32_e32 v8, v41
	v_add_u32_e32 v6, v5, v4
	v_mov_b32_e32 v7, 0
	s_waitcnt lgkmcnt(0)
	v_lshl_add_u64 v[6:7], v[6:7], 1, s[12:13]
	global_store_short v[6:7], v8, off
.LBB153_26:
	s_or_b64 exec, exec, s[6:7]
	v_add3_u32 v5, v1, s11, 16
	v_cmp_gt_u32_e64 s[6:7], s8, v5
	s_and_b64 exec, exec, s[6:7]
	s_cbranch_execz .LBB153_62
; %bb.27:
	v_mul_lo_u32 v5, v5, s10
	s_and_saveexec_b64 s[6:7], vcc
	s_cbranch_execnz .LBB153_66
; %bb.28:
	s_or_b64 exec, exec, s[6:7]
	s_and_saveexec_b64 s[6:7], s[0:1]
	s_cbranch_execnz .LBB153_67
.LBB153_29:
	s_or_b64 exec, exec, s[6:7]
	s_and_saveexec_b64 s[6:7], s[2:3]
	s_cbranch_execnz .LBB153_68
.LBB153_30:
	s_or_b64 exec, exec, s[6:7]
	s_and_saveexec_b64 s[6:7], s[4:5]
	s_cbranch_execz .LBB153_32
.LBB153_31:
	v_cvt_f16_f32_e32 v8, v32
	v_add_u32_e32 v6, v5, v4
	v_mov_b32_e32 v7, 0
	s_waitcnt lgkmcnt(0)
	v_lshl_add_u64 v[6:7], v[6:7], 1, s[12:13]
	global_store_short v[6:7], v8, off
.LBB153_32:
	s_or_b64 exec, exec, s[6:7]
	v_add3_u32 v5, v1, s11, 24
	v_cmp_gt_u32_e64 s[6:7], s8, v5
	s_and_b64 exec, exec, s[6:7]
	s_cbranch_execz .LBB153_62
; %bb.33:
	v_mul_lo_u32 v5, v5, s10
	s_and_saveexec_b64 s[6:7], vcc
	s_cbranch_execnz .LBB153_69
; %bb.34:
	s_or_b64 exec, exec, s[6:7]
	s_and_saveexec_b64 s[6:7], s[0:1]
	s_cbranch_execnz .LBB153_70
.LBB153_35:
	s_or_b64 exec, exec, s[6:7]
	s_and_saveexec_b64 s[6:7], s[2:3]
	s_cbranch_execnz .LBB153_71
.LBB153_36:
	s_or_b64 exec, exec, s[6:7]
	s_and_saveexec_b64 s[6:7], s[4:5]
	s_cbranch_execz .LBB153_38
.LBB153_37:
	v_cvt_f16_f32_e32 v8, v33
	v_add_u32_e32 v6, v5, v4
	v_mov_b32_e32 v7, 0
	s_waitcnt lgkmcnt(0)
	v_lshl_add_u64 v[6:7], v[6:7], 1, s[12:13]
	global_store_short v[6:7], v8, off
.LBB153_38:
	s_or_b64 exec, exec, s[6:7]
	v_add3_u32 v5, v1, s11, 32
	v_cmp_gt_u32_e64 s[6:7], s8, v5
	s_and_b64 exec, exec, s[6:7]
	s_cbranch_execz .LBB153_62
; %bb.39:
	v_mul_lo_u32 v5, v5, s10
	s_and_saveexec_b64 s[6:7], vcc
	s_cbranch_execnz .LBB153_72
; %bb.40:
	s_or_b64 exec, exec, s[6:7]
	s_and_saveexec_b64 s[6:7], s[0:1]
	s_cbranch_execnz .LBB153_73
.LBB153_41:
	s_or_b64 exec, exec, s[6:7]
	s_and_saveexec_b64 s[6:7], s[2:3]
	s_cbranch_execnz .LBB153_74
.LBB153_42:
	s_or_b64 exec, exec, s[6:7]
	s_and_saveexec_b64 s[6:7], s[4:5]
	s_cbranch_execz .LBB153_44
.LBB153_43:
	v_cvt_f16_f32_e32 v8, v24
	v_add_u32_e32 v6, v5, v4
	v_mov_b32_e32 v7, 0
	s_waitcnt lgkmcnt(0)
	v_lshl_add_u64 v[6:7], v[6:7], 1, s[12:13]
	global_store_short v[6:7], v8, off
.LBB153_44:
	s_or_b64 exec, exec, s[6:7]
	v_add3_u32 v5, v1, s11, 40
	v_cmp_gt_u32_e64 s[6:7], s8, v5
	s_and_b64 exec, exec, s[6:7]
	s_cbranch_execz .LBB153_62
; %bb.45:
	v_mul_lo_u32 v5, v5, s10
	s_and_saveexec_b64 s[6:7], vcc
	s_cbranch_execnz .LBB153_75
; %bb.46:
	s_or_b64 exec, exec, s[6:7]
	s_and_saveexec_b64 s[6:7], s[0:1]
	s_cbranch_execnz .LBB153_76
.LBB153_47:
	s_or_b64 exec, exec, s[6:7]
	s_and_saveexec_b64 s[6:7], s[2:3]
	s_cbranch_execnz .LBB153_77
.LBB153_48:
	s_or_b64 exec, exec, s[6:7]
	s_and_saveexec_b64 s[6:7], s[4:5]
	s_cbranch_execz .LBB153_50
.LBB153_49:
	v_cvt_f16_f32_e32 v8, v25
	v_add_u32_e32 v6, v5, v4
	v_mov_b32_e32 v7, 0
	s_waitcnt lgkmcnt(0)
	v_lshl_add_u64 v[6:7], v[6:7], 1, s[12:13]
	global_store_short v[6:7], v8, off
.LBB153_50:
	s_or_b64 exec, exec, s[6:7]
	v_add3_u32 v5, v1, s11, 48
	v_cmp_gt_u32_e64 s[6:7], s8, v5
	s_and_b64 exec, exec, s[6:7]
	s_cbranch_execz .LBB153_62
; %bb.51:
	v_mul_lo_u32 v5, v5, s10
	s_and_saveexec_b64 s[6:7], vcc
	s_cbranch_execnz .LBB153_78
; %bb.52:
	s_or_b64 exec, exec, s[6:7]
	s_and_saveexec_b64 s[6:7], s[0:1]
	s_cbranch_execnz .LBB153_79
.LBB153_53:
	s_or_b64 exec, exec, s[6:7]
	s_and_saveexec_b64 s[6:7], s[2:3]
	s_cbranch_execnz .LBB153_80
.LBB153_54:
	s_or_b64 exec, exec, s[6:7]
	s_and_saveexec_b64 s[6:7], s[4:5]
	s_cbranch_execz .LBB153_56
.LBB153_55:
	v_cvt_f16_f32_e32 v8, v16
	v_add_u32_e32 v6, v5, v4
	v_mov_b32_e32 v7, 0
	s_waitcnt lgkmcnt(0)
	v_lshl_add_u64 v[6:7], v[6:7], 1, s[12:13]
	global_store_short v[6:7], v8, off
.LBB153_56:
	s_or_b64 exec, exec, s[6:7]
	v_add3_u32 v1, v1, s11, 56
	v_cmp_gt_u32_e64 s[6:7], s8, v1
	s_and_b64 exec, exec, s[6:7]
	s_cbranch_execz .LBB153_62
; %bb.57:
	v_mul_lo_u32 v1, v1, s10
	s_and_saveexec_b64 s[6:7], vcc
	s_cbranch_execnz .LBB153_81
; %bb.58:
	s_or_b64 exec, exec, s[6:7]
	s_and_saveexec_b64 s[6:7], s[0:1]
	s_cbranch_execnz .LBB153_82
.LBB153_59:
	s_or_b64 exec, exec, s[6:7]
	s_and_saveexec_b64 s[0:1], s[2:3]
	s_cbranch_execnz .LBB153_83
.LBB153_60:
	s_or_b64 exec, exec, s[0:1]
	s_and_b64 exec, exec, s[4:5]
	s_cbranch_execz .LBB153_62
.LBB153_61:
	v_cvt_f16_f32_e32 v2, v17
	v_add_u32_e32 v0, v1, v4
	v_mov_b32_e32 v1, 0
	s_waitcnt lgkmcnt(0)
	v_lshl_add_u64 v[0:1], v[0:1], 1, s[12:13]
	global_store_short v[0:1], v2, off
.LBB153_62:
	s_endpgm
.LBB153_63:
	v_cvt_f16_f32_e32 v8, v47
	v_add_u32_e32 v6, v5, v0
	v_mov_b32_e32 v7, 0
	s_waitcnt lgkmcnt(0)
	v_lshl_add_u64 v[6:7], v[6:7], 1, s[12:13]
	global_store_short v[6:7], v8, off
	s_or_b64 exec, exec, s[6:7]
	s_and_saveexec_b64 s[6:7], s[0:1]
	s_cbranch_execz .LBB153_23
.LBB153_64:
	v_cvt_f16_f32_e32 v8, v45
	v_add_u32_e32 v6, v5, v2
	v_mov_b32_e32 v7, 0
	s_waitcnt lgkmcnt(0)
	v_lshl_add_u64 v[6:7], v[6:7], 1, s[12:13]
	global_store_short v[6:7], v8, off
	s_or_b64 exec, exec, s[6:7]
	s_and_saveexec_b64 s[6:7], s[2:3]
	s_cbranch_execz .LBB153_24
.LBB153_65:
	v_cvt_f16_f32_e32 v8, v43
	v_add_u32_e32 v6, v5, v3
	v_mov_b32_e32 v7, 0
	s_waitcnt lgkmcnt(0)
	v_lshl_add_u64 v[6:7], v[6:7], 1, s[12:13]
	global_store_short v[6:7], v8, off
	s_or_b64 exec, exec, s[6:7]
	s_and_saveexec_b64 s[6:7], s[4:5]
	s_cbranch_execnz .LBB153_25
	s_branch .LBB153_26
.LBB153_66:
	v_cvt_f16_f32_e32 v8, v38
	v_add_u32_e32 v6, v5, v0
	v_mov_b32_e32 v7, 0
	s_waitcnt lgkmcnt(0)
	v_lshl_add_u64 v[6:7], v[6:7], 1, s[12:13]
	global_store_short v[6:7], v8, off
	s_or_b64 exec, exec, s[6:7]
	s_and_saveexec_b64 s[6:7], s[0:1]
	s_cbranch_execz .LBB153_29
.LBB153_67:
	v_cvt_f16_f32_e32 v8, v36
	v_add_u32_e32 v6, v5, v2
	v_mov_b32_e32 v7, 0
	s_waitcnt lgkmcnt(0)
	v_lshl_add_u64 v[6:7], v[6:7], 1, s[12:13]
	global_store_short v[6:7], v8, off
	s_or_b64 exec, exec, s[6:7]
	s_and_saveexec_b64 s[6:7], s[2:3]
	s_cbranch_execz .LBB153_30
.LBB153_68:
	v_cvt_f16_f32_e32 v8, v34
	v_add_u32_e32 v6, v5, v3
	v_mov_b32_e32 v7, 0
	s_waitcnt lgkmcnt(0)
	v_lshl_add_u64 v[6:7], v[6:7], 1, s[12:13]
	global_store_short v[6:7], v8, off
	s_or_b64 exec, exec, s[6:7]
	s_and_saveexec_b64 s[6:7], s[4:5]
	s_cbranch_execnz .LBB153_31
	s_branch .LBB153_32
.LBB153_69:
	v_cvt_f16_f32_e32 v8, v39
	v_add_u32_e32 v6, v5, v0
	v_mov_b32_e32 v7, 0
	s_waitcnt lgkmcnt(0)
	v_lshl_add_u64 v[6:7], v[6:7], 1, s[12:13]
	global_store_short v[6:7], v8, off
	s_or_b64 exec, exec, s[6:7]
	s_and_saveexec_b64 s[6:7], s[0:1]
	s_cbranch_execz .LBB153_35
.LBB153_70:
	v_cvt_f16_f32_e32 v8, v37
	v_add_u32_e32 v6, v5, v2
	v_mov_b32_e32 v7, 0
	s_waitcnt lgkmcnt(0)
	v_lshl_add_u64 v[6:7], v[6:7], 1, s[12:13]
	global_store_short v[6:7], v8, off
	s_or_b64 exec, exec, s[6:7]
	s_and_saveexec_b64 s[6:7], s[2:3]
	s_cbranch_execz .LBB153_36
.LBB153_71:
	v_cvt_f16_f32_e32 v8, v35
	v_add_u32_e32 v6, v5, v3
	v_mov_b32_e32 v7, 0
	s_waitcnt lgkmcnt(0)
	v_lshl_add_u64 v[6:7], v[6:7], 1, s[12:13]
	global_store_short v[6:7], v8, off
	s_or_b64 exec, exec, s[6:7]
	s_and_saveexec_b64 s[6:7], s[4:5]
	s_cbranch_execnz .LBB153_37
	s_branch .LBB153_38
.LBB153_72:
	v_cvt_f16_f32_e32 v8, v30
	v_add_u32_e32 v6, v5, v0
	v_mov_b32_e32 v7, 0
	s_waitcnt lgkmcnt(0)
	v_lshl_add_u64 v[6:7], v[6:7], 1, s[12:13]
	global_store_short v[6:7], v8, off
	s_or_b64 exec, exec, s[6:7]
	s_and_saveexec_b64 s[6:7], s[0:1]
	s_cbranch_execz .LBB153_41
.LBB153_73:
	v_cvt_f16_f32_e32 v8, v28
	v_add_u32_e32 v6, v5, v2
	v_mov_b32_e32 v7, 0
	s_waitcnt lgkmcnt(0)
	v_lshl_add_u64 v[6:7], v[6:7], 1, s[12:13]
	global_store_short v[6:7], v8, off
	s_or_b64 exec, exec, s[6:7]
	s_and_saveexec_b64 s[6:7], s[2:3]
	s_cbranch_execz .LBB153_42
.LBB153_74:
	v_cvt_f16_f32_e32 v8, v26
	v_add_u32_e32 v6, v5, v3
	v_mov_b32_e32 v7, 0
	s_waitcnt lgkmcnt(0)
	v_lshl_add_u64 v[6:7], v[6:7], 1, s[12:13]
	global_store_short v[6:7], v8, off
	s_or_b64 exec, exec, s[6:7]
	s_and_saveexec_b64 s[6:7], s[4:5]
	s_cbranch_execnz .LBB153_43
	s_branch .LBB153_44
.LBB153_75:
	v_cvt_f16_f32_e32 v8, v31
	v_add_u32_e32 v6, v5, v0
	v_mov_b32_e32 v7, 0
	s_waitcnt lgkmcnt(0)
	v_lshl_add_u64 v[6:7], v[6:7], 1, s[12:13]
	global_store_short v[6:7], v8, off
	s_or_b64 exec, exec, s[6:7]
	s_and_saveexec_b64 s[6:7], s[0:1]
	s_cbranch_execz .LBB153_47
.LBB153_76:
	v_cvt_f16_f32_e32 v8, v29
	v_add_u32_e32 v6, v5, v2
	v_mov_b32_e32 v7, 0
	s_waitcnt lgkmcnt(0)
	v_lshl_add_u64 v[6:7], v[6:7], 1, s[12:13]
	global_store_short v[6:7], v8, off
	s_or_b64 exec, exec, s[6:7]
	s_and_saveexec_b64 s[6:7], s[2:3]
	s_cbranch_execz .LBB153_48
.LBB153_77:
	v_cvt_f16_f32_e32 v8, v27
	v_add_u32_e32 v6, v5, v3
	v_mov_b32_e32 v7, 0
	s_waitcnt lgkmcnt(0)
	v_lshl_add_u64 v[6:7], v[6:7], 1, s[12:13]
	global_store_short v[6:7], v8, off
	s_or_b64 exec, exec, s[6:7]
	s_and_saveexec_b64 s[6:7], s[4:5]
	s_cbranch_execnz .LBB153_49
	s_branch .LBB153_50
.LBB153_78:
	v_cvt_f16_f32_e32 v8, v22
	v_add_u32_e32 v6, v5, v0
	v_mov_b32_e32 v7, 0
	s_waitcnt lgkmcnt(0)
	v_lshl_add_u64 v[6:7], v[6:7], 1, s[12:13]
	global_store_short v[6:7], v8, off
	s_or_b64 exec, exec, s[6:7]
	s_and_saveexec_b64 s[6:7], s[0:1]
	s_cbranch_execz .LBB153_53
.LBB153_79:
	v_cvt_f16_f32_e32 v8, v20
	v_add_u32_e32 v6, v5, v2
	v_mov_b32_e32 v7, 0
	s_waitcnt lgkmcnt(0)
	v_lshl_add_u64 v[6:7], v[6:7], 1, s[12:13]
	global_store_short v[6:7], v8, off
	s_or_b64 exec, exec, s[6:7]
	s_and_saveexec_b64 s[6:7], s[2:3]
	s_cbranch_execz .LBB153_54
.LBB153_80:
	v_cvt_f16_f32_e32 v8, v18
	v_add_u32_e32 v6, v5, v3
	v_mov_b32_e32 v7, 0
	s_waitcnt lgkmcnt(0)
	v_lshl_add_u64 v[6:7], v[6:7], 1, s[12:13]
	global_store_short v[6:7], v8, off
	s_or_b64 exec, exec, s[6:7]
	s_and_saveexec_b64 s[6:7], s[4:5]
	s_cbranch_execnz .LBB153_55
	s_branch .LBB153_56
.LBB153_81:
	v_cvt_f16_f32_e32 v5, v23
	v_add_u32_e32 v6, v1, v0
	v_mov_b32_e32 v7, 0
	s_waitcnt lgkmcnt(0)
	v_lshl_add_u64 v[6:7], v[6:7], 1, s[12:13]
	global_store_short v[6:7], v5, off
	s_or_b64 exec, exec, s[6:7]
	s_and_saveexec_b64 s[6:7], s[0:1]
	s_cbranch_execz .LBB153_59
.LBB153_82:
	v_cvt_f16_f32_e32 v0, v21
	v_add_u32_e32 v6, v1, v2
	v_mov_b32_e32 v7, 0
	s_waitcnt lgkmcnt(0)
	v_lshl_add_u64 v[6:7], v[6:7], 1, s[12:13]
	global_store_short v[6:7], v0, off
	s_or_b64 exec, exec, s[6:7]
	s_and_saveexec_b64 s[0:1], s[2:3]
	s_cbranch_execz .LBB153_60
.LBB153_83:
	v_cvt_f16_f32_e32 v0, v19
	v_add_u32_e32 v2, v1, v3
	v_mov_b32_e32 v3, 0
	s_waitcnt lgkmcnt(0)
	v_lshl_add_u64 v[2:3], v[2:3], 1, s[12:13]
	global_store_short v[2:3], v0, off
	s_or_b64 exec, exec, s[0:1]
	s_and_b64 exec, exec, s[4:5]
	s_cbranch_execnz .LBB153_61
	s_branch .LBB153_62
	.section	.rodata,"a",@progbits
	.p2align	6, 0x0
	.amdhsa_kernel _ZL12mul_mat_q5_KIN3c104HalfELb0EEvPKvS3_PT_iiiii
		.amdhsa_group_segment_fixed_size 45136
		.amdhsa_private_segment_fixed_size 36
		.amdhsa_kernarg_size 44
		.amdhsa_user_sgpr_count 2
		.amdhsa_user_sgpr_dispatch_ptr 0
		.amdhsa_user_sgpr_queue_ptr 0
		.amdhsa_user_sgpr_kernarg_segment_ptr 1
		.amdhsa_user_sgpr_dispatch_id 0
		.amdhsa_user_sgpr_kernarg_preload_length 0
		.amdhsa_user_sgpr_kernarg_preload_offset 0
		.amdhsa_user_sgpr_private_segment_size 0
		.amdhsa_uses_dynamic_stack 0
		.amdhsa_enable_private_segment 1
		.amdhsa_system_sgpr_workgroup_id_x 1
		.amdhsa_system_sgpr_workgroup_id_y 1
		.amdhsa_system_sgpr_workgroup_id_z 0
		.amdhsa_system_sgpr_workgroup_info 0
		.amdhsa_system_vgpr_workitem_id 1
		.amdhsa_next_free_vgpr 256
		.amdhsa_next_free_sgpr 21
		.amdhsa_accum_offset 256
		.amdhsa_reserve_vcc 1
		.amdhsa_float_round_mode_32 0
		.amdhsa_float_round_mode_16_64 0
		.amdhsa_float_denorm_mode_32 3
		.amdhsa_float_denorm_mode_16_64 3
		.amdhsa_dx10_clamp 1
		.amdhsa_ieee_mode 1
		.amdhsa_fp16_overflow 0
		.amdhsa_tg_split 0
		.amdhsa_exception_fp_ieee_invalid_op 0
		.amdhsa_exception_fp_denorm_src 0
		.amdhsa_exception_fp_ieee_div_zero 0
		.amdhsa_exception_fp_ieee_overflow 0
		.amdhsa_exception_fp_ieee_underflow 0
		.amdhsa_exception_fp_ieee_inexact 0
		.amdhsa_exception_int_div_zero 0
	.end_amdhsa_kernel
	.section	.text._ZL12mul_mat_q5_KIN3c104HalfELb0EEvPKvS3_PT_iiiii,"axG",@progbits,_ZL12mul_mat_q5_KIN3c104HalfELb0EEvPKvS3_PT_iiiii,comdat
.Lfunc_end153:
	.size	_ZL12mul_mat_q5_KIN3c104HalfELb0EEvPKvS3_PT_iiiii, .Lfunc_end153-_ZL12mul_mat_q5_KIN3c104HalfELb0EEvPKvS3_PT_iiiii
                                        ; -- End function
	.section	.AMDGPU.csdata,"",@progbits
; Kernel info:
; codeLenInByte = 16884
; NumSgprs: 27
; NumVgprs: 256
; NumAgprs: 0
; TotalNumVgprs: 256
; ScratchSize: 36
; MemoryBound: 0
; FloatMode: 240
; IeeeMode: 1
; LDSByteSize: 45136 bytes/workgroup (compile time only)
; SGPRBlocks: 3
; VGPRBlocks: 31
; NumSGPRsForWavesPerEU: 27
; NumVGPRsForWavesPerEU: 256
; AccumOffset: 256
; Occupancy: 1
; WaveLimiterHint : 0
; COMPUTE_PGM_RSRC2:SCRATCH_EN: 1
; COMPUTE_PGM_RSRC2:USER_SGPR: 2
; COMPUTE_PGM_RSRC2:TRAP_HANDLER: 0
; COMPUTE_PGM_RSRC2:TGID_X_EN: 1
; COMPUTE_PGM_RSRC2:TGID_Y_EN: 1
; COMPUTE_PGM_RSRC2:TGID_Z_EN: 0
; COMPUTE_PGM_RSRC2:TIDIG_COMP_CNT: 1
; COMPUTE_PGM_RSRC3_GFX90A:ACCUM_OFFSET: 63
; COMPUTE_PGM_RSRC3_GFX90A:TG_SPLIT: 0
	.section	.text._ZL12mul_mat_q5_KIN3c104HalfELb1EEvPKvS3_PT_iiiii,"axG",@progbits,_ZL12mul_mat_q5_KIN3c104HalfELb1EEvPKvS3_PT_iiiii,comdat
	.globl	_ZL12mul_mat_q5_KIN3c104HalfELb1EEvPKvS3_PT_iiiii ; -- Begin function _ZL12mul_mat_q5_KIN3c104HalfELb1EEvPKvS3_PT_iiiii
	.p2align	8
	.type	_ZL12mul_mat_q5_KIN3c104HalfELb1EEvPKvS3_PT_iiiii,@function
_ZL12mul_mat_q5_KIN3c104HalfELb1EEvPKvS3_PT_iiiii: ; @_ZL12mul_mat_q5_KIN3c104HalfELb1EEvPKvS3_PT_iiiii
; %bb.0:
	s_load_dwordx4 s[8:11], s[0:1], 0x18
	s_load_dword s14, s[0:1], 0x28
	s_lshl_b32 s15, s3, 6
	v_bfe_u32 v42, v0, 10, 10
	s_waitcnt lgkmcnt(0)
	s_cmpk_gt_i32 s8, 0xff
	s_cbranch_scc1 .LBB154_2
; %bb.1:
	v_bfe_u32 v1, v0, 10, 10
	v_and_b32_e32 v74, 0x3ff, v0
	v_add_u32_e32 v2, s15, v1
	s_mov_b64 s[4:5], 0
	s_mov_b32 s3, 0
	s_branch .LBB154_3
.LBB154_2:
	s_mov_b64 s[4:5], -1
                                        ; implicit-def: $sgpr3
                                        ; implicit-def: $vgpr1
                                        ; implicit-def: $vgpr74
                                        ; implicit-def: $vgpr2
.LBB154_3:
	s_load_dwordx2 s[12:13], s[0:1], 0x10
	s_lshl_b32 s6, s2, 7
	s_andn2_b64 vcc, exec, s[4:5]
	v_mov_b32_e32 v17, s3
	v_mov_b32_e32 v16, s3
	;; [unrolled: 1-line block ×32, first 2 shown]
	s_cbranch_vccnz .LBB154_11
; %bb.4:
	s_ashr_i32 s4, s8, 31
	s_lshr_b32 s4, s4, 24
	s_load_dwordx4 s[0:3], s[0:1], 0x0
	s_add_i32 s4, s8, s4
	s_ashr_i32 s7, s4, 8
	s_ashr_i32 s4, s11, 31
	s_lshr_b32 s4, s4, 27
	s_add_i32 s4, s11, s4
	s_mul_i32 s5, s7, s6
	s_ashr_i32 s4, s4, 5
	s_mul_hi_i32 s16, s5, 0xb0
	s_mulk_i32 s5, 0xb0
	s_waitcnt lgkmcnt(0)
	s_add_u32 s11, s0, s5
	v_and_b32_e32 v74, 0x3ff, v0
	s_addc_u32 s16, s1, s16
	s_not_b32 s0, s6
	v_lshlrev_b32_e32 v0, 1, v74
	v_and_b32_e32 v2, 7, v74
	s_add_i32 s5, s0, s9
	v_and_or_b32 v0, v0, 48, v2
	v_lshrrev_b32_e32 v1, 2, v74
	v_min_i32_e32 v2, s5, v42
	v_lshlrev_b32_e32 v0, 2, v0
	s_movk_i32 s1, 0x104
	v_add_u32_e32 v3, 8, v42
	v_mul_lo_u32 v4, v2, s7
	v_mad_u64_u32 v[52:53], s[18:19], v2, s1, v[0:1]
	v_min_i32_e32 v2, s5, v3
	scratch_store_dwordx2 off, v[4:5], off  ; 8-byte Folded Spill
	v_mul_lo_u32 v4, v2, s7
	scratch_store_dwordx2 off, v[4:5], off offset:8 ; 8-byte Folded Spill
	v_add_u32_e32 v5, 16, v42
	v_mad_u64_u32 v[58:59], s[18:19], v2, s1, v[0:1]
	v_min_i32_e32 v2, s5, v5
	v_add_u32_e32 v8, 24, v42
	v_mul_lo_u32 v4, v2, s7
	v_mad_u64_u32 v[62:63], s[18:19], v2, s1, v[0:1]
	v_min_i32_e32 v2, s5, v8
	v_add_u32_e32 v9, 32, v42
	scratch_store_dwordx2 off, v[4:5], off offset:16 ; 8-byte Folded Spill
	v_mul_lo_u32 v4, v2, s7
	v_mad_u64_u32 v[68:69], s[18:19], v2, s1, v[0:1]
	v_min_i32_e32 v2, s5, v9
	v_add_u32_e32 v10, 40, v42
	scratch_store_dwordx2 off, v[4:5], off offset:24 ; 8-byte Folded Spill
	;; [unrolled: 5-line block ×4, first 2 shown]
	v_mul_lo_u32 v4, v2, s7
	v_mad_u64_u32 v[80:81], s[18:19], v2, s1, v[0:1]
	v_min_i32_e32 v2, s5, v12
	scratch_store_dwordx2 off, v[4:5], off offset:48 ; 8-byte Folded Spill
	v_mul_lo_u32 v4, v2, s7
	v_mad_u64_u32 v[84:85], s[18:19], v2, s1, v[0:1]
	v_add_u32_e32 v2, 64, v42
	v_min_i32_e32 v2, s5, v2
	scratch_store_dwordx2 off, v[4:5], off offset:56 ; 8-byte Folded Spill
	v_mul_lo_u32 v4, v2, s7
	v_mad_u64_u32 v[88:89], s[18:19], v2, s1, v[0:1]
	v_add_u32_e32 v2, 0x48, v42
	;; [unrolled: 5-line block ×6, first 2 shown]
	v_min_i32_e32 v2, s5, v2
	v_mul_lo_u32 v106, v2, s7
	v_mad_u64_u32 v[108:109], s[18:19], v2, s1, v[0:1]
	v_add_u32_e32 v2, 0x70, v42
	v_min_i32_e32 v2, s5, v2
	v_mul_lo_u32 v110, v2, s7
	v_mad_u64_u32 v[112:113], s[18:19], v2, s1, v[0:1]
	v_add_u32_e32 v2, 0x78, v42
	v_min_i32_e32 v2, s5, v2
	v_lshlrev_b32_e32 v59, 5, v42
	v_mad_u64_u32 v[116:117], s[18:19], v2, s1, v[0:1]
	v_add_u32_e32 v0, v59, v74
	v_and_b32_e32 v0, 0x7f, v0
	v_min_i32_e32 v0, s5, v0
	v_mul_lo_u32 v114, v2, s7
	v_ashrrev_i32_e32 v2, 31, v0
	v_lshrrev_b32_e32 v2, 27, v2
	v_add_u32_e32 v2, v0, v2
	v_ashrrev_i32_e32 v2, 5, v2
	v_mul_lo_u32 v118, v0, s7
	v_lshlrev_b32_e32 v2, 2, v2
	v_lshlrev_b32_e32 v0, 2, v0
	s_mov_b32 s9, 0xae40
	v_add3_u32 v63, v2, v0, s9
	v_and_b32_e32 v0, 3, v74
	v_add_u32_e32 v2, 0xfe, v0
	v_cmp_gt_u32_e32 vcc, 2, v0
	v_and_b32_e32 v61, 6, v1
	v_lshl_add_u32 v1, v42, 3, v1
	v_cndmask_b32_e32 v2, v2, v0, vcc
	v_and_b32_e32 v6, 0xff, v2
	v_cmp_ne_u32_e32 vcc, 0, v0
	v_lshlrev_b32_e32 v79, 1, v6
	v_lshlrev_b32_e32 v14, 2, v0
	v_addc_co_u32_e32 v2, vcc, 0, v6, vcc
	v_and_b32_e32 v6, 0x7f, v1
	v_min_i32_e32 v7, s5, v6
	v_ashrrev_i32_e32 v13, 31, v7
	v_xor_b32_e32 v6, 64, v6
	v_lshrrev_b32_e32 v13, 29, v13
	v_min_i32_e32 v6, s5, v6
	v_mul_lo_u32 v120, v7, s7
	v_add_u32_e32 v13, v7, v13
	v_lshlrev_b32_e32 v15, 4, v7
	v_ashrrev_i32_e32 v7, 31, v6
	v_lshrrev_b32_e32 v7, 29, v7
	v_and_b32_e32 v1, 63, v1
	v_add_u32_e32 v7, v6, v7
	s_add_i32 s5, s10, -1
	v_or_b32_e32 v19, s15, v1
	v_ashrrev_i32_e32 v7, 3, v7
	v_min_i32_e32 v19, s5, v19
	v_cmp_lt_u32_e32 vcc, 1, v0
	s_mov_b32 s17, 0xa200
	v_lshlrev_b32_e32 v7, 2, v7
	v_add_u32_e32 v21, s15, v42
	v_mad_u64_u32 v[126:127], s[18:19], v19, s4, v[0:1]
	v_lshl_or_b32 v0, v1, 4, v14
	v_mul_lo_u32 v122, v6, s7
	v_add3_u32 v16, v7, v14, s17
	v_lshlrev_b32_e32 v17, 4, v6
	v_cvt_f64_i32_e32 v[6:7], s5
	v_add_u32_e32 v73, 0xaa40, v0
	v_cvt_f64_u32_e32 v[0:1], v21
	v_ashrrev_i32_e32 v13, 3, v13
	v_min_f64 v[0:1], v[0:1], v[6:7]
	v_lshlrev_b32_e32 v13, 2, v13
	v_and_b32_e32 v18, 31, v74
	v_cvt_i32_f64_e32 v0, v[0:1]
	v_add3_u32 v13, v13, v14, s17
	v_mul_lo_u32 v77, s4, v0
	v_or_b32_e32 v0, v59, v18
	v_mov_b32_e32 v14, 0x8200
	v_lshl_add_u32 v102, v0, 2, v14
	v_add_u32_e32 v0, 8, v21
	v_cvt_f64_u32_e32 v[0:1], v0
	v_min_f64 v[0:1], v[0:1], v[6:7]
	v_cvt_i32_f64_e32 v0, v[0:1]
	v_lshlrev_b32_e32 v83, 5, v3
	v_mul_lo_u32 v81, s4, v0
	v_or_b32_e32 v0, v83, v18
	v_lshl_add_u32 v85, v0, 2, v14
	v_add_u32_e32 v0, 16, v21
	v_cvt_f64_u32_e32 v[0:1], v0
	v_min_f64 v[0:1], v[0:1], v[6:7]
	v_cvt_i32_f64_e32 v0, v[0:1]
	v_lshlrev_b32_e32 v89, 5, v5
	v_mul_lo_u32 v87, s4, v0
	v_or_b32_e32 v0, v89, v18
	;; [unrolled: 8-line block ×6, first 2 shown]
	v_lshl_add_u32 v115, v0, 2, v14
	v_add_u32_e32 v0, 56, v21
	v_cvt_f64_u32_e32 v[0:1], v0
	v_min_f64 v[0:1], v[0:1], v[6:7]
	v_cvt_i32_f64_e32 v0, v[0:1]
	v_lshlrev_b32_e32 v119, 5, v12
	v_lshrrev_b32_e32 v22, 5, v74
	v_mul_lo_u32 v117, s4, v0
	v_or_b32_e32 v0, v119, v18
	v_lshlrev_b32_e32 v57, 2, v74
	v_lshl_add_u32 v121, v0, 2, v14
	v_lshlrev_b32_e32 v0, 2, v22
	v_add3_u32 v123, v0, v57, s9
	v_add_u32_e32 v0, 32, v74
	v_lshrrev_b32_e32 v127, 3, v0
	v_lshlrev_b32_e32 v1, 2, v0
	v_and_b32_e32 v0, 60, v127
	v_add3_u32 v149, v57, v0, s9
	v_add_u32_e32 v0, 64, v74
	v_lshrrev_b32_e32 v151, 3, v0
	v_lshlrev_b32_e32 v3, 2, v0
	v_and_b32_e32 v0, 60, v151
	v_add3_u32 v197, v57, v0, s9
	v_add_u32_e32 v0, 0x60, v74
	v_lshrrev_b32_e32 v221, 3, v0
	scratch_store_dwordx2 off, v[4:5], off offset:96 ; 8-byte Folded Spill
	v_lshlrev_b32_e32 v5, 2, v0
	v_and_b32_e32 v0, 60, v221
	v_add3_u32 v238, v57, v0, s9
	v_mov_b32_e32 v0, 0x2080
	v_mad_u32_u24 v240, v74, s1, v0
	v_mov_b32_e32 v0, 0x4100
	s_mov_b32 s0, 0
	v_mad_u32_u24 v241, v74, s1, v0
	v_mov_b32_e32 v0, 0x6180
	v_mov_b32_e32 v45, 0
	v_and_b32_e32 v4, 4, v57
	v_mad_u32_u24 v242, v74, s1, v0
	s_mov_b32 s1, s0
	v_and_b32_e32 v48, 28, v57
	v_mov_b32_e32 v49, v45
	v_cndmask_b32_e32 v69, 0, v4, vcc
	v_cndmask_b32_e64 v4, 0, 1, vcc
	v_mov_b64_e32 v[64:65], s[0:1]
	s_movk_i32 s8, 0xb0
	v_and_b32_e32 v44, 0x7c, v57
	v_or_b32_e32 v67, 1, v61
	v_lshl_add_u64 v[124:125], s[2:3], 0, v[48:49]
	v_lshrrev_b32_e32 v75, 3, v74
	scratch_store_dword off, v21, off offset:108 ; 4-byte Folded Spill
	v_mov_b32_e32 v78, v22
	v_mul_u32_u24_e32 v239, 0x104, v74
	s_mov_b32 s1, 0x10101010
	v_lshlrev_b32_e32 v128, 2, v2
	v_lshlrev_b32_e32 v130, 2, v4
	s_mov_b32 s9, 0x30303030
	v_add_u32_e32 v243, v13, v15
	v_add_u32_e32 v244, v16, v17
	v_mov_b32_e32 v129, v45
	v_mov_b32_e32 v131, v45
	v_lshlrev_b32_e32 v245, 2, v1
	v_lshlrev_b32_e32 v246, 2, v3
	;; [unrolled: 1-line block ×3, first 2 shown]
	v_mov_b64_e32 v[38:39], v[64:65]
	v_mov_b64_e32 v[30:31], v[64:65]
	;; [unrolled: 1-line block ×15, first 2 shown]
	scratch_store_dword off, v42, off offset:104 ; 4-byte Folded Spill
.LBB154_5:                              ; =>This Loop Header: Depth=1
                                        ;     Child Loop BB154_6 Depth 2
                                        ;     Child Loop BB154_8 Depth 2
	scratch_load_dwordx2 v[4:5], off, off   ; 8-byte Folded Reload
	scratch_load_dwordx2 v[8:9], off, off offset:8 ; 8-byte Folded Reload
	s_mul_i32 s4, s0, 0xb0
	s_mul_hi_u32 s5, s0, 0xb0
	s_add_u32 s4, s11, s4
	s_addc_u32 s5, s16, s5
	v_mov_b64_e32 v[0:1], s[4:5]
	v_mad_u64_u32 v[2:3], s[4:5], v78, s8, v[0:1]
	s_lshl_b32 s17, s0, 3
	v_add_u32_e32 v161, s17, v126
	s_mov_b32 s19, 0
	s_waitcnt vmcnt(1)
	v_mad_i64_i32 v[4:5], s[4:5], v4, s8, v[2:3]
	v_lshl_add_u64 v[6:7], v[4:5], 0, v[44:45]
	v_lshl_add_u64 v[4:5], v[4:5], 0, v[48:49]
	s_waitcnt vmcnt(0)
	v_mad_i64_i32 v[8:9], s[4:5], v8, s8, v[2:3]
	v_lshl_add_u64 v[10:11], v[8:9], 0, v[44:45]
	global_load_dword v12, v[6:7], off offset:48
	global_load_dword v13, v[4:5], off offset:16
	;; [unrolled: 1-line block ×3, first 2 shown]
	s_nop 0
	scratch_load_dwordx2 v[4:5], off, off offset:16 ; 8-byte Folded Reload
	v_lshl_add_u64 v[6:7], v[8:9], 0, v[48:49]
	global_load_dword v15, v[6:7], off offset:16
	s_waitcnt vmcnt(3)
	v_ashrrev_i32_e32 v135, v61, v13
	v_and_b32_e32 v134, 0xf0f0f0f, v12
	s_waitcnt vmcnt(1)
	v_mad_i64_i32 v[4:5], s[4:5], v4, s8, v[2:3]
	v_lshl_add_u64 v[6:7], v[4:5], 0, v[44:45]
	v_lshl_add_u64 v[4:5], v[4:5], 0, v[48:49]
	global_load_dword v42, v[6:7], off offset:48
	global_load_dword v43, v[4:5], off offset:16
	s_nop 0
	scratch_load_dwordx2 v[4:5], off, off offset:24 ; 8-byte Folded Reload
	v_lshrrev_b32_e32 v12, 4, v12
	v_ashrrev_i32_e32 v13, v67, v13
	v_and_b32_e32 v136, 0xf0f0f0f, v14
	v_lshrrev_b32_e32 v14, 4, v14
	s_waitcnt vmcnt(3)
	v_ashrrev_i32_e32 v137, v61, v15
	v_ashrrev_i32_e32 v15, v67, v15
	v_and_b32_e32 v12, 0xf0f0f0f, v12
	v_lshlrev_b32_e32 v135, 4, v135
	v_lshlrev_b32_e32 v13, 4, v13
	v_and_b32_e32 v14, 0xf0f0f0f, v14
	v_lshlrev_b32_e32 v137, 4, v137
	s_waitcnt vmcnt(1)
	v_ashrrev_i32_e32 v139, v61, v43
	s_waitcnt vmcnt(0)
	v_mad_i64_i32 v[4:5], s[4:5], v4, s8, v[2:3]
	v_lshl_add_u64 v[6:7], v[4:5], 0, v[44:45]
	v_lshl_add_u64 v[4:5], v[4:5], 0, v[48:49]
	global_load_dword v50, v[6:7], off offset:48
	global_load_dword v51, v[4:5], off offset:16
	s_nop 0
	scratch_load_dwordx2 v[4:5], off, off offset:32 ; 8-byte Folded Reload
	v_and_b32_e32 v138, 0xf0f0f0f, v42
	v_lshrrev_b32_e32 v42, 4, v42
	v_ashrrev_i32_e32 v43, v67, v43
	s_waitcnt vmcnt(0)
	v_mad_i64_i32 v[4:5], s[4:5], v4, s8, v[2:3]
	v_lshl_add_u64 v[6:7], v[4:5], 0, v[44:45]
	v_lshl_add_u64 v[4:5], v[4:5], 0, v[48:49]
	global_load_dword v53, v[6:7], off offset:48
	global_load_dword v56, v[4:5], off offset:16
	s_nop 0
	scratch_load_dwordx2 v[4:5], off, off offset:40 ; 8-byte Folded Reload
	s_waitcnt vmcnt(0)
	v_mad_i64_i32 v[4:5], s[4:5], v4, s8, v[2:3]
	v_lshl_add_u64 v[6:7], v[4:5], 0, v[44:45]
	v_lshl_add_u64 v[4:5], v[4:5], 0, v[48:49]
	global_load_dword v60, v[6:7], off offset:48
	global_load_dword v66, v[4:5], off offset:16
	s_nop 0
	scratch_load_dwordx2 v[4:5], off, off offset:48 ; 8-byte Folded Reload
	s_waitcnt vmcnt(0)
	v_mad_i64_i32 v[4:5], s[4:5], v4, s8, v[2:3]
	v_lshl_add_u64 v[6:7], v[4:5], 0, v[44:45]
	global_load_dword v70, v[6:7], off offset:48
	s_nop 0
	scratch_load_dwordx2 v[6:7], off, off offset:56 ; 8-byte Folded Reload
	v_lshl_add_u64 v[4:5], v[4:5], 0, v[48:49]
	global_load_dword v71, v[4:5], off offset:16
	s_nop 0
	scratch_load_dwordx2 v[4:5], off, off offset:64 ; 8-byte Folded Reload
	scratch_load_dwordx2 v[8:9], off, off offset:72 ; 8-byte Folded Reload
	s_waitcnt vmcnt(3)
	v_mad_i64_i32 v[6:7], s[4:5], v6, s8, v[2:3]
	v_lshl_add_u64 v[10:11], v[6:7], 0, v[44:45]
	v_lshl_add_u64 v[6:7], v[6:7], 0, v[48:49]
	global_load_dword v132, v[10:11], off offset:48
	global_load_dword v133, v[6:7], off offset:16
	s_waitcnt vmcnt(3)
	v_mad_i64_i32 v[4:5], s[4:5], v4, s8, v[2:3]
	v_lshl_add_u64 v[10:11], v[4:5], 0, v[44:45]
	v_lshl_add_u64 v[4:5], v[4:5], 0, v[48:49]
	s_waitcnt vmcnt(2)
	v_mad_i64_i32 v[8:9], s[4:5], v8, s8, v[2:3]
	global_load_dword v140, v[10:11], off offset:48
	v_lshlrev_b32_e32 v10, 4, v15
	global_load_dword v15, v[4:5], off offset:16
	v_and_or_b32 v4, v135, s1, v134
	v_and_or_b32 v5, v13, s1, v12
	v_lshl_add_u64 v[6:7], v[8:9], 0, v[44:45]
	v_and_or_b32 v12, v137, s1, v136
	v_and_or_b32 v10, v10, s1, v14
	ds_write2_b32 v52, v4, v5 offset1:8
	v_lshl_add_u64 v[4:5], v[8:9], 0, v[48:49]
	v_and_b32_e32 v11, 0xf0f0f0f, v42
	v_lshlrev_b32_e32 v42, 4, v139
	global_load_dword v13, v[6:7], off offset:48
	ds_write2_b32 v58, v12, v10 offset1:8
	global_load_dword v12, v[4:5], off offset:16
	v_lshlrev_b32_e32 v4, 4, v43
	v_and_or_b32 v5, v42, s1, v138
	v_and_or_b32 v4, v4, s1, v11
	ds_write2_b32 v62, v5, v4 offset1:8
	v_lshrrev_b32_e32 v5, 4, v50
	v_ashrrev_i32_e32 v6, v61, v51
	v_ashrrev_i32_e32 v7, v67, v51
	v_and_b32_e32 v4, 0xf0f0f0f, v50
	v_and_b32_e32 v5, 0xf0f0f0f, v5
	v_lshlrev_b32_e32 v6, 4, v6
	v_lshlrev_b32_e32 v7, 4, v7
	v_and_or_b32 v4, v6, s1, v4
	v_and_or_b32 v5, v7, s1, v5
	ds_write2_b32 v68, v4, v5 offset1:8
	v_lshrrev_b32_e32 v5, 4, v53
	v_ashrrev_i32_e32 v6, v61, v56
	v_ashrrev_i32_e32 v7, v67, v56
	v_and_b32_e32 v4, 0xf0f0f0f, v53
	v_and_b32_e32 v5, 0xf0f0f0f, v5
	v_lshlrev_b32_e32 v6, 4, v6
	;; [unrolled: 10-line block ×4, first 2 shown]
	v_lshlrev_b32_e32 v7, 4, v7
	v_and_or_b32 v4, v6, s1, v4
	v_and_or_b32 v5, v7, s1, v5
	ds_write2_b32 v80, v4, v5 offset1:8
	scratch_load_dwordx2 v[8:9], off, off offset:88 ; 8-byte Folded Reload
	s_waitcnt vmcnt(6)
	v_lshrrev_b32_e32 v5, 4, v132
	s_waitcnt vmcnt(5)
	v_ashrrev_i32_e32 v6, v61, v133
	v_ashrrev_i32_e32 v7, v67, v133
	v_and_b32_e32 v4, 0xf0f0f0f, v132
	v_and_b32_e32 v5, 0xf0f0f0f, v5
	v_lshlrev_b32_e32 v6, 4, v6
	v_lshlrev_b32_e32 v7, 4, v7
	v_and_or_b32 v4, v6, s1, v4
	v_and_or_b32 v5, v7, s1, v5
	ds_write2_b32 v84, v4, v5 offset1:8
	scratch_load_dwordx2 v[4:5], off, off offset:80 ; 8-byte Folded Reload
	s_waitcnt vmcnt(1)
	v_mad_i64_i32 v[8:9], s[4:5], v8, s8, v[2:3]
	v_lshl_add_u64 v[10:11], v[8:9], 0, v[44:45]
	v_lshl_add_u64 v[8:9], v[8:9], 0, v[48:49]
	s_waitcnt vmcnt(0)
	v_mad_i64_i32 v[4:5], s[4:5], v4, s8, v[2:3]
	v_lshl_add_u64 v[6:7], v[4:5], 0, v[44:45]
	v_lshl_add_u64 v[4:5], v[4:5], 0, v[48:49]
	global_load_dword v42, v[6:7], off offset:48
	global_load_dword v43, v[4:5], off offset:16
	;; [unrolled: 1-line block ×4, first 2 shown]
	v_lshrrev_b32_e32 v5, 4, v140
	v_ashrrev_i32_e32 v6, v61, v15
	v_ashrrev_i32_e32 v7, v67, v15
	v_and_b32_e32 v4, 0xf0f0f0f, v140
	v_and_b32_e32 v5, 0xf0f0f0f, v5
	v_lshlrev_b32_e32 v6, 4, v6
	v_lshlrev_b32_e32 v7, 4, v7
	v_and_or_b32 v4, v6, s1, v4
	v_and_or_b32 v5, v7, s1, v5
	ds_write2_b32 v88, v4, v5 offset1:8
	v_lshrrev_b32_e32 v5, 4, v13
	v_ashrrev_i32_e32 v6, v61, v12
	v_ashrrev_i32_e32 v7, v67, v12
	v_and_b32_e32 v4, 0xf0f0f0f, v13
	v_and_b32_e32 v5, 0xf0f0f0f, v5
	v_lshlrev_b32_e32 v6, 4, v6
	v_lshlrev_b32_e32 v7, 4, v7
	v_and_or_b32 v4, v6, s1, v4
	v_and_or_b32 v5, v7, s1, v5
	ds_write2_b32 v92, v4, v5 offset1:8
	scratch_load_dwordx2 v[4:5], off, off offset:96 ; 8-byte Folded Reload
	v_mad_i64_i32 v[8:9], s[4:5], v106, s8, v[2:3]
	v_mad_i64_i32 v[12:13], s[4:5], v110, s8, v[2:3]
	v_lshl_add_u64 v[10:11], v[8:9], 0, v[44:45]
	v_lshl_add_u64 v[8:9], v[8:9], 0, v[48:49]
	;; [unrolled: 1-line block ×4, first 2 shown]
	s_waitcnt vmcnt(0)
	v_mad_i64_i32 v[4:5], s[4:5], v4, s8, v[2:3]
	v_mad_i64_i32 v[2:3], s[4:5], v114, s8, v[2:3]
	v_lshl_add_u64 v[6:7], v[4:5], 0, v[44:45]
	v_lshl_add_u64 v[50:51], v[2:3], 0, v[44:45]
	v_lshl_add_u64 v[4:5], v[4:5], 0, v[48:49]
	v_lshl_add_u64 v[2:3], v[2:3], 0, v[48:49]
	global_load_dword v60, v[6:7], off offset:48
	global_load_dword v66, v[4:5], off offset:16
	;; [unrolled: 1-line block ×6, first 2 shown]
	s_nop 0
	global_load_dword v50, v[50:51], off offset:48
	s_nop 0
	global_load_dword v51, v[2:3], off offset:16
	v_mad_i64_i32 v[2:3], s[4:5], v118, s8, v[0:1]
	v_mad_i64_i32 v[4:5], s[4:5], v120, s8, v[0:1]
	;; [unrolled: 1-line block ×3, first 2 shown]
	v_lshl_add_u64 v[4:5], v[4:5], 0, 4
	v_lshl_add_u64 v[0:1], v[0:1], 0, 4
	;; [unrolled: 1-line block ×6, first 2 shown]
	global_load_dword v134, v[2:3], off
	global_load_dword v135, v[6:7], off
	;; [unrolled: 1-line block ×5, first 2 shown]
	v_add_u32_e32 v14, s17, v75
	v_add_u32_e32 v0, v14, v77
	;; [unrolled: 1-line block ×6, first 2 shown]
	v_mad_i64_i32 v[0:1], s[4:5], v0, 36, v[124:125]
	v_mad_i64_i32 v[2:3], s[4:5], v2, 36, v[124:125]
	;; [unrolled: 1-line block ×5, first 2 shown]
	v_add_u32_e32 v10, v14, v105
	v_add_u32_e32 v12, v14, v111
	;; [unrolled: 1-line block ×3, first 2 shown]
	v_mad_i64_i32 v[10:11], s[4:5], v10, 36, v[124:125]
	v_mad_i64_i32 v[12:13], s[4:5], v12, 36, v[124:125]
	;; [unrolled: 1-line block ×3, first 2 shown]
	global_load_dword v139, v[0:1], off offset:4
	s_nop 0
	global_load_dword v2, v[2:3], off offset:4
	s_nop 0
	;; [unrolled: 2-line block ×3, first 2 shown]
	global_load_dword v4, v[6:7], off offset:4
	global_load_dword v5, v[8:9], off offset:4
	s_nop 0
	global_load_dword v6, v[10:11], off offset:4
	global_load_dword v7, v[12:13], off offset:4
	;; [unrolled: 1-line block ×3, first 2 shown]
	v_mad_u64_u32 v[0:1], s[4:5], v161, 36, s[2:3]
	global_load_dword v0, v[0:1], off
	v_lshrrev_b32_e32 v9, 4, v42
	v_ashrrev_i32_e32 v10, v61, v43
	v_ashrrev_i32_e32 v11, v67, v43
	v_and_b32_e32 v1, 0xf0f0f0f, v42
	v_and_b32_e32 v9, 0xf0f0f0f, v9
	v_lshlrev_b32_e32 v10, 4, v10
	v_lshlrev_b32_e32 v11, 4, v11
	v_and_or_b32 v1, v10, s1, v1
	v_and_or_b32 v9, v11, s1, v9
	ds_write2_b32 v96, v1, v9 offset1:8
	v_lshrrev_b32_e32 v9, 4, v53
	v_ashrrev_i32_e32 v10, v61, v56
	v_ashrrev_i32_e32 v11, v67, v56
	v_and_b32_e32 v1, 0xf0f0f0f, v53
	v_and_b32_e32 v9, 0xf0f0f0f, v9
	v_lshlrev_b32_e32 v10, 4, v10
	v_lshlrev_b32_e32 v11, 4, v11
	v_and_or_b32 v1, v10, s1, v1
	v_and_or_b32 v9, v11, s1, v9
	ds_write2_b32 v100, v1, v9 offset1:8
	s_mov_b64 s[4:5], -1
	s_waitcnt vmcnt(21)
	v_lshrrev_b32_e32 v9, 4, v60
	s_waitcnt vmcnt(20)
	v_ashrrev_i32_e32 v10, v61, v66
	v_ashrrev_i32_e32 v11, v67, v66
	v_and_b32_e32 v1, 0xf0f0f0f, v60
	v_and_b32_e32 v9, 0xf0f0f0f, v9
	v_lshlrev_b32_e32 v10, 4, v10
	v_lshlrev_b32_e32 v11, 4, v11
	v_and_or_b32 v1, v10, s1, v1
	v_and_or_b32 v9, v11, s1, v9
	ds_write2_b32 v104, v1, v9 offset1:8
	s_waitcnt vmcnt(19)
	v_lshrrev_b32_e32 v9, 4, v70
	s_waitcnt vmcnt(18)
	v_ashrrev_i32_e32 v10, v61, v71
	v_ashrrev_i32_e32 v11, v67, v71
	v_and_b32_e32 v1, 0xf0f0f0f, v70
	v_and_b32_e32 v9, 0xf0f0f0f, v9
	v_lshlrev_b32_e32 v10, 4, v10
	v_lshlrev_b32_e32 v11, 4, v11
	v_and_or_b32 v1, v10, s1, v1
	v_and_or_b32 v9, v11, s1, v9
	ds_write2_b32 v108, v1, v9 offset1:8
	;; [unrolled: 12-line block ×4, first 2 shown]
	s_waitcnt vmcnt(13)
	ds_write_b32 v63, v134
	s_waitcnt vmcnt(12)
	v_ashrrev_i32_e32 v1, v69, v135
	v_and_b32_e32 v1, 0xf0f0f0f, v1
	s_waitcnt vmcnt(11)
	v_ashrrev_i32_e32 v9, v79, v136
	v_and_or_b32 v1, v9, s9, v1
	ds_write_b32 v243, v1
	s_waitcnt vmcnt(10)
	v_ashrrev_i32_e32 v1, v69, v137
	v_and_b32_e32 v1, 0xf0f0f0f, v1
	s_waitcnt vmcnt(9)
	v_ashrrev_i32_e32 v9, v79, v138
	v_and_or_b32 v1, v9, s9, v1
	ds_write_b32 v244, v1
	s_waitcnt vmcnt(8)
	ds_write_b32 v102, v139
	s_waitcnt vmcnt(7)
	;; [unrolled: 2-line block ×9, first 2 shown]
	ds_write_b32 v73, v0
	s_waitcnt lgkmcnt(0)
	s_barrier
	ds_read_b32 v0, v123
	ds_read_b32 v1, v149 offset:128
	ds_read_b32 v2, v197 offset:256
	;; [unrolled: 1-line block ×3, first 2 shown]
	s_waitcnt lgkmcnt(3)
	v_cvt_f32_f16_e32 v132, v0
	v_cvt_f32_f16_sdwa v134, v0 dst_sel:DWORD dst_unused:UNUSED_PAD src0_sel:WORD_1
	s_waitcnt lgkmcnt(2)
	v_cvt_f32_f16_e32 v136, v1
	v_cvt_f32_f16_sdwa v138, v1 dst_sel:DWORD dst_unused:UNUSED_PAD src0_sel:WORD_1
	;; [unrolled: 3-line block ×4, first 2 shown]
	v_mov_b32_e32 v133, v132
	v_mov_b32_e32 v135, v134
	v_mov_b32_e32 v137, v136
	v_mov_b32_e32 v139, v138
	v_mov_b32_e32 v141, v140
	v_mov_b32_e32 v143, v142
	v_mov_b32_e32 v145, v144
	v_mov_b32_e32 v147, v146
.LBB154_6:                              ;   Parent Loop BB154_5 Depth=1
                                        ; =>  This Inner Loop Header: Depth=2
	s_lshl_b32 s18, s19, 1
	s_lshr_b32 s20, s19, 2
	v_or_b32_e32 v0, s18, v59
	s_add_i32 s20, s20, 0xa200
	v_lshlrev_b32_e32 v1, 2, v0
	v_lshrrev_b32_e32 v42, 1, v0
	v_lshlrev_b32_e32 v248, 2, v75
	v_lshlrev_b32_e32 v249, 2, v57
	s_lshl_b32 s19, s19, 3
	ds_read_b128 v[12:15], v1 offset:33280
	ds_read_b128 v[8:11], v1 offset:33296
	;; [unrolled: 1-line block ×4, first 2 shown]
	ds_read_b64 v[228:229], v42 offset:43584
	v_add3_u32 v42, s20, v248, v249
	v_add_u32_e32 v43, s19, v239
	ds_read2_b32 v[198:199], v43 offset1:1
	ds_read2_b32 v[206:207], v43 offset0:2 offset1:3
	ds_read2_b32 v[210:211], v43 offset0:4 offset1:5
	;; [unrolled: 1-line block ×3, first 2 shown]
	ds_read_u16 v50, v42
	ds_read_u8 v51, v42 offset:8
	ds_read_u8 v42, v42 offset:9
	v_lshlrev_b32_e32 v250, 2, v127
	ds_read2_b32 v[194:195], v43 offset0:8 offset1:9
	ds_read2_b32 v[222:223], v43 offset0:10 offset1:11
	ds_read2_b32 v[224:225], v43 offset0:12 offset1:13
	ds_read2_b32 v[226:227], v43 offset0:14 offset1:15
	s_waitcnt lgkmcnt(4)
	v_cvt_f32_ubyte0_e32 v220, v42
	v_add3_u32 v42, s20, v250, v245
	v_add_u32_e32 v43, s19, v240
	v_cvt_f32_ubyte0_e32 v170, v51
	ds_read2_b32 v[168:169], v43 offset1:1
	ds_read2_b32 v[176:177], v43 offset0:2 offset1:3
	ds_read2_b32 v[178:179], v43 offset0:4 offset1:5
	;; [unrolled: 1-line block ×3, first 2 shown]
	ds_read_u16 v51, v42
	ds_read_u8 v56, v42 offset:8
	ds_read_u8 v42, v42 offset:9
	v_lshlrev_b32_e32 v251, 2, v151
	ds_read2_b32 v[164:165], v43 offset0:8 offset1:9
	ds_read2_b32 v[202:203], v43 offset0:10 offset1:11
	;; [unrolled: 1-line block ×4, first 2 shown]
	s_waitcnt lgkmcnt(4)
	v_cvt_f32_ubyte0_e32 v196, v42
	v_add3_u32 v42, s20, v251, v246
	v_add_u32_e32 v43, s19, v241
	v_and_b32_e32 v201, 0xff, v51
	v_lshrrev_b16_e32 v255, 8, v51
	ds_read2_b32 v[172:173], v43 offset1:1
	ds_read2_b32 v[182:183], v43 offset0:2 offset1:3
	ds_read2_b32 v[184:185], v43 offset0:4 offset1:5
	;; [unrolled: 1-line block ×3, first 2 shown]
	ds_read_u16 v51, v42
	ds_read_u8 v60, v42 offset:8
	ds_read_u8 v42, v42 offset:9
	ds_read2_b32 v[166:167], v43 offset0:8 offset1:9
	ds_read2_b32 v[212:213], v43 offset0:10 offset1:11
	;; [unrolled: 1-line block ×4, first 2 shown]
	v_add_u32_e32 v43, s19, v242
	ds_read2_b32 v[174:175], v43 offset1:1
	ds_read2_b32 v[188:189], v43 offset0:2 offset1:3
	ds_read2_b32 v[190:191], v43 offset0:4 offset1:5
	;; [unrolled: 1-line block ×3, first 2 shown]
	v_mov_b32_e32 v66, 0
	v_and_b32_e32 v254, 0xff, v50
	v_lshrrev_b16_e32 v53, 8, v50
	v_mov_b32_e32 v50, 0
	v_cvt_f32_ubyte0_e32 v160, v56
	v_mov_b32_e32 v56, 0
	s_waitcnt lgkmcnt(9)
	v_cvt_f32_ubyte0_e32 v162, v60
	v_mov_b32_e32 v60, 0
	v_dot4c_i32_i8_e32 v66, v198, v12
	v_dot4c_i32_i8_e32 v50, v168, v12
	;; [unrolled: 1-line block ×3, first 2 shown]
	s_waitcnt lgkmcnt(3)
	v_dot4c_i32_i8_e32 v60, v174, v12
	v_dot4c_i32_i8_e32 v66, v199, v13
	;; [unrolled: 1-line block ×8, first 2 shown]
	s_waitcnt lgkmcnt(2)
	v_dot4c_i32_i8_e32 v60, v188, v14
	v_dot4c_i32_i8_e32 v66, v207, v15
	;; [unrolled: 1-line block ×8, first 2 shown]
	v_lshlrev_b32_e32 v252, 2, v221
	s_waitcnt lgkmcnt(1)
	v_dot4c_i32_i8_e32 v60, v190, v8
	v_dot4c_i32_i8_e32 v66, v211, v9
	;; [unrolled: 1-line block ×4, first 2 shown]
	v_cvt_f32_ubyte0_e32 v200, v42
	v_add3_u32 v42, s20, v252, v247
	v_dot4c_i32_i8_e32 v60, v191, v9
	v_dot4c_i32_i8_e32 v66, v214, v10
	v_dot4c_i32_i8_e32 v50, v180, v10
	v_dot4c_i32_i8_e32 v56, v186, v10
	s_waitcnt lgkmcnt(0)
	v_dot4c_i32_i8_e32 v60, v192, v10
	ds_read_u16 v8, v42
	ds_read_u8 v9, v42 offset:8
	ds_read_u8 v10, v42 offset:9
	ds_read2_b32 v[158:159], v43 offset0:8 offset1:9
	ds_read2_b32 v[152:153], v43 offset0:10 offset1:11
	;; [unrolled: 1-line block ×4, first 2 shown]
	v_mov_b32_e32 v70, 0
	v_mov_b32_e32 v82, 0
	;; [unrolled: 1-line block ×4, first 2 shown]
	v_dot4c_i32_i8_e32 v70, v194, v4
	v_dot4c_i32_i8_e32 v82, v164, v4
	v_dot4c_i32_i8_e32 v86, v166, v4
	s_waitcnt lgkmcnt(3)
	v_dot4c_i32_i8_e32 v90, v158, v4
	v_dot4c_i32_i8_e32 v70, v195, v5
	v_dot4c_i32_i8_e32 v82, v165, v5
	v_dot4c_i32_i8_e32 v86, v167, v5
	v_dot4c_i32_i8_e32 v90, v159, v5
	v_dot4c_i32_i8_e32 v70, v222, v6
	v_dot4c_i32_i8_e32 v82, v202, v6
	v_dot4c_i32_i8_e32 v86, v212, v6
	s_waitcnt lgkmcnt(2)
	v_dot4c_i32_i8_e32 v90, v152, v6
	v_dot4c_i32_i8_e32 v70, v223, v7
	v_dot4c_i32_i8_e32 v82, v203, v7
	v_dot4c_i32_i8_e32 v86, v213, v7
	v_dot4c_i32_i8_e32 v90, v153, v7
	;; [unrolled: 9-line block ×3, first 2 shown]
	v_or_b32_e32 v0, s18, v83
	v_dot4c_i32_i8_e32 v70, v226, v2
	v_dot4c_i32_i8_e32 v82, v208, v2
	;; [unrolled: 1-line block ×3, first 2 shown]
	s_waitcnt lgkmcnt(0)
	v_dot4c_i32_i8_e32 v90, v156, v2
	v_lshlrev_b32_e32 v1, 2, v0
	v_dot4c_i32_i8_e32 v66, v215, v11
	v_dot4c_i32_i8_e32 v70, v227, v3
	;; [unrolled: 1-line block ×7, first 2 shown]
	v_and_b32_e32 v171, 0xff, v8
	v_cvt_f32_ubyte0_e32 v150, v9
	v_dot4c_i32_i8_e32 v90, v157, v3
	v_lshrrev_b16_e32 v163, 8, v8
	v_cvt_f32_ubyte0_e32 v148, v10
	v_lshrrev_b32_e32 v42, 1, v0
	ds_read_b128 v[12:15], v1 offset:33280
	ds_read_b128 v[8:11], v1 offset:33296
	;; [unrolled: 1-line block ×4, first 2 shown]
	ds_read_b64 v[232:233], v42 offset:43584
	v_mov_b32_e32 v42, 0
	s_waitcnt lgkmcnt(4)
	v_dot4c_i32_i8_e32 v42, v198, v12
	v_mov_b32_e32 v71, 0
	v_dot4c_i32_i8_e32 v42, v199, v13
	s_waitcnt lgkmcnt(2)
	v_dot4c_i32_i8_e32 v71, v194, v4
	v_dot4c_i32_i8_e32 v42, v206, v14
	;; [unrolled: 1-line block ×8, first 2 shown]
	s_waitcnt lgkmcnt(1)
	v_dot4c_i32_i8_e32 v71, v224, v0
	v_dot4c_i32_i8_e32 v42, v214, v10
	;; [unrolled: 1-line block ×6, first 2 shown]
	s_waitcnt lgkmcnt(0)
	v_cvt_f32_f16_sdwa v237, v232 dst_sel:DWORD dst_unused:UNUSED_PAD src0_sel:WORD_1
	v_cvt_f32_f16_sdwa v236, v228 dst_sel:DWORD dst_unused:UNUSED_PAD src0_sel:WORD_1
	v_mul_lo_u32 v43, v66, v254
	v_mul_lo_u32 v42, v42, v254
	v_cvt_f32_f16_e32 v235, v232
	v_cvt_f32_f16_e32 v234, v228
	;; [unrolled: 1-line block ×4, first 2 shown]
	v_cvt_f32_f16_sdwa v233, v233 dst_sel:DWORD dst_unused:UNUSED_PAD src0_sel:WORD_1
	v_cvt_f32_f16_sdwa v232, v229 dst_sel:DWORD dst_unused:UNUSED_PAD src0_sel:WORD_1
	v_cvt_f32_i32_e32 v229, v42
	v_cvt_f32_i32_e32 v228, v43
	v_mul_lo_u32 v66, v70, v53
	v_mul_lo_u32 v70, v71, v53
	v_cvt_f32_i32_e32 v71, v70
	v_cvt_f32_i32_e32 v70, v66
	v_pk_fma_f32 v[42:43], v[170:171], v[236:237], 0 op_sel_hi:[0,1,0]
	v_pk_fma_f32 v[228:229], v[234:235], v[228:229], 0 op_sel_hi:[1,1,0]
	;; [unrolled: 1-line block ×3, first 2 shown]
	v_pk_fma_f32 v[70:71], v[230:231], v[70:71], v[228:229]
	v_pk_mul_f32 v[42:43], v[42:43], v[134:135]
	v_mov_b32_e32 v66, 0
	v_pk_fma_f32 v[42:43], v[70:71], v[132:133], v[42:43] neg_lo:[0,0,1] neg_hi:[0,0,1]
	v_dot4c_i32_i8_e32 v66, v164, v4
	v_pk_add_f32 v[64:65], v[64:65], v[42:43]
	v_mov_b32_e32 v42, 0
	v_dot4c_i32_i8_e32 v42, v168, v12
	v_dot4c_i32_i8_e32 v42, v169, v13
	;; [unrolled: 1-line block ×15, first 2 shown]
	v_mul_lo_u32 v50, v50, v201
	v_mul_lo_u32 v42, v42, v201
	v_cvt_f32_i32_e32 v43, v42
	v_cvt_f32_i32_e32 v42, v50
	v_mul_lo_u32 v50, v82, v255
	v_mul_lo_u32 v66, v66, v255
	v_cvt_f32_i32_e32 v229, v66
	v_cvt_f32_i32_e32 v228, v50
	v_pk_fma_f32 v[70:71], v[160:161], v[236:237], 0 op_sel_hi:[0,1,0]
	v_pk_fma_f32 v[42:43], v[234:235], v[42:43], 0 op_sel_hi:[1,1,0]
	;; [unrolled: 1-line block ×3, first 2 shown]
	v_pk_fma_f32 v[42:43], v[230:231], v[228:229], v[42:43]
	v_pk_mul_f32 v[70:71], v[70:71], v[138:139]
	v_mov_b32_e32 v50, 0
	v_pk_fma_f32 v[42:43], v[42:43], v[136:137], v[70:71] neg_lo:[0,0,1] neg_hi:[0,0,1]
	v_dot4c_i32_i8_e32 v50, v166, v4
	v_pk_add_f32 v[54:55], v[54:55], v[42:43]
	v_mov_b32_e32 v42, 0
	v_dot4c_i32_i8_e32 v42, v172, v12
	v_dot4c_i32_i8_e32 v42, v173, v13
	;; [unrolled: 1-line block ×12, first 2 shown]
	v_and_b32_e32 v253, 0xff, v51
	v_dot4c_i32_i8_e32 v42, v187, v11
	v_dot4c_i32_i8_e32 v50, v218, v2
	v_lshrrev_b16_e32 v51, 8, v51
	v_dot4c_i32_i8_e32 v50, v219, v3
	v_mul_lo_u32 v56, v56, v253
	v_mul_lo_u32 v42, v42, v253
	v_cvt_f32_i32_e32 v43, v42
	v_cvt_f32_i32_e32 v42, v56
	v_mul_lo_u32 v56, v86, v51
	v_mul_lo_u32 v50, v50, v51
	v_cvt_f32_i32_e32 v229, v50
	v_cvt_f32_i32_e32 v228, v56
	v_pk_fma_f32 v[70:71], v[162:163], v[236:237], 0 op_sel_hi:[0,1,0]
	v_pk_fma_f32 v[42:43], v[234:235], v[42:43], 0 op_sel_hi:[1,1,0]
	;; [unrolled: 1-line block ×3, first 2 shown]
	v_pk_fma_f32 v[42:43], v[230:231], v[228:229], v[42:43]
	v_pk_mul_f32 v[70:71], v[70:71], v[142:143]
	v_mov_b32_e32 v50, 0
	v_pk_fma_f32 v[42:43], v[42:43], v[140:141], v[70:71] neg_lo:[0,0,1] neg_hi:[0,0,1]
	v_mov_b32_e32 v56, 0
	v_pk_add_f32 v[46:47], v[46:47], v[42:43]
	v_mov_b32_e32 v42, 0
	v_dot4c_i32_i8_e32 v42, v174, v12
	v_dot4c_i32_i8_e32 v42, v175, v13
	;; [unrolled: 1-line block ×5, first 2 shown]
	v_mov_b32_e32 v8, 0
	v_dot4c_i32_i8_e32 v8, v158, v4
	v_dot4c_i32_i8_e32 v8, v159, v5
	;; [unrolled: 1-line block ×11, first 2 shown]
	v_mul_lo_u32 v0, v60, v171
	v_mul_lo_u32 v1, v42, v171
	v_cvt_f32_i32_e32 v1, v1
	v_cvt_f32_i32_e32 v0, v0
	v_mul_lo_u32 v4, v90, v163
	v_mul_lo_u32 v5, v8, v163
	v_cvt_f32_i32_e32 v5, v5
	v_cvt_f32_i32_e32 v4, v4
	v_pk_fma_f32 v[2:3], v[150:151], v[236:237], 0 op_sel_hi:[0,1,0]
	v_pk_fma_f32 v[0:1], v[234:235], v[0:1], 0 op_sel_hi:[1,1,0]
	;; [unrolled: 1-line block ×3, first 2 shown]
	v_pk_fma_f32 v[0:1], v[230:231], v[4:5], v[0:1]
	v_pk_mul_f32 v[2:3], v[2:3], v[146:147]
	v_mov_b32_e32 v60, 0
	v_pk_fma_f32 v[0:1], v[0:1], v[144:145], v[2:3] neg_lo:[0,0,1] neg_hi:[0,0,1]
	v_mov_b32_e32 v66, 0
	v_pk_add_f32 v[40:41], v[40:41], v[0:1]
	v_or_b32_e32 v0, s18, v89
	v_lshlrev_b32_e32 v1, 2, v0
	v_lshrrev_b32_e32 v42, 1, v0
	ds_read_b128 v[12:15], v1 offset:33280
	ds_read_b128 v[8:11], v1 offset:33296
	;; [unrolled: 1-line block ×4, first 2 shown]
	ds_read_b64 v[228:229], v42 offset:43584
	v_mov_b32_e32 v82, 0
	v_mov_b32_e32 v86, 0
	;; [unrolled: 1-line block ×4, first 2 shown]
	s_waitcnt lgkmcnt(4)
	v_dot4c_i32_i8_e32 v50, v198, v12
	s_waitcnt lgkmcnt(2)
	v_dot4c_i32_i8_e32 v56, v194, v4
	v_dot4c_i32_i8_e32 v60, v168, v12
	;; [unrolled: 1-line block ×32, first 2 shown]
	s_waitcnt lgkmcnt(1)
	v_dot4c_i32_i8_e32 v56, v224, v0
	v_dot4c_i32_i8_e32 v60, v178, v8
	;; [unrolled: 1-line block ×15, first 2 shown]
	v_or_b32_e32 v0, s18, v95
	v_dot4c_i32_i8_e32 v50, v214, v10
	v_dot4c_i32_i8_e32 v56, v226, v2
	;; [unrolled: 1-line block ×8, first 2 shown]
	v_lshlrev_b32_e32 v1, 2, v0
	v_lshrrev_b32_e32 v42, 1, v0
	v_dot4c_i32_i8_e32 v50, v215, v11
	v_dot4c_i32_i8_e32 v56, v227, v3
	v_dot4c_i32_i8_e32 v60, v181, v11
	v_dot4c_i32_i8_e32 v66, v209, v3
	v_dot4c_i32_i8_e32 v82, v187, v11
	v_dot4c_i32_i8_e32 v86, v219, v3
	v_dot4c_i32_i8_e32 v90, v193, v11
	v_dot4c_i32_i8_e32 v94, v157, v3
	ds_read_b128 v[12:15], v1 offset:33280
	ds_read_b128 v[8:11], v1 offset:33296
	;; [unrolled: 1-line block ×4, first 2 shown]
	ds_read_b64 v[42:43], v42 offset:43584
	v_mov_b32_e32 v70, 0
	s_waitcnt lgkmcnt(4)
	v_dot4c_i32_i8_e32 v70, v198, v12
	v_mov_b32_e32 v98, 0
	v_dot4c_i32_i8_e32 v70, v199, v13
	s_waitcnt lgkmcnt(2)
	v_dot4c_i32_i8_e32 v98, v194, v4
	v_dot4c_i32_i8_e32 v70, v206, v14
	;; [unrolled: 1-line block ×8, first 2 shown]
	s_waitcnt lgkmcnt(1)
	v_dot4c_i32_i8_e32 v98, v224, v0
	v_dot4c_i32_i8_e32 v70, v214, v10
	;; [unrolled: 1-line block ×6, first 2 shown]
	s_waitcnt lgkmcnt(0)
	v_cvt_f32_f16_e32 v235, v42
	v_cvt_f32_f16_sdwa v237, v42 dst_sel:DWORD dst_unused:UNUSED_PAD src0_sel:WORD_1
	v_cvt_f32_f16_sdwa v236, v228 dst_sel:DWORD dst_unused:UNUSED_PAD src0_sel:WORD_1
	v_cvt_f32_f16_e32 v231, v43
	v_cvt_f32_f16_sdwa v233, v43 dst_sel:DWORD dst_unused:UNUSED_PAD src0_sel:WORD_1
	v_mul_lo_u32 v42, v50, v254
	v_mul_lo_u32 v43, v70, v254
	v_cvt_f32_f16_e32 v234, v228
	v_cvt_f32_f16_sdwa v232, v229 dst_sel:DWORD dst_unused:UNUSED_PAD src0_sel:WORD_1
	v_cvt_f32_i32_e32 v43, v43
	v_cvt_f32_i32_e32 v42, v42
	v_mul_lo_u32 v50, v56, v53
	v_mul_lo_u32 v56, v98, v53
	v_cvt_f32_f16_e32 v230, v229
	v_cvt_f32_i32_e32 v229, v56
	v_cvt_f32_i32_e32 v228, v50
	v_pk_fma_f32 v[70:71], v[170:171], v[236:237], 0 op_sel_hi:[0,1,0]
	v_pk_fma_f32 v[42:43], v[42:43], v[234:235], 0 op_sel_hi:[1,1,0]
	;; [unrolled: 1-line block ×3, first 2 shown]
	v_pk_fma_f32 v[42:43], v[228:229], v[230:231], v[42:43]
	v_pk_mul_f32 v[70:71], v[70:71], v[134:135]
	v_mov_b32_e32 v50, 0
	v_pk_fma_f32 v[42:43], v[42:43], v[132:133], v[70:71] neg_lo:[0,0,1] neg_hi:[0,0,1]
	v_dot4c_i32_i8_e32 v50, v164, v4
	v_pk_add_f32 v[38:39], v[38:39], v[42:43]
	v_mov_b32_e32 v42, 0
	v_dot4c_i32_i8_e32 v42, v168, v12
	v_dot4c_i32_i8_e32 v42, v169, v13
	;; [unrolled: 1-line block ×15, first 2 shown]
	v_mul_lo_u32 v56, v60, v201
	v_mul_lo_u32 v42, v42, v201
	v_cvt_f32_i32_e32 v43, v42
	v_cvt_f32_i32_e32 v42, v56
	v_mul_lo_u32 v56, v66, v255
	v_mul_lo_u32 v50, v50, v255
	v_cvt_f32_i32_e32 v229, v50
	v_cvt_f32_i32_e32 v228, v56
	v_pk_fma_f32 v[70:71], v[160:161], v[236:237], 0 op_sel_hi:[0,1,0]
	v_pk_fma_f32 v[42:43], v[42:43], v[234:235], 0 op_sel_hi:[1,1,0]
	;; [unrolled: 1-line block ×3, first 2 shown]
	v_pk_fma_f32 v[42:43], v[228:229], v[230:231], v[42:43]
	v_pk_mul_f32 v[70:71], v[70:71], v[138:139]
	v_mov_b32_e32 v50, 0
	v_pk_fma_f32 v[42:43], v[42:43], v[136:137], v[70:71] neg_lo:[0,0,1] neg_hi:[0,0,1]
	v_dot4c_i32_i8_e32 v50, v166, v4
	v_pk_add_f32 v[36:37], v[36:37], v[42:43]
	v_mov_b32_e32 v42, 0
	v_dot4c_i32_i8_e32 v42, v172, v12
	v_dot4c_i32_i8_e32 v42, v173, v13
	;; [unrolled: 1-line block ×15, first 2 shown]
	v_mul_lo_u32 v56, v82, v253
	v_mul_lo_u32 v42, v42, v253
	v_cvt_f32_i32_e32 v43, v42
	v_cvt_f32_i32_e32 v42, v56
	v_mul_lo_u32 v56, v86, v51
	v_mul_lo_u32 v50, v50, v51
	v_cvt_f32_i32_e32 v229, v50
	v_cvt_f32_i32_e32 v228, v56
	v_pk_fma_f32 v[70:71], v[162:163], v[236:237], 0 op_sel_hi:[0,1,0]
	v_pk_fma_f32 v[42:43], v[42:43], v[234:235], 0 op_sel_hi:[1,1,0]
	;; [unrolled: 1-line block ×3, first 2 shown]
	v_pk_fma_f32 v[42:43], v[228:229], v[230:231], v[42:43]
	v_pk_mul_f32 v[70:71], v[70:71], v[142:143]
	v_mov_b32_e32 v50, 0
	v_pk_fma_f32 v[42:43], v[42:43], v[140:141], v[70:71] neg_lo:[0,0,1] neg_hi:[0,0,1]
	v_mov_b32_e32 v56, 0
	v_pk_add_f32 v[34:35], v[34:35], v[42:43]
	v_mov_b32_e32 v42, 0
	v_dot4c_i32_i8_e32 v42, v174, v12
	v_dot4c_i32_i8_e32 v42, v175, v13
	;; [unrolled: 1-line block ×5, first 2 shown]
	v_mov_b32_e32 v8, 0
	v_dot4c_i32_i8_e32 v8, v158, v4
	v_dot4c_i32_i8_e32 v8, v159, v5
	;; [unrolled: 1-line block ×11, first 2 shown]
	v_mul_lo_u32 v0, v90, v171
	v_mul_lo_u32 v1, v42, v171
	v_cvt_f32_i32_e32 v1, v1
	v_cvt_f32_i32_e32 v0, v0
	v_mul_lo_u32 v4, v94, v163
	v_mul_lo_u32 v5, v8, v163
	v_cvt_f32_i32_e32 v5, v5
	v_cvt_f32_i32_e32 v4, v4
	v_pk_fma_f32 v[2:3], v[150:151], v[236:237], 0 op_sel_hi:[0,1,0]
	v_pk_fma_f32 v[0:1], v[0:1], v[234:235], 0 op_sel_hi:[1,1,0]
	;; [unrolled: 1-line block ×3, first 2 shown]
	v_pk_fma_f32 v[0:1], v[4:5], v[230:231], v[0:1]
	v_pk_mul_f32 v[2:3], v[2:3], v[146:147]
	v_mov_b32_e32 v60, 0
	v_pk_fma_f32 v[0:1], v[0:1], v[144:145], v[2:3] neg_lo:[0,0,1] neg_hi:[0,0,1]
	v_mov_b32_e32 v66, 0
	v_pk_add_f32 v[32:33], v[32:33], v[0:1]
	v_or_b32_e32 v0, s18, v101
	v_lshlrev_b32_e32 v1, 2, v0
	v_lshrrev_b32_e32 v42, 1, v0
	ds_read_b128 v[12:15], v1 offset:33280
	ds_read_b128 v[8:11], v1 offset:33296
	;; [unrolled: 1-line block ×4, first 2 shown]
	ds_read_b64 v[228:229], v42 offset:43584
	v_mov_b32_e32 v82, 0
	v_mov_b32_e32 v86, 0
	;; [unrolled: 1-line block ×4, first 2 shown]
	s_waitcnt lgkmcnt(4)
	v_dot4c_i32_i8_e32 v50, v198, v12
	s_waitcnt lgkmcnt(2)
	v_dot4c_i32_i8_e32 v56, v194, v4
	v_dot4c_i32_i8_e32 v60, v168, v12
	;; [unrolled: 1-line block ×32, first 2 shown]
	s_waitcnt lgkmcnt(1)
	v_dot4c_i32_i8_e32 v56, v224, v0
	v_dot4c_i32_i8_e32 v60, v178, v8
	;; [unrolled: 1-line block ×15, first 2 shown]
	v_or_b32_e32 v0, s18, v107
	v_dot4c_i32_i8_e32 v50, v214, v10
	v_dot4c_i32_i8_e32 v56, v226, v2
	;; [unrolled: 1-line block ×8, first 2 shown]
	v_lshlrev_b32_e32 v1, 2, v0
	v_lshrrev_b32_e32 v42, 1, v0
	v_dot4c_i32_i8_e32 v50, v215, v11
	v_dot4c_i32_i8_e32 v56, v227, v3
	;; [unrolled: 1-line block ×8, first 2 shown]
	ds_read_b128 v[12:15], v1 offset:33280
	ds_read_b128 v[8:11], v1 offset:33296
	;; [unrolled: 1-line block ×4, first 2 shown]
	ds_read_b64 v[42:43], v42 offset:43584
	v_mov_b32_e32 v70, 0
	s_waitcnt lgkmcnt(4)
	v_dot4c_i32_i8_e32 v70, v198, v12
	v_mov_b32_e32 v98, 0
	v_dot4c_i32_i8_e32 v70, v199, v13
	s_waitcnt lgkmcnt(2)
	v_dot4c_i32_i8_e32 v98, v194, v4
	v_dot4c_i32_i8_e32 v70, v206, v14
	;; [unrolled: 1-line block ×8, first 2 shown]
	s_waitcnt lgkmcnt(1)
	v_dot4c_i32_i8_e32 v98, v224, v0
	v_dot4c_i32_i8_e32 v70, v214, v10
	;; [unrolled: 1-line block ×6, first 2 shown]
	s_waitcnt lgkmcnt(0)
	v_cvt_f32_f16_e32 v235, v42
	v_cvt_f32_f16_sdwa v237, v42 dst_sel:DWORD dst_unused:UNUSED_PAD src0_sel:WORD_1
	v_cvt_f32_f16_sdwa v236, v228 dst_sel:DWORD dst_unused:UNUSED_PAD src0_sel:WORD_1
	v_cvt_f32_f16_e32 v231, v43
	v_cvt_f32_f16_sdwa v233, v43 dst_sel:DWORD dst_unused:UNUSED_PAD src0_sel:WORD_1
	v_mul_lo_u32 v42, v50, v254
	v_mul_lo_u32 v43, v70, v254
	v_cvt_f32_f16_e32 v234, v228
	v_cvt_f32_f16_sdwa v232, v229 dst_sel:DWORD dst_unused:UNUSED_PAD src0_sel:WORD_1
	v_cvt_f32_i32_e32 v43, v43
	v_cvt_f32_i32_e32 v42, v42
	v_mul_lo_u32 v50, v56, v53
	v_mul_lo_u32 v56, v98, v53
	v_cvt_f32_f16_e32 v230, v229
	v_cvt_f32_i32_e32 v229, v56
	v_cvt_f32_i32_e32 v228, v50
	v_pk_fma_f32 v[70:71], v[170:171], v[236:237], 0 op_sel_hi:[0,1,0]
	v_pk_fma_f32 v[42:43], v[42:43], v[234:235], 0 op_sel_hi:[1,1,0]
	;; [unrolled: 1-line block ×3, first 2 shown]
	v_pk_fma_f32 v[42:43], v[228:229], v[230:231], v[42:43]
	v_pk_mul_f32 v[70:71], v[70:71], v[134:135]
	v_mov_b32_e32 v50, 0
	v_pk_fma_f32 v[42:43], v[42:43], v[132:133], v[70:71] neg_lo:[0,0,1] neg_hi:[0,0,1]
	v_dot4c_i32_i8_e32 v50, v164, v4
	v_pk_add_f32 v[30:31], v[30:31], v[42:43]
	v_mov_b32_e32 v42, 0
	v_dot4c_i32_i8_e32 v42, v168, v12
	v_dot4c_i32_i8_e32 v42, v169, v13
	;; [unrolled: 1-line block ×15, first 2 shown]
	v_mul_lo_u32 v56, v60, v201
	v_mul_lo_u32 v42, v42, v201
	v_cvt_f32_i32_e32 v43, v42
	v_cvt_f32_i32_e32 v42, v56
	v_mul_lo_u32 v56, v66, v255
	v_mul_lo_u32 v50, v50, v255
	v_cvt_f32_i32_e32 v229, v50
	v_cvt_f32_i32_e32 v228, v56
	v_pk_fma_f32 v[70:71], v[160:161], v[236:237], 0 op_sel_hi:[0,1,0]
	v_pk_fma_f32 v[42:43], v[42:43], v[234:235], 0 op_sel_hi:[1,1,0]
	v_pk_fma_f32 v[70:71], v[196:197], v[232:233], v[70:71] op_sel_hi:[0,1,1]
	v_pk_fma_f32 v[42:43], v[228:229], v[230:231], v[42:43]
	v_pk_mul_f32 v[70:71], v[70:71], v[138:139]
	v_mov_b32_e32 v50, 0
	v_pk_fma_f32 v[42:43], v[42:43], v[136:137], v[70:71] neg_lo:[0,0,1] neg_hi:[0,0,1]
	v_dot4c_i32_i8_e32 v50, v166, v4
	v_pk_add_f32 v[28:29], v[28:29], v[42:43]
	v_mov_b32_e32 v42, 0
	v_dot4c_i32_i8_e32 v42, v172, v12
	v_dot4c_i32_i8_e32 v42, v173, v13
	;; [unrolled: 1-line block ×15, first 2 shown]
	v_mul_lo_u32 v56, v82, v253
	v_mul_lo_u32 v42, v42, v253
	v_cvt_f32_i32_e32 v43, v42
	v_cvt_f32_i32_e32 v42, v56
	v_mul_lo_u32 v56, v86, v51
	v_mul_lo_u32 v50, v50, v51
	v_cvt_f32_i32_e32 v229, v50
	v_cvt_f32_i32_e32 v228, v56
	v_pk_fma_f32 v[70:71], v[162:163], v[236:237], 0 op_sel_hi:[0,1,0]
	v_pk_fma_f32 v[42:43], v[42:43], v[234:235], 0 op_sel_hi:[1,1,0]
	;; [unrolled: 1-line block ×3, first 2 shown]
	v_pk_fma_f32 v[42:43], v[228:229], v[230:231], v[42:43]
	v_pk_mul_f32 v[70:71], v[70:71], v[142:143]
	v_mov_b32_e32 v50, 0
	v_pk_fma_f32 v[42:43], v[42:43], v[140:141], v[70:71] neg_lo:[0,0,1] neg_hi:[0,0,1]
	v_mov_b32_e32 v56, 0
	v_pk_add_f32 v[26:27], v[26:27], v[42:43]
	v_mov_b32_e32 v42, 0
	v_dot4c_i32_i8_e32 v42, v174, v12
	v_dot4c_i32_i8_e32 v42, v175, v13
	;; [unrolled: 1-line block ×5, first 2 shown]
	v_mov_b32_e32 v8, 0
	v_dot4c_i32_i8_e32 v8, v158, v4
	v_dot4c_i32_i8_e32 v8, v159, v5
	;; [unrolled: 1-line block ×11, first 2 shown]
	v_mul_lo_u32 v0, v90, v171
	v_mul_lo_u32 v1, v42, v171
	v_cvt_f32_i32_e32 v1, v1
	v_cvt_f32_i32_e32 v0, v0
	v_mul_lo_u32 v4, v94, v163
	v_mul_lo_u32 v5, v8, v163
	v_cvt_f32_i32_e32 v5, v5
	v_cvt_f32_i32_e32 v4, v4
	v_pk_fma_f32 v[2:3], v[150:151], v[236:237], 0 op_sel_hi:[0,1,0]
	v_pk_fma_f32 v[0:1], v[0:1], v[234:235], 0 op_sel_hi:[1,1,0]
	;; [unrolled: 1-line block ×3, first 2 shown]
	v_pk_fma_f32 v[0:1], v[4:5], v[230:231], v[0:1]
	v_pk_mul_f32 v[2:3], v[2:3], v[146:147]
	v_mov_b32_e32 v60, 0
	v_pk_fma_f32 v[0:1], v[0:1], v[144:145], v[2:3] neg_lo:[0,0,1] neg_hi:[0,0,1]
	v_mov_b32_e32 v66, 0
	v_pk_add_f32 v[24:25], v[24:25], v[0:1]
	v_or_b32_e32 v0, s18, v113
	v_lshlrev_b32_e32 v1, 2, v0
	v_lshrrev_b32_e32 v42, 1, v0
	ds_read_b128 v[12:15], v1 offset:33280
	ds_read_b128 v[8:11], v1 offset:33296
	;; [unrolled: 1-line block ×4, first 2 shown]
	ds_read_b64 v[228:229], v42 offset:43584
	v_mov_b32_e32 v82, 0
	v_mov_b32_e32 v86, 0
	;; [unrolled: 1-line block ×4, first 2 shown]
	s_waitcnt lgkmcnt(4)
	v_dot4c_i32_i8_e32 v50, v198, v12
	s_waitcnt lgkmcnt(2)
	v_dot4c_i32_i8_e32 v56, v194, v4
	v_dot4c_i32_i8_e32 v60, v168, v12
	;; [unrolled: 1-line block ×32, first 2 shown]
	s_waitcnt lgkmcnt(1)
	v_dot4c_i32_i8_e32 v56, v224, v0
	v_dot4c_i32_i8_e32 v60, v178, v8
	;; [unrolled: 1-line block ×15, first 2 shown]
	v_or_b32_e32 v0, s18, v119
	v_dot4c_i32_i8_e32 v50, v214, v10
	v_dot4c_i32_i8_e32 v56, v226, v2
	;; [unrolled: 1-line block ×8, first 2 shown]
	v_lshlrev_b32_e32 v1, 2, v0
	v_lshrrev_b32_e32 v42, 1, v0
	v_dot4c_i32_i8_e32 v50, v215, v11
	v_dot4c_i32_i8_e32 v56, v227, v3
	;; [unrolled: 1-line block ×8, first 2 shown]
	ds_read_b128 v[12:15], v1 offset:33280
	ds_read_b128 v[8:11], v1 offset:33296
	;; [unrolled: 1-line block ×4, first 2 shown]
	ds_read_b64 v[42:43], v42 offset:43584
	v_mov_b32_e32 v70, 0
	s_waitcnt lgkmcnt(4)
	v_dot4c_i32_i8_e32 v70, v198, v12
	v_mov_b32_e32 v90, 0
	v_dot4c_i32_i8_e32 v70, v199, v13
	s_waitcnt lgkmcnt(2)
	v_dot4c_i32_i8_e32 v90, v194, v4
	v_dot4c_i32_i8_e32 v70, v206, v14
	;; [unrolled: 1-line block ×8, first 2 shown]
	s_waitcnt lgkmcnt(1)
	v_dot4c_i32_i8_e32 v90, v224, v0
	v_dot4c_i32_i8_e32 v70, v214, v10
	;; [unrolled: 1-line block ×6, first 2 shown]
	s_waitcnt lgkmcnt(0)
	v_cvt_f32_f16_e32 v211, v42
	v_cvt_f32_f16_sdwa v207, v42 dst_sel:DWORD dst_unused:UNUSED_PAD src0_sel:WORD_1
	v_cvt_f32_f16_sdwa v206, v228 dst_sel:DWORD dst_unused:UNUSED_PAD src0_sel:WORD_1
	v_cvt_f32_f16_e32 v199, v43
	v_cvt_f32_f16_sdwa v195, v43 dst_sel:DWORD dst_unused:UNUSED_PAD src0_sel:WORD_1
	v_mul_lo_u32 v42, v50, v254
	v_mul_lo_u32 v43, v70, v254
	v_cvt_f32_f16_e32 v210, v228
	v_cvt_f32_f16_sdwa v194, v229 dst_sel:DWORD dst_unused:UNUSED_PAD src0_sel:WORD_1
	v_cvt_f32_i32_e32 v43, v43
	v_cvt_f32_i32_e32 v42, v42
	v_mul_lo_u32 v50, v56, v53
	v_mul_lo_u32 v53, v90, v53
	v_cvt_f32_f16_e32 v198, v229
	v_cvt_f32_i32_e32 v215, v53
	v_cvt_f32_i32_e32 v214, v50
	v_pk_fma_f32 v[70:71], v[170:171], v[206:207], 0 op_sel_hi:[0,1,0]
	v_pk_fma_f32 v[42:43], v[42:43], v[210:211], 0 op_sel_hi:[1,1,0]
	;; [unrolled: 1-line block ×3, first 2 shown]
	v_pk_fma_f32 v[42:43], v[214:215], v[198:199], v[42:43]
	v_pk_mul_f32 v[70:71], v[70:71], v[134:135]
	v_mov_b32_e32 v50, 0
	v_pk_fma_f32 v[42:43], v[42:43], v[132:133], v[70:71] neg_lo:[0,0,1] neg_hi:[0,0,1]
	v_dot4c_i32_i8_e32 v50, v164, v4
	v_pk_add_f32 v[22:23], v[22:23], v[42:43]
	v_mov_b32_e32 v42, 0
	v_dot4c_i32_i8_e32 v42, v168, v12
	v_dot4c_i32_i8_e32 v42, v169, v13
	;; [unrolled: 1-line block ×15, first 2 shown]
	v_mul_lo_u32 v53, v60, v201
	v_mul_lo_u32 v42, v42, v201
	v_cvt_f32_i32_e32 v43, v42
	v_cvt_f32_i32_e32 v42, v53
	v_mul_lo_u32 v53, v66, v255
	v_mul_lo_u32 v50, v50, v255
	v_cvt_f32_i32_e32 v165, v50
	v_cvt_f32_i32_e32 v164, v53
	v_pk_fma_f32 v[70:71], v[160:161], v[206:207], 0 op_sel_hi:[0,1,0]
	v_pk_fma_f32 v[42:43], v[42:43], v[210:211], 0 op_sel_hi:[1,1,0]
	;; [unrolled: 1-line block ×3, first 2 shown]
	v_pk_fma_f32 v[42:43], v[164:165], v[198:199], v[42:43]
	v_pk_mul_f32 v[70:71], v[70:71], v[138:139]
	v_mov_b32_e32 v50, 0
	v_pk_fma_f32 v[42:43], v[42:43], v[136:137], v[70:71] neg_lo:[0,0,1] neg_hi:[0,0,1]
	v_dot4c_i32_i8_e32 v50, v166, v4
	v_pk_add_f32 v[20:21], v[20:21], v[42:43]
	v_mov_b32_e32 v42, 0
	v_dot4c_i32_i8_e32 v42, v172, v12
	v_dot4c_i32_i8_e32 v42, v173, v13
	;; [unrolled: 1-line block ×15, first 2 shown]
	v_mul_lo_u32 v53, v82, v253
	v_mul_lo_u32 v42, v42, v253
	v_cvt_f32_i32_e32 v43, v42
	v_cvt_f32_i32_e32 v42, v53
	v_mul_lo_u32 v53, v86, v51
	v_mul_lo_u32 v50, v50, v51
	v_cvt_f32_i32_e32 v51, v50
	v_cvt_f32_i32_e32 v50, v53
	v_pk_fma_f32 v[42:43], v[42:43], v[210:211], 0 op_sel_hi:[1,1,0]
	v_pk_fma_f32 v[70:71], v[162:163], v[206:207], 0 op_sel_hi:[0,1,0]
	s_mov_b32 s19, 8
	v_pk_fma_f32 v[42:43], v[50:51], v[198:199], v[42:43]
	v_pk_fma_f32 v[50:51], v[200:201], v[194:195], v[70:71] op_sel_hi:[0,1,1]
	v_pk_mul_f32 v[50:51], v[50:51], v[142:143]
	s_and_b64 vcc, exec, s[4:5]
	v_pk_fma_f32 v[42:43], v[42:43], v[140:141], v[50:51] neg_lo:[0,0,1] neg_hi:[0,0,1]
	v_mov_b32_e32 v51, 0
	v_dot4c_i32_i8_e32 v51, v174, v12
	v_dot4c_i32_i8_e32 v51, v175, v13
	;; [unrolled: 1-line block ×5, first 2 shown]
	v_mov_b32_e32 v8, 0
	v_dot4c_i32_i8_e32 v8, v158, v4
	v_dot4c_i32_i8_e32 v8, v159, v5
	;; [unrolled: 1-line block ×11, first 2 shown]
	v_mul_lo_u32 v0, v231, v171
	v_mul_lo_u32 v1, v51, v171
	v_cvt_f32_i32_e32 v1, v1
	v_cvt_f32_i32_e32 v0, v0
	v_mul_lo_u32 v4, v230, v163
	v_mul_lo_u32 v5, v8, v163
	v_cvt_f32_i32_e32 v5, v5
	v_cvt_f32_i32_e32 v4, v4
	v_pk_fma_f32 v[2:3], v[150:151], v[206:207], 0 op_sel_hi:[0,1,0]
	v_pk_fma_f32 v[0:1], v[0:1], v[210:211], 0 op_sel_hi:[1,1,0]
	;; [unrolled: 1-line block ×3, first 2 shown]
	v_pk_fma_f32 v[0:1], v[4:5], v[198:199], v[0:1]
	v_pk_mul_f32 v[2:3], v[2:3], v[146:147]
	v_pk_add_f32 v[18:19], v[18:19], v[42:43]
	v_pk_fma_f32 v[0:1], v[0:1], v[144:145], v[2:3] neg_lo:[0,0,1] neg_hi:[0,0,1]
	s_mov_b64 s[4:5], 0
	v_pk_add_f32 v[16:17], v[16:17], v[0:1]
	s_cbranch_vccnz .LBB154_6
; %bb.7:                                ;   in Loop: Header=BB154_5 Depth=1
	v_add_u32_e32 v14, s17, v127
	v_add_u32_e32 v0, v14, v77
	;; [unrolled: 1-line block ×6, first 2 shown]
	v_mad_i64_i32 v[0:1], s[4:5], v0, 36, v[124:125]
	v_mad_i64_i32 v[2:3], s[4:5], v2, 36, v[124:125]
	v_mad_i64_i32 v[4:5], s[4:5], v4, 36, v[124:125]
	v_mad_i64_i32 v[6:7], s[4:5], v6, 36, v[124:125]
	v_mad_i64_i32 v[8:9], s[4:5], v8, 36, v[124:125]
	v_add_u32_e32 v10, v14, v105
	v_add_u32_e32 v12, v14, v111
	;; [unrolled: 1-line block ×3, first 2 shown]
	s_barrier
	v_mad_i64_i32 v[10:11], s[4:5], v10, 36, v[124:125]
	v_mad_i64_i32 v[12:13], s[4:5], v12, 36, v[124:125]
	v_mad_i64_i32 v[14:15], s[4:5], v14, 36, v[124:125]
	global_load_dword v42, v[0:1], off offset:4
	s_nop 0
	global_load_dword v2, v[2:3], off offset:4
	s_nop 0
	global_load_dword v3, v[4:5], off offset:4
	s_nop 0
	global_load_dword v4, v[6:7], off offset:4
	global_load_dword v5, v[8:9], off offset:4
	s_nop 0
	global_load_dword v6, v[10:11], off offset:4
	global_load_dword v7, v[12:13], off offset:4
	;; [unrolled: 1-line block ×3, first 2 shown]
	v_add_u32_e32 v0, 4, v161
	v_mad_u64_u32 v[0:1], s[4:5], v0, 36, s[2:3]
	global_load_dword v0, v[0:1], off
	s_mov_b32 s4, 16
	s_waitcnt vmcnt(8)
	ds_write_b32 v102, v42
	s_waitcnt vmcnt(7)
	ds_write_b32 v85, v2
	;; [unrolled: 2-line block ×9, first 2 shown]
	s_waitcnt lgkmcnt(0)
	s_barrier
	ds_read_b32 v0, v123
	ds_read_b32 v1, v149 offset:128
	ds_read_b32 v2, v197 offset:256
	;; [unrolled: 1-line block ×3, first 2 shown]
	s_waitcnt lgkmcnt(2)
	v_cvt_f32_f16_e32 v136, v1
	v_cvt_f32_f16_e32 v132, v0
	v_cvt_f32_f16_sdwa v134, v0 dst_sel:DWORD dst_unused:UNUSED_PAD src0_sel:WORD_1
	v_cvt_f32_f16_sdwa v138, v1 dst_sel:DWORD dst_unused:UNUSED_PAD src0_sel:WORD_1
	s_waitcnt lgkmcnt(1)
	v_cvt_f32_f16_e32 v140, v2
	v_cvt_f32_f16_sdwa v142, v2 dst_sel:DWORD dst_unused:UNUSED_PAD src0_sel:WORD_1
	s_waitcnt lgkmcnt(0)
	v_cvt_f32_f16_e32 v144, v3
	v_cvt_f32_f16_sdwa v146, v3 dst_sel:DWORD dst_unused:UNUSED_PAD src0_sel:WORD_1
	v_mov_b32_e32 v133, v132
	v_mov_b32_e32 v135, v134
	;; [unrolled: 1-line block ×8, first 2 shown]
.LBB154_8:                              ;   Parent Loop BB154_5 Depth=1
                                        ; =>  This Inner Loop Header: Depth=2
	s_lshr_b32 s5, s4, 2
	s_and_b32 s17, s5, 0x3ffffffe
	s_lshl_b32 s5, s4, 1
	s_and_b32 s5, s5, 16
	v_or_b32_e32 v0, s5, v59
	v_lshlrev_b32_e32 v1, 2, v0
	v_lshrrev_b32_e32 v42, 1, v0
	s_add_i32 s17, s17, 0xa200
	s_lshl_b32 s18, s4, 3
	ds_read_b128 v[12:15], v1 offset:33280
	ds_read_b128 v[8:11], v1 offset:33296
	;; [unrolled: 1-line block ×4, first 2 shown]
	ds_read_b64 v[228:229], v42 offset:43584
	v_add3_u32 v42, s17, v248, v249
	v_add_u32_e32 v43, s18, v239
	ds_read2_b32 v[212:213], v43 offset1:1
	ds_read2_b32 v[214:215], v43 offset0:2 offset1:3
	ds_read2_b32 v[216:217], v43 offset0:4 offset1:5
	;; [unrolled: 1-line block ×3, first 2 shown]
	ds_read_u16 v50, v42
	ds_read_u16 v42, v42 offset:8
	ds_read2_b32 v[194:195], v43 offset0:8 offset1:9
	ds_read2_b32 v[222:223], v43 offset0:10 offset1:11
	ds_read2_b32 v[224:225], v43 offset0:12 offset1:13
	ds_read2_b32 v[226:227], v43 offset0:14 offset1:15
	s_waitcnt lgkmcnt(4)
	v_cvt_f32_ubyte0_e32 v174, v42
	v_cvt_f32_ubyte1_e32 v220, v42
	v_add3_u32 v42, s17, v250, v245
	v_add_u32_e32 v43, s18, v240
	v_and_b32_e32 v253, 0xff, v50
	v_lshrrev_b16_e32 v53, 8, v50
	ds_read2_b32 v[164:165], v43 offset1:1
	ds_read2_b32 v[182:183], v43 offset0:2 offset1:3
	ds_read2_b32 v[188:189], v43 offset0:4 offset1:5
	;; [unrolled: 1-line block ×3, first 2 shown]
	ds_read_u16 v50, v42
	ds_read_u16 v42, v42 offset:8
	ds_read2_b32 v[172:173], v43 offset0:8 offset1:9
	ds_read2_b32 v[202:203], v43 offset0:10 offset1:11
	;; [unrolled: 1-line block ×4, first 2 shown]
	s_waitcnt lgkmcnt(4)
	v_cvt_f32_ubyte0_e32 v168, v42
	v_cvt_f32_ubyte1_e32 v198, v42
	v_add3_u32 v42, s17, v251, v246
	v_add_u32_e32 v43, s18, v241
	v_and_b32_e32 v199, 0xff, v50
	v_lshrrev_b16_e32 v254, 8, v50
	ds_read2_b32 v[162:163], v43 offset1:1
	ds_read2_b32 v[178:179], v43 offset0:2 offset1:3
	ds_read2_b32 v[184:185], v43 offset0:4 offset1:5
	ds_read2_b32 v[190:191], v43 offset0:6 offset1:7
	ds_read_u16 v50, v42
	ds_read_u16 v42, v42 offset:8
	ds_read2_b32 v[170:171], v43 offset0:8 offset1:9
	ds_read2_b32 v[200:201], v43 offset0:10 offset1:11
	;; [unrolled: 1-line block ×4, first 2 shown]
	v_add_u32_e32 v43, s18, v242
	ds_read2_b32 v[160:161], v43 offset1:1
	ds_read2_b32 v[176:177], v43 offset0:2 offset1:3
	ds_read2_b32 v[180:181], v43 offset0:4 offset1:5
	;; [unrolled: 1-line block ×3, first 2 shown]
	v_mov_b32_e32 v66, 0
	v_mov_b32_e32 v60, 0
	v_mov_b32_e32 v56, 0
	s_waitcnt lgkmcnt(9)
	v_and_b32_e32 v175, 0xff, v50
	v_lshrrev_b16_e32 v51, 8, v50
	v_mov_b32_e32 v50, 0
	v_dot4c_i32_i8_e32 v66, v212, v12
	v_dot4c_i32_i8_e32 v60, v164, v12
	;; [unrolled: 1-line block ×3, first 2 shown]
	s_waitcnt lgkmcnt(3)
	v_dot4c_i32_i8_e32 v50, v160, v12
	v_dot4c_i32_i8_e32 v66, v213, v13
	;; [unrolled: 1-line block ×8, first 2 shown]
	s_waitcnt lgkmcnt(2)
	v_dot4c_i32_i8_e32 v50, v176, v14
	v_dot4c_i32_i8_e32 v66, v215, v15
	;; [unrolled: 1-line block ×8, first 2 shown]
	v_cvt_f32_ubyte0_e32 v166, v42
	v_cvt_f32_ubyte1_e32 v196, v42
	v_add3_u32 v42, s17, v252, v247
	s_waitcnt lgkmcnt(1)
	v_dot4c_i32_i8_e32 v50, v180, v8
	v_dot4c_i32_i8_e32 v66, v217, v9
	;; [unrolled: 1-line block ×5, first 2 shown]
	ds_read_u16 v8, v42
	ds_read_u16 v9, v42 offset:8
	ds_read2_b32 v[158:159], v43 offset0:8 offset1:9
	ds_read2_b32 v[152:153], v43 offset0:10 offset1:11
	;; [unrolled: 1-line block ×4, first 2 shown]
	v_mov_b32_e32 v82, 0
	v_mov_b32_e32 v86, 0
	;; [unrolled: 1-line block ×4, first 2 shown]
	v_dot4c_i32_i8_e32 v82, v194, v4
	v_dot4c_i32_i8_e32 v86, v172, v4
	v_dot4c_i32_i8_e32 v90, v170, v4
	s_waitcnt lgkmcnt(3)
	v_dot4c_i32_i8_e32 v94, v158, v4
	v_dot4c_i32_i8_e32 v82, v195, v5
	v_dot4c_i32_i8_e32 v86, v173, v5
	v_dot4c_i32_i8_e32 v90, v171, v5
	v_dot4c_i32_i8_e32 v94, v159, v5
	v_dot4c_i32_i8_e32 v82, v222, v6
	v_dot4c_i32_i8_e32 v86, v202, v6
	v_dot4c_i32_i8_e32 v90, v200, v6
	s_waitcnt lgkmcnt(2)
	v_dot4c_i32_i8_e32 v94, v152, v6
	v_dot4c_i32_i8_e32 v82, v223, v7
	v_dot4c_i32_i8_e32 v86, v203, v7
	v_dot4c_i32_i8_e32 v90, v201, v7
	v_dot4c_i32_i8_e32 v94, v153, v7
	;; [unrolled: 9-line block ×3, first 2 shown]
	v_or_b32_e32 v0, s5, v83
	v_dot4c_i32_i8_e32 v66, v218, v10
	v_dot4c_i32_i8_e32 v82, v226, v2
	;; [unrolled: 1-line block ×7, first 2 shown]
	s_waitcnt lgkmcnt(0)
	v_dot4c_i32_i8_e32 v94, v156, v2
	v_lshlrev_b32_e32 v1, 2, v0
	v_lshrrev_b32_e32 v42, 1, v0
	v_dot4c_i32_i8_e32 v66, v219, v11
	v_dot4c_i32_i8_e32 v82, v227, v3
	;; [unrolled: 1-line block ×7, first 2 shown]
	v_and_b32_e32 v169, 0xff, v8
	v_cvt_f32_ubyte0_e32 v150, v9
	v_dot4c_i32_i8_e32 v94, v157, v3
	v_lshrrev_b16_e32 v167, 8, v8
	v_cvt_f32_ubyte1_e32 v148, v9
	ds_read_b128 v[12:15], v1 offset:33280
	ds_read_b128 v[8:11], v1 offset:33296
	;; [unrolled: 1-line block ×4, first 2 shown]
	ds_read_b64 v[42:43], v42 offset:43584
	v_mov_b32_e32 v70, 0
	s_waitcnt lgkmcnt(4)
	v_dot4c_i32_i8_e32 v70, v212, v12
	v_mov_b32_e32 v98, 0
	v_dot4c_i32_i8_e32 v70, v213, v13
	s_waitcnt lgkmcnt(2)
	v_dot4c_i32_i8_e32 v98, v194, v4
	v_dot4c_i32_i8_e32 v70, v214, v14
	;; [unrolled: 1-line block ×8, first 2 shown]
	s_waitcnt lgkmcnt(1)
	v_dot4c_i32_i8_e32 v98, v224, v0
	v_dot4c_i32_i8_e32 v70, v218, v10
	;; [unrolled: 1-line block ×6, first 2 shown]
	s_waitcnt lgkmcnt(0)
	v_cvt_f32_f16_e32 v235, v42
	v_cvt_f32_f16_sdwa v237, v42 dst_sel:DWORD dst_unused:UNUSED_PAD src0_sel:WORD_1
	v_cvt_f32_f16_sdwa v236, v228 dst_sel:DWORD dst_unused:UNUSED_PAD src0_sel:WORD_1
	v_cvt_f32_f16_e32 v231, v43
	v_cvt_f32_f16_sdwa v233, v43 dst_sel:DWORD dst_unused:UNUSED_PAD src0_sel:WORD_1
	v_mul_lo_u32 v42, v66, v253
	v_mul_lo_u32 v43, v70, v253
	v_cvt_f32_f16_e32 v234, v228
	v_cvt_f32_f16_sdwa v232, v229 dst_sel:DWORD dst_unused:UNUSED_PAD src0_sel:WORD_1
	v_cvt_f32_i32_e32 v43, v43
	v_cvt_f32_i32_e32 v42, v42
	v_mul_lo_u32 v66, v82, v53
	v_mul_lo_u32 v82, v98, v53
	v_cvt_f32_f16_e32 v230, v229
	v_cvt_f32_i32_e32 v229, v82
	v_cvt_f32_i32_e32 v228, v66
	v_pk_fma_f32 v[70:71], v[174:175], v[236:237], 0 op_sel_hi:[0,1,0]
	v_pk_fma_f32 v[42:43], v[234:235], v[42:43], 0 op_sel_hi:[1,1,0]
	;; [unrolled: 1-line block ×3, first 2 shown]
	v_pk_fma_f32 v[42:43], v[230:231], v[228:229], v[42:43]
	v_pk_mul_f32 v[70:71], v[70:71], v[134:135]
	v_mov_b32_e32 v66, 0
	v_pk_fma_f32 v[42:43], v[42:43], v[132:133], v[70:71] neg_lo:[0,0,1] neg_hi:[0,0,1]
	v_dot4c_i32_i8_e32 v66, v172, v4
	v_pk_add_f32 v[64:65], v[64:65], v[42:43]
	v_mov_b32_e32 v42, 0
	v_dot4c_i32_i8_e32 v42, v164, v12
	v_dot4c_i32_i8_e32 v42, v165, v13
	v_dot4c_i32_i8_e32 v42, v182, v14
	v_dot4c_i32_i8_e32 v66, v173, v5
	v_dot4c_i32_i8_e32 v42, v183, v15
	v_dot4c_i32_i8_e32 v66, v202, v6
	v_dot4c_i32_i8_e32 v42, v188, v8
	v_dot4c_i32_i8_e32 v66, v203, v7
	v_dot4c_i32_i8_e32 v42, v189, v9
	v_dot4c_i32_i8_e32 v66, v206, v0
	v_dot4c_i32_i8_e32 v42, v192, v10
	v_dot4c_i32_i8_e32 v66, v207, v1
	v_dot4c_i32_i8_e32 v42, v193, v11
	v_dot4c_i32_i8_e32 v66, v210, v2
	v_dot4c_i32_i8_e32 v66, v211, v3
	v_mul_lo_u32 v60, v60, v199
	v_mul_lo_u32 v42, v42, v199
	v_cvt_f32_i32_e32 v43, v42
	v_cvt_f32_i32_e32 v42, v60
	v_mul_lo_u32 v60, v86, v254
	v_mul_lo_u32 v66, v66, v254
	v_cvt_f32_i32_e32 v229, v66
	v_cvt_f32_i32_e32 v228, v60
	v_pk_fma_f32 v[70:71], v[168:169], v[236:237], 0 op_sel_hi:[0,1,0]
	v_pk_fma_f32 v[42:43], v[234:235], v[42:43], 0 op_sel_hi:[1,1,0]
	;; [unrolled: 1-line block ×3, first 2 shown]
	v_pk_fma_f32 v[42:43], v[230:231], v[228:229], v[42:43]
	v_pk_mul_f32 v[70:71], v[70:71], v[138:139]
	v_mov_b32_e32 v60, 0
	v_pk_fma_f32 v[42:43], v[42:43], v[136:137], v[70:71] neg_lo:[0,0,1] neg_hi:[0,0,1]
	v_dot4c_i32_i8_e32 v60, v170, v4
	v_pk_add_f32 v[54:55], v[54:55], v[42:43]
	v_mov_b32_e32 v42, 0
	v_dot4c_i32_i8_e32 v42, v162, v12
	v_dot4c_i32_i8_e32 v42, v163, v13
	;; [unrolled: 1-line block ×15, first 2 shown]
	v_mul_lo_u32 v56, v56, v175
	v_mul_lo_u32 v42, v42, v175
	v_cvt_f32_i32_e32 v43, v42
	v_cvt_f32_i32_e32 v42, v56
	v_mul_lo_u32 v56, v90, v51
	v_mul_lo_u32 v60, v60, v51
	v_cvt_f32_i32_e32 v229, v60
	v_cvt_f32_i32_e32 v228, v56
	v_pk_fma_f32 v[70:71], v[166:167], v[236:237], 0 op_sel_hi:[0,1,0]
	v_pk_fma_f32 v[42:43], v[234:235], v[42:43], 0 op_sel_hi:[1,1,0]
	;; [unrolled: 1-line block ×3, first 2 shown]
	v_pk_fma_f32 v[42:43], v[230:231], v[228:229], v[42:43]
	v_pk_mul_f32 v[70:71], v[70:71], v[142:143]
	v_mov_b32_e32 v56, 0
	v_pk_fma_f32 v[42:43], v[42:43], v[140:141], v[70:71] neg_lo:[0,0,1] neg_hi:[0,0,1]
	v_mov_b32_e32 v60, 0
	v_pk_add_f32 v[46:47], v[46:47], v[42:43]
	v_mov_b32_e32 v42, 0
	v_dot4c_i32_i8_e32 v42, v160, v12
	v_dot4c_i32_i8_e32 v42, v161, v13
	;; [unrolled: 1-line block ×5, first 2 shown]
	v_mov_b32_e32 v8, 0
	v_dot4c_i32_i8_e32 v8, v158, v4
	v_dot4c_i32_i8_e32 v8, v159, v5
	;; [unrolled: 1-line block ×11, first 2 shown]
	v_mul_lo_u32 v0, v50, v169
	v_mul_lo_u32 v1, v42, v169
	v_cvt_f32_i32_e32 v1, v1
	v_cvt_f32_i32_e32 v0, v0
	v_mul_lo_u32 v4, v94, v167
	v_mul_lo_u32 v5, v8, v167
	v_cvt_f32_i32_e32 v5, v5
	v_cvt_f32_i32_e32 v4, v4
	v_pk_fma_f32 v[2:3], v[150:151], v[236:237], 0 op_sel_hi:[0,1,0]
	v_pk_fma_f32 v[0:1], v[234:235], v[0:1], 0 op_sel_hi:[1,1,0]
	v_pk_fma_f32 v[2:3], v[148:149], v[232:233], v[2:3] op_sel_hi:[0,1,1]
	v_pk_fma_f32 v[0:1], v[230:231], v[4:5], v[0:1]
	v_pk_mul_f32 v[2:3], v[2:3], v[146:147]
	v_mov_b32_e32 v50, 0
	v_pk_fma_f32 v[0:1], v[0:1], v[144:145], v[2:3] neg_lo:[0,0,1] neg_hi:[0,0,1]
	v_mov_b32_e32 v66, 0
	v_pk_add_f32 v[40:41], v[40:41], v[0:1]
	v_or_b32_e32 v0, s5, v89
	v_lshlrev_b32_e32 v1, 2, v0
	v_lshrrev_b32_e32 v42, 1, v0
	ds_read_b128 v[12:15], v1 offset:33280
	ds_read_b128 v[8:11], v1 offset:33296
	;; [unrolled: 1-line block ×4, first 2 shown]
	ds_read_b64 v[228:229], v42 offset:43584
	v_mov_b32_e32 v82, 0
	v_mov_b32_e32 v86, 0
	;; [unrolled: 1-line block ×4, first 2 shown]
	s_waitcnt lgkmcnt(4)
	v_dot4c_i32_i8_e32 v50, v212, v12
	s_waitcnt lgkmcnt(2)
	v_dot4c_i32_i8_e32 v56, v194, v4
	v_dot4c_i32_i8_e32 v60, v164, v12
	;; [unrolled: 1-line block ×32, first 2 shown]
	s_waitcnt lgkmcnt(1)
	v_dot4c_i32_i8_e32 v56, v224, v0
	v_dot4c_i32_i8_e32 v60, v188, v8
	;; [unrolled: 1-line block ×15, first 2 shown]
	v_or_b32_e32 v0, s5, v95
	v_dot4c_i32_i8_e32 v50, v218, v10
	v_dot4c_i32_i8_e32 v56, v226, v2
	;; [unrolled: 1-line block ×8, first 2 shown]
	v_lshlrev_b32_e32 v1, 2, v0
	v_lshrrev_b32_e32 v42, 1, v0
	v_dot4c_i32_i8_e32 v50, v219, v11
	v_dot4c_i32_i8_e32 v56, v227, v3
	;; [unrolled: 1-line block ×8, first 2 shown]
	ds_read_b128 v[12:15], v1 offset:33280
	ds_read_b128 v[8:11], v1 offset:33296
	;; [unrolled: 1-line block ×4, first 2 shown]
	ds_read_b64 v[42:43], v42 offset:43584
	v_mov_b32_e32 v70, 0
	s_waitcnt lgkmcnt(4)
	v_dot4c_i32_i8_e32 v70, v212, v12
	v_mov_b32_e32 v98, 0
	v_dot4c_i32_i8_e32 v70, v213, v13
	s_waitcnt lgkmcnt(2)
	v_dot4c_i32_i8_e32 v98, v194, v4
	v_dot4c_i32_i8_e32 v70, v214, v14
	;; [unrolled: 1-line block ×8, first 2 shown]
	s_waitcnt lgkmcnt(1)
	v_dot4c_i32_i8_e32 v98, v224, v0
	v_dot4c_i32_i8_e32 v70, v218, v10
	;; [unrolled: 1-line block ×6, first 2 shown]
	s_waitcnt lgkmcnt(0)
	v_cvt_f32_f16_e32 v235, v42
	v_cvt_f32_f16_sdwa v237, v42 dst_sel:DWORD dst_unused:UNUSED_PAD src0_sel:WORD_1
	v_cvt_f32_f16_sdwa v236, v228 dst_sel:DWORD dst_unused:UNUSED_PAD src0_sel:WORD_1
	v_cvt_f32_f16_e32 v231, v43
	v_cvt_f32_f16_sdwa v233, v43 dst_sel:DWORD dst_unused:UNUSED_PAD src0_sel:WORD_1
	v_mul_lo_u32 v42, v50, v253
	v_mul_lo_u32 v43, v70, v253
	v_cvt_f32_f16_e32 v234, v228
	v_cvt_f32_f16_sdwa v232, v229 dst_sel:DWORD dst_unused:UNUSED_PAD src0_sel:WORD_1
	v_cvt_f32_i32_e32 v43, v43
	v_cvt_f32_i32_e32 v42, v42
	v_mul_lo_u32 v50, v56, v53
	v_mul_lo_u32 v56, v98, v53
	v_cvt_f32_f16_e32 v230, v229
	v_cvt_f32_i32_e32 v229, v56
	v_cvt_f32_i32_e32 v228, v50
	v_pk_fma_f32 v[70:71], v[174:175], v[236:237], 0 op_sel_hi:[0,1,0]
	v_pk_fma_f32 v[42:43], v[42:43], v[234:235], 0 op_sel_hi:[1,1,0]
	;; [unrolled: 1-line block ×3, first 2 shown]
	v_pk_fma_f32 v[42:43], v[228:229], v[230:231], v[42:43]
	v_pk_mul_f32 v[70:71], v[70:71], v[134:135]
	v_mov_b32_e32 v50, 0
	v_pk_fma_f32 v[42:43], v[42:43], v[132:133], v[70:71] neg_lo:[0,0,1] neg_hi:[0,0,1]
	v_dot4c_i32_i8_e32 v50, v172, v4
	v_pk_add_f32 v[38:39], v[38:39], v[42:43]
	v_mov_b32_e32 v42, 0
	v_dot4c_i32_i8_e32 v42, v164, v12
	v_dot4c_i32_i8_e32 v42, v165, v13
	;; [unrolled: 1-line block ×15, first 2 shown]
	v_mul_lo_u32 v56, v60, v199
	v_mul_lo_u32 v42, v42, v199
	v_cvt_f32_i32_e32 v43, v42
	v_cvt_f32_i32_e32 v42, v56
	v_mul_lo_u32 v56, v66, v254
	v_mul_lo_u32 v50, v50, v254
	v_cvt_f32_i32_e32 v229, v50
	v_cvt_f32_i32_e32 v228, v56
	v_pk_fma_f32 v[70:71], v[168:169], v[236:237], 0 op_sel_hi:[0,1,0]
	v_pk_fma_f32 v[42:43], v[42:43], v[234:235], 0 op_sel_hi:[1,1,0]
	;; [unrolled: 1-line block ×3, first 2 shown]
	v_pk_fma_f32 v[42:43], v[228:229], v[230:231], v[42:43]
	v_pk_mul_f32 v[70:71], v[70:71], v[138:139]
	v_mov_b32_e32 v50, 0
	v_pk_fma_f32 v[42:43], v[42:43], v[136:137], v[70:71] neg_lo:[0,0,1] neg_hi:[0,0,1]
	v_dot4c_i32_i8_e32 v50, v170, v4
	v_pk_add_f32 v[36:37], v[36:37], v[42:43]
	v_mov_b32_e32 v42, 0
	v_dot4c_i32_i8_e32 v42, v162, v12
	v_dot4c_i32_i8_e32 v42, v163, v13
	;; [unrolled: 1-line block ×15, first 2 shown]
	v_mul_lo_u32 v56, v82, v175
	v_mul_lo_u32 v42, v42, v175
	v_cvt_f32_i32_e32 v43, v42
	v_cvt_f32_i32_e32 v42, v56
	v_mul_lo_u32 v56, v86, v51
	v_mul_lo_u32 v50, v50, v51
	v_cvt_f32_i32_e32 v229, v50
	v_cvt_f32_i32_e32 v228, v56
	v_pk_fma_f32 v[70:71], v[166:167], v[236:237], 0 op_sel_hi:[0,1,0]
	v_pk_fma_f32 v[42:43], v[42:43], v[234:235], 0 op_sel_hi:[1,1,0]
	;; [unrolled: 1-line block ×3, first 2 shown]
	v_pk_fma_f32 v[42:43], v[228:229], v[230:231], v[42:43]
	v_pk_mul_f32 v[70:71], v[70:71], v[142:143]
	v_mov_b32_e32 v50, 0
	v_pk_fma_f32 v[42:43], v[42:43], v[140:141], v[70:71] neg_lo:[0,0,1] neg_hi:[0,0,1]
	v_mov_b32_e32 v56, 0
	v_pk_add_f32 v[34:35], v[34:35], v[42:43]
	v_mov_b32_e32 v42, 0
	v_dot4c_i32_i8_e32 v42, v160, v12
	v_dot4c_i32_i8_e32 v42, v161, v13
	;; [unrolled: 1-line block ×5, first 2 shown]
	v_mov_b32_e32 v8, 0
	v_dot4c_i32_i8_e32 v8, v158, v4
	v_dot4c_i32_i8_e32 v8, v159, v5
	;; [unrolled: 1-line block ×11, first 2 shown]
	v_mul_lo_u32 v0, v90, v169
	v_mul_lo_u32 v1, v42, v169
	v_cvt_f32_i32_e32 v1, v1
	v_cvt_f32_i32_e32 v0, v0
	v_mul_lo_u32 v4, v94, v167
	v_mul_lo_u32 v5, v8, v167
	v_cvt_f32_i32_e32 v5, v5
	v_cvt_f32_i32_e32 v4, v4
	v_pk_fma_f32 v[2:3], v[150:151], v[236:237], 0 op_sel_hi:[0,1,0]
	v_pk_fma_f32 v[0:1], v[0:1], v[234:235], 0 op_sel_hi:[1,1,0]
	;; [unrolled: 1-line block ×3, first 2 shown]
	v_pk_fma_f32 v[0:1], v[4:5], v[230:231], v[0:1]
	v_pk_mul_f32 v[2:3], v[2:3], v[146:147]
	v_mov_b32_e32 v60, 0
	v_pk_fma_f32 v[0:1], v[0:1], v[144:145], v[2:3] neg_lo:[0,0,1] neg_hi:[0,0,1]
	v_mov_b32_e32 v66, 0
	v_pk_add_f32 v[32:33], v[32:33], v[0:1]
	v_or_b32_e32 v0, s5, v101
	v_lshlrev_b32_e32 v1, 2, v0
	v_lshrrev_b32_e32 v42, 1, v0
	ds_read_b128 v[12:15], v1 offset:33280
	ds_read_b128 v[8:11], v1 offset:33296
	;; [unrolled: 1-line block ×4, first 2 shown]
	ds_read_b64 v[228:229], v42 offset:43584
	v_mov_b32_e32 v82, 0
	v_mov_b32_e32 v86, 0
	;; [unrolled: 1-line block ×4, first 2 shown]
	s_waitcnt lgkmcnt(4)
	v_dot4c_i32_i8_e32 v50, v212, v12
	s_waitcnt lgkmcnt(2)
	v_dot4c_i32_i8_e32 v56, v194, v4
	v_dot4c_i32_i8_e32 v60, v164, v12
	;; [unrolled: 1-line block ×32, first 2 shown]
	s_waitcnt lgkmcnt(1)
	v_dot4c_i32_i8_e32 v56, v224, v0
	v_dot4c_i32_i8_e32 v60, v188, v8
	;; [unrolled: 1-line block ×15, first 2 shown]
	v_or_b32_e32 v0, s5, v107
	v_dot4c_i32_i8_e32 v50, v218, v10
	v_dot4c_i32_i8_e32 v56, v226, v2
	;; [unrolled: 1-line block ×8, first 2 shown]
	v_lshlrev_b32_e32 v1, 2, v0
	v_lshrrev_b32_e32 v42, 1, v0
	v_dot4c_i32_i8_e32 v50, v219, v11
	v_dot4c_i32_i8_e32 v56, v227, v3
	;; [unrolled: 1-line block ×8, first 2 shown]
	ds_read_b128 v[12:15], v1 offset:33280
	ds_read_b128 v[8:11], v1 offset:33296
	;; [unrolled: 1-line block ×4, first 2 shown]
	ds_read_b64 v[42:43], v42 offset:43584
	v_mov_b32_e32 v70, 0
	s_waitcnt lgkmcnt(4)
	v_dot4c_i32_i8_e32 v70, v212, v12
	v_mov_b32_e32 v98, 0
	v_dot4c_i32_i8_e32 v70, v213, v13
	s_waitcnt lgkmcnt(2)
	v_dot4c_i32_i8_e32 v98, v194, v4
	v_dot4c_i32_i8_e32 v70, v214, v14
	;; [unrolled: 1-line block ×8, first 2 shown]
	s_waitcnt lgkmcnt(1)
	v_dot4c_i32_i8_e32 v98, v224, v0
	v_dot4c_i32_i8_e32 v70, v218, v10
	;; [unrolled: 1-line block ×6, first 2 shown]
	s_waitcnt lgkmcnt(0)
	v_cvt_f32_f16_e32 v235, v42
	v_cvt_f32_f16_sdwa v237, v42 dst_sel:DWORD dst_unused:UNUSED_PAD src0_sel:WORD_1
	v_cvt_f32_f16_sdwa v236, v228 dst_sel:DWORD dst_unused:UNUSED_PAD src0_sel:WORD_1
	v_cvt_f32_f16_e32 v231, v43
	v_cvt_f32_f16_sdwa v233, v43 dst_sel:DWORD dst_unused:UNUSED_PAD src0_sel:WORD_1
	v_mul_lo_u32 v42, v50, v253
	v_mul_lo_u32 v43, v70, v253
	v_cvt_f32_f16_e32 v234, v228
	v_cvt_f32_f16_sdwa v232, v229 dst_sel:DWORD dst_unused:UNUSED_PAD src0_sel:WORD_1
	v_cvt_f32_i32_e32 v43, v43
	v_cvt_f32_i32_e32 v42, v42
	v_mul_lo_u32 v50, v56, v53
	v_mul_lo_u32 v56, v98, v53
	v_cvt_f32_f16_e32 v230, v229
	v_cvt_f32_i32_e32 v229, v56
	v_cvt_f32_i32_e32 v228, v50
	v_pk_fma_f32 v[70:71], v[174:175], v[236:237], 0 op_sel_hi:[0,1,0]
	v_pk_fma_f32 v[42:43], v[42:43], v[234:235], 0 op_sel_hi:[1,1,0]
	v_pk_fma_f32 v[70:71], v[220:221], v[232:233], v[70:71] op_sel_hi:[0,1,1]
	v_pk_fma_f32 v[42:43], v[228:229], v[230:231], v[42:43]
	v_pk_mul_f32 v[70:71], v[70:71], v[134:135]
	v_mov_b32_e32 v50, 0
	v_pk_fma_f32 v[42:43], v[42:43], v[132:133], v[70:71] neg_lo:[0,0,1] neg_hi:[0,0,1]
	v_dot4c_i32_i8_e32 v50, v172, v4
	v_pk_add_f32 v[30:31], v[30:31], v[42:43]
	v_mov_b32_e32 v42, 0
	v_dot4c_i32_i8_e32 v42, v164, v12
	v_dot4c_i32_i8_e32 v42, v165, v13
	;; [unrolled: 1-line block ×15, first 2 shown]
	v_mul_lo_u32 v56, v60, v199
	v_mul_lo_u32 v42, v42, v199
	v_cvt_f32_i32_e32 v43, v42
	v_cvt_f32_i32_e32 v42, v56
	v_mul_lo_u32 v56, v66, v254
	v_mul_lo_u32 v50, v50, v254
	v_cvt_f32_i32_e32 v229, v50
	v_cvt_f32_i32_e32 v228, v56
	v_pk_fma_f32 v[70:71], v[168:169], v[236:237], 0 op_sel_hi:[0,1,0]
	v_pk_fma_f32 v[42:43], v[42:43], v[234:235], 0 op_sel_hi:[1,1,0]
	;; [unrolled: 1-line block ×3, first 2 shown]
	v_pk_fma_f32 v[42:43], v[228:229], v[230:231], v[42:43]
	v_pk_mul_f32 v[70:71], v[70:71], v[138:139]
	v_mov_b32_e32 v50, 0
	v_pk_fma_f32 v[42:43], v[42:43], v[136:137], v[70:71] neg_lo:[0,0,1] neg_hi:[0,0,1]
	v_dot4c_i32_i8_e32 v50, v170, v4
	v_pk_add_f32 v[28:29], v[28:29], v[42:43]
	v_mov_b32_e32 v42, 0
	v_dot4c_i32_i8_e32 v42, v162, v12
	v_dot4c_i32_i8_e32 v42, v163, v13
	;; [unrolled: 1-line block ×15, first 2 shown]
	v_mul_lo_u32 v56, v82, v175
	v_mul_lo_u32 v42, v42, v175
	v_cvt_f32_i32_e32 v43, v42
	v_cvt_f32_i32_e32 v42, v56
	v_mul_lo_u32 v56, v86, v51
	v_mul_lo_u32 v50, v50, v51
	v_cvt_f32_i32_e32 v229, v50
	v_cvt_f32_i32_e32 v228, v56
	v_pk_fma_f32 v[70:71], v[166:167], v[236:237], 0 op_sel_hi:[0,1,0]
	v_pk_fma_f32 v[42:43], v[42:43], v[234:235], 0 op_sel_hi:[1,1,0]
	;; [unrolled: 1-line block ×3, first 2 shown]
	v_pk_fma_f32 v[42:43], v[228:229], v[230:231], v[42:43]
	v_pk_mul_f32 v[70:71], v[70:71], v[142:143]
	v_mov_b32_e32 v50, 0
	v_pk_fma_f32 v[42:43], v[42:43], v[140:141], v[70:71] neg_lo:[0,0,1] neg_hi:[0,0,1]
	v_mov_b32_e32 v56, 0
	v_pk_add_f32 v[26:27], v[26:27], v[42:43]
	v_mov_b32_e32 v42, 0
	v_dot4c_i32_i8_e32 v42, v160, v12
	v_dot4c_i32_i8_e32 v42, v161, v13
	;; [unrolled: 1-line block ×5, first 2 shown]
	v_mov_b32_e32 v8, 0
	v_dot4c_i32_i8_e32 v8, v158, v4
	v_dot4c_i32_i8_e32 v8, v159, v5
	;; [unrolled: 1-line block ×11, first 2 shown]
	v_mul_lo_u32 v0, v90, v169
	v_mul_lo_u32 v1, v42, v169
	v_cvt_f32_i32_e32 v1, v1
	v_cvt_f32_i32_e32 v0, v0
	v_mul_lo_u32 v4, v94, v167
	v_mul_lo_u32 v5, v8, v167
	v_cvt_f32_i32_e32 v5, v5
	v_cvt_f32_i32_e32 v4, v4
	v_pk_fma_f32 v[2:3], v[150:151], v[236:237], 0 op_sel_hi:[0,1,0]
	v_pk_fma_f32 v[0:1], v[0:1], v[234:235], 0 op_sel_hi:[1,1,0]
	;; [unrolled: 1-line block ×3, first 2 shown]
	v_pk_fma_f32 v[0:1], v[4:5], v[230:231], v[0:1]
	v_pk_mul_f32 v[2:3], v[2:3], v[146:147]
	v_mov_b32_e32 v60, 0
	v_pk_fma_f32 v[0:1], v[0:1], v[144:145], v[2:3] neg_lo:[0,0,1] neg_hi:[0,0,1]
	v_mov_b32_e32 v66, 0
	v_pk_add_f32 v[24:25], v[24:25], v[0:1]
	v_or_b32_e32 v0, s5, v113
	v_lshlrev_b32_e32 v1, 2, v0
	v_lshrrev_b32_e32 v42, 1, v0
	ds_read_b128 v[12:15], v1 offset:33280
	ds_read_b128 v[8:11], v1 offset:33296
	;; [unrolled: 1-line block ×4, first 2 shown]
	ds_read_b64 v[228:229], v42 offset:43584
	v_mov_b32_e32 v82, 0
	v_mov_b32_e32 v86, 0
	;; [unrolled: 1-line block ×4, first 2 shown]
	s_waitcnt lgkmcnt(4)
	v_dot4c_i32_i8_e32 v50, v212, v12
	s_waitcnt lgkmcnt(2)
	v_dot4c_i32_i8_e32 v56, v194, v4
	v_dot4c_i32_i8_e32 v60, v164, v12
	;; [unrolled: 1-line block ×32, first 2 shown]
	s_waitcnt lgkmcnt(1)
	v_dot4c_i32_i8_e32 v56, v224, v0
	v_dot4c_i32_i8_e32 v60, v188, v8
	;; [unrolled: 1-line block ×15, first 2 shown]
	v_or_b32_e32 v0, s5, v119
	v_dot4c_i32_i8_e32 v50, v218, v10
	v_dot4c_i32_i8_e32 v56, v226, v2
	;; [unrolled: 1-line block ×8, first 2 shown]
	v_lshlrev_b32_e32 v1, 2, v0
	v_lshrrev_b32_e32 v42, 1, v0
	v_dot4c_i32_i8_e32 v50, v219, v11
	v_dot4c_i32_i8_e32 v56, v227, v3
	;; [unrolled: 1-line block ×8, first 2 shown]
	ds_read_b128 v[12:15], v1 offset:33280
	ds_read_b128 v[8:11], v1 offset:33296
	;; [unrolled: 1-line block ×4, first 2 shown]
	ds_read_b64 v[42:43], v42 offset:43584
	v_mov_b32_e32 v70, 0
	s_waitcnt lgkmcnt(4)
	v_dot4c_i32_i8_e32 v70, v212, v12
	v_mov_b32_e32 v90, 0
	v_dot4c_i32_i8_e32 v70, v213, v13
	s_waitcnt lgkmcnt(2)
	v_dot4c_i32_i8_e32 v90, v194, v4
	v_dot4c_i32_i8_e32 v70, v214, v14
	;; [unrolled: 1-line block ×8, first 2 shown]
	s_waitcnt lgkmcnt(1)
	v_dot4c_i32_i8_e32 v90, v224, v0
	v_dot4c_i32_i8_e32 v70, v218, v10
	;; [unrolled: 1-line block ×6, first 2 shown]
	s_waitcnt lgkmcnt(0)
	v_cvt_f32_f16_e32 v217, v42
	v_cvt_f32_f16_sdwa v215, v42 dst_sel:DWORD dst_unused:UNUSED_PAD src0_sel:WORD_1
	v_cvt_f32_f16_sdwa v214, v228 dst_sel:DWORD dst_unused:UNUSED_PAD src0_sel:WORD_1
	v_cvt_f32_f16_e32 v213, v43
	v_cvt_f32_f16_sdwa v195, v43 dst_sel:DWORD dst_unused:UNUSED_PAD src0_sel:WORD_1
	v_mul_lo_u32 v42, v50, v253
	v_mul_lo_u32 v43, v70, v253
	v_cvt_f32_f16_e32 v216, v228
	v_cvt_f32_f16_sdwa v194, v229 dst_sel:DWORD dst_unused:UNUSED_PAD src0_sel:WORD_1
	v_cvt_f32_i32_e32 v43, v43
	v_cvt_f32_i32_e32 v42, v42
	v_mul_lo_u32 v50, v56, v53
	v_mul_lo_u32 v53, v90, v53
	v_cvt_f32_f16_e32 v212, v229
	v_cvt_f32_i32_e32 v219, v53
	v_cvt_f32_i32_e32 v218, v50
	v_pk_fma_f32 v[70:71], v[174:175], v[214:215], 0 op_sel_hi:[0,1,0]
	v_pk_fma_f32 v[42:43], v[42:43], v[216:217], 0 op_sel_hi:[1,1,0]
	;; [unrolled: 1-line block ×3, first 2 shown]
	v_pk_fma_f32 v[42:43], v[218:219], v[212:213], v[42:43]
	v_pk_mul_f32 v[70:71], v[70:71], v[134:135]
	v_mov_b32_e32 v50, 0
	v_pk_fma_f32 v[42:43], v[42:43], v[132:133], v[70:71] neg_lo:[0,0,1] neg_hi:[0,0,1]
	v_dot4c_i32_i8_e32 v50, v172, v4
	v_pk_add_f32 v[22:23], v[22:23], v[42:43]
	v_mov_b32_e32 v42, 0
	v_dot4c_i32_i8_e32 v42, v164, v12
	v_dot4c_i32_i8_e32 v42, v165, v13
	;; [unrolled: 1-line block ×15, first 2 shown]
	v_mul_lo_u32 v53, v60, v199
	v_mul_lo_u32 v42, v42, v199
	v_cvt_f32_i32_e32 v43, v42
	v_cvt_f32_i32_e32 v42, v53
	v_mul_lo_u32 v53, v66, v254
	v_mul_lo_u32 v50, v50, v254
	v_cvt_f32_i32_e32 v165, v50
	v_cvt_f32_i32_e32 v164, v53
	v_pk_fma_f32 v[70:71], v[168:169], v[214:215], 0 op_sel_hi:[0,1,0]
	v_pk_fma_f32 v[42:43], v[42:43], v[216:217], 0 op_sel_hi:[1,1,0]
	;; [unrolled: 1-line block ×3, first 2 shown]
	v_pk_fma_f32 v[42:43], v[164:165], v[212:213], v[42:43]
	v_pk_mul_f32 v[70:71], v[70:71], v[138:139]
	v_mov_b32_e32 v50, 0
	v_pk_fma_f32 v[42:43], v[42:43], v[136:137], v[70:71] neg_lo:[0,0,1] neg_hi:[0,0,1]
	v_dot4c_i32_i8_e32 v50, v170, v4
	v_pk_add_f32 v[20:21], v[20:21], v[42:43]
	v_mov_b32_e32 v42, 0
	v_dot4c_i32_i8_e32 v42, v162, v12
	v_dot4c_i32_i8_e32 v42, v163, v13
	;; [unrolled: 1-line block ×15, first 2 shown]
	v_mul_lo_u32 v53, v82, v175
	v_mul_lo_u32 v42, v42, v175
	v_cvt_f32_i32_e32 v43, v42
	v_cvt_f32_i32_e32 v42, v53
	v_mul_lo_u32 v53, v86, v51
	v_mul_lo_u32 v50, v50, v51
	v_cvt_f32_i32_e32 v51, v50
	v_cvt_f32_i32_e32 v50, v53
	v_pk_fma_f32 v[42:43], v[42:43], v[216:217], 0 op_sel_hi:[1,1,0]
	v_pk_fma_f32 v[70:71], v[166:167], v[214:215], 0 op_sel_hi:[0,1,0]
	s_add_i32 s5, s4, 8
	v_pk_fma_f32 v[42:43], v[50:51], v[212:213], v[42:43]
	v_pk_fma_f32 v[50:51], v[196:197], v[194:195], v[70:71] op_sel_hi:[0,1,1]
	v_pk_mul_f32 v[50:51], v[50:51], v[142:143]
	s_cmp_lt_u32 s4, 24
	v_pk_fma_f32 v[42:43], v[42:43], v[140:141], v[50:51] neg_lo:[0,0,1] neg_hi:[0,0,1]
	v_mov_b32_e32 v51, 0
	v_dot4c_i32_i8_e32 v51, v160, v12
	v_dot4c_i32_i8_e32 v51, v161, v13
	;; [unrolled: 1-line block ×5, first 2 shown]
	v_mov_b32_e32 v8, 0
	v_dot4c_i32_i8_e32 v8, v158, v4
	v_dot4c_i32_i8_e32 v8, v159, v5
	;; [unrolled: 1-line block ×11, first 2 shown]
	v_mul_lo_u32 v0, v231, v169
	v_mul_lo_u32 v1, v51, v169
	v_cvt_f32_i32_e32 v1, v1
	v_cvt_f32_i32_e32 v0, v0
	v_mul_lo_u32 v4, v230, v167
	v_mul_lo_u32 v5, v8, v167
	v_cvt_f32_i32_e32 v5, v5
	v_cvt_f32_i32_e32 v4, v4
	v_pk_fma_f32 v[2:3], v[150:151], v[214:215], 0 op_sel_hi:[0,1,0]
	v_pk_fma_f32 v[0:1], v[0:1], v[216:217], 0 op_sel_hi:[1,1,0]
	;; [unrolled: 1-line block ×3, first 2 shown]
	v_pk_fma_f32 v[0:1], v[4:5], v[212:213], v[0:1]
	v_pk_mul_f32 v[2:3], v[2:3], v[146:147]
	v_pk_add_f32 v[18:19], v[18:19], v[42:43]
	v_pk_fma_f32 v[0:1], v[0:1], v[144:145], v[2:3] neg_lo:[0,0,1] neg_hi:[0,0,1]
	s_mov_b32 s4, s5
	v_pk_add_f32 v[16:17], v[16:17], v[0:1]
	s_cbranch_scc1 .LBB154_8
; %bb.9:                                ;   in Loop: Header=BB154_5 Depth=1
	s_add_i32 s0, s0, 1
	s_cmp_eq_u32 s0, s7
	s_barrier
	s_cbranch_scc0 .LBB154_5
; %bb.10:
	scratch_load_dword v1, off, off offset:104 ; 4-byte Folded Reload
	scratch_load_dword v2, off, off offset:108 ; 4-byte Folded Reload
.LBB154_11:
	s_waitcnt vmcnt(0)
	v_cmp_gt_u32_e32 vcc, s10, v2
	s_and_saveexec_b64 s[0:1], vcc
	s_cbranch_execz .LBB154_62
; %bb.12:
	v_add_u32_e32 v0, s6, v74
	v_mul_lo_u32 v5, v2, s14
	v_cmp_gt_u32_e32 vcc, s14, v0
	s_and_saveexec_b64 s[0:1], vcc
	s_cbranch_execz .LBB154_14
; %bb.13:
	v_cvt_f16_f32_e32 v4, v64
	v_add_u32_e32 v2, v0, v5
	v_mov_b32_e32 v3, 0
	s_waitcnt lgkmcnt(0)
	v_lshl_add_u64 v[2:3], v[2:3], 1, s[12:13]
	global_store_short v[2:3], v4, off
.LBB154_14:
	s_or_b64 exec, exec, s[0:1]
	v_add_u32_e32 v2, 32, v0
	v_cmp_gt_u32_e64 s[0:1], s14, v2
	s_and_saveexec_b64 s[2:3], s[0:1]
	s_cbranch_execz .LBB154_16
; %bb.15:
	v_cvt_f16_f32_e32 v3, v54
	v_add_u32_e32 v6, v2, v5
	v_mov_b32_e32 v7, 0
	s_waitcnt lgkmcnt(0)
	v_lshl_add_u64 v[6:7], v[6:7], 1, s[12:13]
	global_store_short v[6:7], v3, off
.LBB154_16:
	s_or_b64 exec, exec, s[2:3]
	v_add_u32_e32 v3, 64, v0
	v_cmp_gt_u32_e64 s[2:3], s14, v3
	s_and_saveexec_b64 s[4:5], s[2:3]
	s_cbranch_execz .LBB154_18
; %bb.17:
	v_cvt_f16_f32_e32 v4, v46
	v_add_u32_e32 v6, v3, v5
	v_mov_b32_e32 v7, 0
	s_waitcnt lgkmcnt(0)
	v_lshl_add_u64 v[6:7], v[6:7], 1, s[12:13]
	global_store_short v[6:7], v4, off
.LBB154_18:
	s_or_b64 exec, exec, s[4:5]
	v_add_u32_e32 v4, 0x60, v0
	v_cmp_gt_u32_e64 s[4:5], s14, v4
	s_and_saveexec_b64 s[6:7], s[4:5]
	s_cbranch_execz .LBB154_20
; %bb.19:
	v_cvt_f16_f32_e32 v8, v40
	v_add_u32_e32 v6, v4, v5
	v_mov_b32_e32 v7, 0
	s_waitcnt lgkmcnt(0)
	v_lshl_add_u64 v[6:7], v[6:7], 1, s[12:13]
	global_store_short v[6:7], v8, off
.LBB154_20:
	s_or_b64 exec, exec, s[6:7]
	v_add3_u32 v5, v1, s15, 8
	v_cmp_gt_u32_e64 s[6:7], s10, v5
	s_and_b64 exec, exec, s[6:7]
	s_cbranch_execz .LBB154_62
; %bb.21:
	v_mul_lo_u32 v5, v5, s14
	s_and_saveexec_b64 s[6:7], vcc
	s_cbranch_execnz .LBB154_63
; %bb.22:
	s_or_b64 exec, exec, s[6:7]
	s_and_saveexec_b64 s[6:7], s[0:1]
	s_cbranch_execnz .LBB154_64
.LBB154_23:
	s_or_b64 exec, exec, s[6:7]
	s_and_saveexec_b64 s[6:7], s[2:3]
	s_cbranch_execnz .LBB154_65
.LBB154_24:
	s_or_b64 exec, exec, s[6:7]
	s_and_saveexec_b64 s[6:7], s[4:5]
	s_cbranch_execz .LBB154_26
.LBB154_25:
	v_cvt_f16_f32_e32 v8, v41
	v_add_u32_e32 v6, v5, v4
	v_mov_b32_e32 v7, 0
	s_waitcnt lgkmcnt(0)
	v_lshl_add_u64 v[6:7], v[6:7], 1, s[12:13]
	global_store_short v[6:7], v8, off
.LBB154_26:
	s_or_b64 exec, exec, s[6:7]
	v_add3_u32 v5, v1, s15, 16
	v_cmp_gt_u32_e64 s[6:7], s10, v5
	s_and_b64 exec, exec, s[6:7]
	s_cbranch_execz .LBB154_62
; %bb.27:
	v_mul_lo_u32 v5, v5, s14
	s_and_saveexec_b64 s[6:7], vcc
	s_cbranch_execnz .LBB154_66
; %bb.28:
	s_or_b64 exec, exec, s[6:7]
	s_and_saveexec_b64 s[6:7], s[0:1]
	s_cbranch_execnz .LBB154_67
.LBB154_29:
	s_or_b64 exec, exec, s[6:7]
	s_and_saveexec_b64 s[6:7], s[2:3]
	s_cbranch_execnz .LBB154_68
.LBB154_30:
	s_or_b64 exec, exec, s[6:7]
	s_and_saveexec_b64 s[6:7], s[4:5]
	s_cbranch_execz .LBB154_32
.LBB154_31:
	v_cvt_f16_f32_e32 v8, v32
	v_add_u32_e32 v6, v5, v4
	v_mov_b32_e32 v7, 0
	s_waitcnt lgkmcnt(0)
	v_lshl_add_u64 v[6:7], v[6:7], 1, s[12:13]
	global_store_short v[6:7], v8, off
.LBB154_32:
	s_or_b64 exec, exec, s[6:7]
	v_add3_u32 v5, v1, s15, 24
	v_cmp_gt_u32_e64 s[6:7], s10, v5
	s_and_b64 exec, exec, s[6:7]
	s_cbranch_execz .LBB154_62
; %bb.33:
	v_mul_lo_u32 v5, v5, s14
	s_and_saveexec_b64 s[6:7], vcc
	s_cbranch_execnz .LBB154_69
; %bb.34:
	s_or_b64 exec, exec, s[6:7]
	s_and_saveexec_b64 s[6:7], s[0:1]
	s_cbranch_execnz .LBB154_70
.LBB154_35:
	s_or_b64 exec, exec, s[6:7]
	s_and_saveexec_b64 s[6:7], s[2:3]
	s_cbranch_execnz .LBB154_71
.LBB154_36:
	s_or_b64 exec, exec, s[6:7]
	s_and_saveexec_b64 s[6:7], s[4:5]
	s_cbranch_execz .LBB154_38
.LBB154_37:
	v_cvt_f16_f32_e32 v8, v33
	v_add_u32_e32 v6, v5, v4
	v_mov_b32_e32 v7, 0
	s_waitcnt lgkmcnt(0)
	v_lshl_add_u64 v[6:7], v[6:7], 1, s[12:13]
	global_store_short v[6:7], v8, off
.LBB154_38:
	s_or_b64 exec, exec, s[6:7]
	v_add3_u32 v5, v1, s15, 32
	v_cmp_gt_u32_e64 s[6:7], s10, v5
	s_and_b64 exec, exec, s[6:7]
	s_cbranch_execz .LBB154_62
; %bb.39:
	v_mul_lo_u32 v5, v5, s14
	s_and_saveexec_b64 s[6:7], vcc
	s_cbranch_execnz .LBB154_72
; %bb.40:
	s_or_b64 exec, exec, s[6:7]
	s_and_saveexec_b64 s[6:7], s[0:1]
	s_cbranch_execnz .LBB154_73
.LBB154_41:
	s_or_b64 exec, exec, s[6:7]
	s_and_saveexec_b64 s[6:7], s[2:3]
	s_cbranch_execnz .LBB154_74
.LBB154_42:
	s_or_b64 exec, exec, s[6:7]
	s_and_saveexec_b64 s[6:7], s[4:5]
	s_cbranch_execz .LBB154_44
.LBB154_43:
	v_cvt_f16_f32_e32 v8, v24
	v_add_u32_e32 v6, v5, v4
	v_mov_b32_e32 v7, 0
	s_waitcnt lgkmcnt(0)
	v_lshl_add_u64 v[6:7], v[6:7], 1, s[12:13]
	global_store_short v[6:7], v8, off
.LBB154_44:
	s_or_b64 exec, exec, s[6:7]
	v_add3_u32 v5, v1, s15, 40
	v_cmp_gt_u32_e64 s[6:7], s10, v5
	s_and_b64 exec, exec, s[6:7]
	s_cbranch_execz .LBB154_62
; %bb.45:
	v_mul_lo_u32 v5, v5, s14
	s_and_saveexec_b64 s[6:7], vcc
	s_cbranch_execnz .LBB154_75
; %bb.46:
	s_or_b64 exec, exec, s[6:7]
	s_and_saveexec_b64 s[6:7], s[0:1]
	s_cbranch_execnz .LBB154_76
.LBB154_47:
	s_or_b64 exec, exec, s[6:7]
	s_and_saveexec_b64 s[6:7], s[2:3]
	s_cbranch_execnz .LBB154_77
.LBB154_48:
	s_or_b64 exec, exec, s[6:7]
	s_and_saveexec_b64 s[6:7], s[4:5]
	s_cbranch_execz .LBB154_50
.LBB154_49:
	v_cvt_f16_f32_e32 v8, v25
	v_add_u32_e32 v6, v5, v4
	v_mov_b32_e32 v7, 0
	s_waitcnt lgkmcnt(0)
	v_lshl_add_u64 v[6:7], v[6:7], 1, s[12:13]
	global_store_short v[6:7], v8, off
.LBB154_50:
	s_or_b64 exec, exec, s[6:7]
	v_add3_u32 v5, v1, s15, 48
	v_cmp_gt_u32_e64 s[6:7], s10, v5
	s_and_b64 exec, exec, s[6:7]
	s_cbranch_execz .LBB154_62
; %bb.51:
	v_mul_lo_u32 v5, v5, s14
	s_and_saveexec_b64 s[6:7], vcc
	s_cbranch_execnz .LBB154_78
; %bb.52:
	s_or_b64 exec, exec, s[6:7]
	s_and_saveexec_b64 s[6:7], s[0:1]
	s_cbranch_execnz .LBB154_79
.LBB154_53:
	s_or_b64 exec, exec, s[6:7]
	s_and_saveexec_b64 s[6:7], s[2:3]
	s_cbranch_execnz .LBB154_80
.LBB154_54:
	s_or_b64 exec, exec, s[6:7]
	s_and_saveexec_b64 s[6:7], s[4:5]
	s_cbranch_execz .LBB154_56
.LBB154_55:
	v_cvt_f16_f32_e32 v8, v16
	v_add_u32_e32 v6, v5, v4
	v_mov_b32_e32 v7, 0
	s_waitcnt lgkmcnt(0)
	v_lshl_add_u64 v[6:7], v[6:7], 1, s[12:13]
	global_store_short v[6:7], v8, off
.LBB154_56:
	s_or_b64 exec, exec, s[6:7]
	v_add3_u32 v1, v1, s15, 56
	v_cmp_gt_u32_e64 s[6:7], s10, v1
	s_and_b64 exec, exec, s[6:7]
	s_cbranch_execz .LBB154_62
; %bb.57:
	v_mul_lo_u32 v1, v1, s14
	s_and_saveexec_b64 s[6:7], vcc
	s_cbranch_execnz .LBB154_81
; %bb.58:
	s_or_b64 exec, exec, s[6:7]
	s_and_saveexec_b64 s[6:7], s[0:1]
	s_cbranch_execnz .LBB154_82
.LBB154_59:
	s_or_b64 exec, exec, s[6:7]
	s_and_saveexec_b64 s[0:1], s[2:3]
	s_cbranch_execnz .LBB154_83
.LBB154_60:
	s_or_b64 exec, exec, s[0:1]
	s_and_b64 exec, exec, s[4:5]
	s_cbranch_execz .LBB154_62
.LBB154_61:
	v_cvt_f16_f32_e32 v2, v17
	v_add_u32_e32 v0, v1, v4
	v_mov_b32_e32 v1, 0
	s_waitcnt lgkmcnt(0)
	v_lshl_add_u64 v[0:1], v[0:1], 1, s[12:13]
	global_store_short v[0:1], v2, off
.LBB154_62:
	s_endpgm
.LBB154_63:
	v_cvt_f16_f32_e32 v8, v65
	v_add_u32_e32 v6, v5, v0
	v_mov_b32_e32 v7, 0
	s_waitcnt lgkmcnt(0)
	v_lshl_add_u64 v[6:7], v[6:7], 1, s[12:13]
	global_store_short v[6:7], v8, off
	s_or_b64 exec, exec, s[6:7]
	s_and_saveexec_b64 s[6:7], s[0:1]
	s_cbranch_execz .LBB154_23
.LBB154_64:
	v_cvt_f16_f32_e32 v8, v55
	v_add_u32_e32 v6, v5, v2
	v_mov_b32_e32 v7, 0
	s_waitcnt lgkmcnt(0)
	v_lshl_add_u64 v[6:7], v[6:7], 1, s[12:13]
	global_store_short v[6:7], v8, off
	s_or_b64 exec, exec, s[6:7]
	s_and_saveexec_b64 s[6:7], s[2:3]
	s_cbranch_execz .LBB154_24
.LBB154_65:
	v_cvt_f16_f32_e32 v8, v47
	v_add_u32_e32 v6, v5, v3
	v_mov_b32_e32 v7, 0
	s_waitcnt lgkmcnt(0)
	v_lshl_add_u64 v[6:7], v[6:7], 1, s[12:13]
	global_store_short v[6:7], v8, off
	s_or_b64 exec, exec, s[6:7]
	s_and_saveexec_b64 s[6:7], s[4:5]
	s_cbranch_execnz .LBB154_25
	s_branch .LBB154_26
.LBB154_66:
	v_cvt_f16_f32_e32 v8, v38
	v_add_u32_e32 v6, v5, v0
	v_mov_b32_e32 v7, 0
	s_waitcnt lgkmcnt(0)
	v_lshl_add_u64 v[6:7], v[6:7], 1, s[12:13]
	global_store_short v[6:7], v8, off
	s_or_b64 exec, exec, s[6:7]
	s_and_saveexec_b64 s[6:7], s[0:1]
	s_cbranch_execz .LBB154_29
.LBB154_67:
	v_cvt_f16_f32_e32 v8, v36
	v_add_u32_e32 v6, v5, v2
	v_mov_b32_e32 v7, 0
	s_waitcnt lgkmcnt(0)
	v_lshl_add_u64 v[6:7], v[6:7], 1, s[12:13]
	global_store_short v[6:7], v8, off
	s_or_b64 exec, exec, s[6:7]
	s_and_saveexec_b64 s[6:7], s[2:3]
	s_cbranch_execz .LBB154_30
.LBB154_68:
	v_cvt_f16_f32_e32 v8, v34
	v_add_u32_e32 v6, v5, v3
	v_mov_b32_e32 v7, 0
	s_waitcnt lgkmcnt(0)
	v_lshl_add_u64 v[6:7], v[6:7], 1, s[12:13]
	global_store_short v[6:7], v8, off
	s_or_b64 exec, exec, s[6:7]
	s_and_saveexec_b64 s[6:7], s[4:5]
	s_cbranch_execnz .LBB154_31
	s_branch .LBB154_32
.LBB154_69:
	v_cvt_f16_f32_e32 v8, v39
	v_add_u32_e32 v6, v5, v0
	v_mov_b32_e32 v7, 0
	s_waitcnt lgkmcnt(0)
	v_lshl_add_u64 v[6:7], v[6:7], 1, s[12:13]
	global_store_short v[6:7], v8, off
	s_or_b64 exec, exec, s[6:7]
	s_and_saveexec_b64 s[6:7], s[0:1]
	s_cbranch_execz .LBB154_35
.LBB154_70:
	v_cvt_f16_f32_e32 v8, v37
	v_add_u32_e32 v6, v5, v2
	v_mov_b32_e32 v7, 0
	s_waitcnt lgkmcnt(0)
	v_lshl_add_u64 v[6:7], v[6:7], 1, s[12:13]
	global_store_short v[6:7], v8, off
	s_or_b64 exec, exec, s[6:7]
	s_and_saveexec_b64 s[6:7], s[2:3]
	s_cbranch_execz .LBB154_36
.LBB154_71:
	v_cvt_f16_f32_e32 v8, v35
	v_add_u32_e32 v6, v5, v3
	v_mov_b32_e32 v7, 0
	s_waitcnt lgkmcnt(0)
	v_lshl_add_u64 v[6:7], v[6:7], 1, s[12:13]
	global_store_short v[6:7], v8, off
	s_or_b64 exec, exec, s[6:7]
	s_and_saveexec_b64 s[6:7], s[4:5]
	s_cbranch_execnz .LBB154_37
	s_branch .LBB154_38
.LBB154_72:
	v_cvt_f16_f32_e32 v8, v30
	v_add_u32_e32 v6, v5, v0
	v_mov_b32_e32 v7, 0
	s_waitcnt lgkmcnt(0)
	v_lshl_add_u64 v[6:7], v[6:7], 1, s[12:13]
	global_store_short v[6:7], v8, off
	s_or_b64 exec, exec, s[6:7]
	s_and_saveexec_b64 s[6:7], s[0:1]
	s_cbranch_execz .LBB154_41
.LBB154_73:
	v_cvt_f16_f32_e32 v8, v28
	v_add_u32_e32 v6, v5, v2
	v_mov_b32_e32 v7, 0
	s_waitcnt lgkmcnt(0)
	v_lshl_add_u64 v[6:7], v[6:7], 1, s[12:13]
	global_store_short v[6:7], v8, off
	s_or_b64 exec, exec, s[6:7]
	s_and_saveexec_b64 s[6:7], s[2:3]
	s_cbranch_execz .LBB154_42
.LBB154_74:
	v_cvt_f16_f32_e32 v8, v26
	v_add_u32_e32 v6, v5, v3
	v_mov_b32_e32 v7, 0
	s_waitcnt lgkmcnt(0)
	v_lshl_add_u64 v[6:7], v[6:7], 1, s[12:13]
	global_store_short v[6:7], v8, off
	s_or_b64 exec, exec, s[6:7]
	s_and_saveexec_b64 s[6:7], s[4:5]
	s_cbranch_execnz .LBB154_43
	s_branch .LBB154_44
.LBB154_75:
	v_cvt_f16_f32_e32 v8, v31
	v_add_u32_e32 v6, v5, v0
	v_mov_b32_e32 v7, 0
	s_waitcnt lgkmcnt(0)
	v_lshl_add_u64 v[6:7], v[6:7], 1, s[12:13]
	global_store_short v[6:7], v8, off
	s_or_b64 exec, exec, s[6:7]
	s_and_saveexec_b64 s[6:7], s[0:1]
	s_cbranch_execz .LBB154_47
.LBB154_76:
	v_cvt_f16_f32_e32 v8, v29
	v_add_u32_e32 v6, v5, v2
	v_mov_b32_e32 v7, 0
	s_waitcnt lgkmcnt(0)
	v_lshl_add_u64 v[6:7], v[6:7], 1, s[12:13]
	global_store_short v[6:7], v8, off
	s_or_b64 exec, exec, s[6:7]
	s_and_saveexec_b64 s[6:7], s[2:3]
	s_cbranch_execz .LBB154_48
.LBB154_77:
	v_cvt_f16_f32_e32 v8, v27
	v_add_u32_e32 v6, v5, v3
	v_mov_b32_e32 v7, 0
	s_waitcnt lgkmcnt(0)
	v_lshl_add_u64 v[6:7], v[6:7], 1, s[12:13]
	global_store_short v[6:7], v8, off
	s_or_b64 exec, exec, s[6:7]
	s_and_saveexec_b64 s[6:7], s[4:5]
	s_cbranch_execnz .LBB154_49
	s_branch .LBB154_50
.LBB154_78:
	v_cvt_f16_f32_e32 v8, v22
	v_add_u32_e32 v6, v5, v0
	v_mov_b32_e32 v7, 0
	s_waitcnt lgkmcnt(0)
	v_lshl_add_u64 v[6:7], v[6:7], 1, s[12:13]
	global_store_short v[6:7], v8, off
	s_or_b64 exec, exec, s[6:7]
	s_and_saveexec_b64 s[6:7], s[0:1]
	s_cbranch_execz .LBB154_53
.LBB154_79:
	v_cvt_f16_f32_e32 v8, v20
	v_add_u32_e32 v6, v5, v2
	v_mov_b32_e32 v7, 0
	s_waitcnt lgkmcnt(0)
	v_lshl_add_u64 v[6:7], v[6:7], 1, s[12:13]
	global_store_short v[6:7], v8, off
	s_or_b64 exec, exec, s[6:7]
	s_and_saveexec_b64 s[6:7], s[2:3]
	s_cbranch_execz .LBB154_54
.LBB154_80:
	v_cvt_f16_f32_e32 v8, v18
	v_add_u32_e32 v6, v5, v3
	v_mov_b32_e32 v7, 0
	s_waitcnt lgkmcnt(0)
	v_lshl_add_u64 v[6:7], v[6:7], 1, s[12:13]
	global_store_short v[6:7], v8, off
	s_or_b64 exec, exec, s[6:7]
	s_and_saveexec_b64 s[6:7], s[4:5]
	s_cbranch_execnz .LBB154_55
	s_branch .LBB154_56
.LBB154_81:
	v_cvt_f16_f32_e32 v5, v23
	v_add_u32_e32 v6, v1, v0
	v_mov_b32_e32 v7, 0
	s_waitcnt lgkmcnt(0)
	v_lshl_add_u64 v[6:7], v[6:7], 1, s[12:13]
	global_store_short v[6:7], v5, off
	s_or_b64 exec, exec, s[6:7]
	s_and_saveexec_b64 s[6:7], s[0:1]
	s_cbranch_execz .LBB154_59
.LBB154_82:
	v_cvt_f16_f32_e32 v0, v21
	v_add_u32_e32 v6, v1, v2
	v_mov_b32_e32 v7, 0
	s_waitcnt lgkmcnt(0)
	v_lshl_add_u64 v[6:7], v[6:7], 1, s[12:13]
	global_store_short v[6:7], v0, off
	s_or_b64 exec, exec, s[6:7]
	s_and_saveexec_b64 s[0:1], s[2:3]
	s_cbranch_execz .LBB154_60
.LBB154_83:
	v_cvt_f16_f32_e32 v0, v19
	v_add_u32_e32 v2, v1, v3
	v_mov_b32_e32 v3, 0
	s_waitcnt lgkmcnt(0)
	v_lshl_add_u64 v[2:3], v[2:3], 1, s[12:13]
	global_store_short v[2:3], v0, off
	s_or_b64 exec, exec, s[0:1]
	s_and_b64 exec, exec, s[4:5]
	s_cbranch_execnz .LBB154_61
	s_branch .LBB154_62
	.section	.rodata,"a",@progbits
	.p2align	6, 0x0
	.amdhsa_kernel _ZL12mul_mat_q5_KIN3c104HalfELb1EEvPKvS3_PT_iiiii
		.amdhsa_group_segment_fixed_size 45136
		.amdhsa_private_segment_fixed_size 116
		.amdhsa_kernarg_size 44
		.amdhsa_user_sgpr_count 2
		.amdhsa_user_sgpr_dispatch_ptr 0
		.amdhsa_user_sgpr_queue_ptr 0
		.amdhsa_user_sgpr_kernarg_segment_ptr 1
		.amdhsa_user_sgpr_dispatch_id 0
		.amdhsa_user_sgpr_kernarg_preload_length 0
		.amdhsa_user_sgpr_kernarg_preload_offset 0
		.amdhsa_user_sgpr_private_segment_size 0
		.amdhsa_uses_dynamic_stack 0
		.amdhsa_enable_private_segment 1
		.amdhsa_system_sgpr_workgroup_id_x 1
		.amdhsa_system_sgpr_workgroup_id_y 1
		.amdhsa_system_sgpr_workgroup_id_z 0
		.amdhsa_system_sgpr_workgroup_info 0
		.amdhsa_system_vgpr_workitem_id 1
		.amdhsa_next_free_vgpr 256
		.amdhsa_next_free_sgpr 21
		.amdhsa_accum_offset 256
		.amdhsa_reserve_vcc 1
		.amdhsa_float_round_mode_32 0
		.amdhsa_float_round_mode_16_64 0
		.amdhsa_float_denorm_mode_32 3
		.amdhsa_float_denorm_mode_16_64 3
		.amdhsa_dx10_clamp 1
		.amdhsa_ieee_mode 1
		.amdhsa_fp16_overflow 0
		.amdhsa_tg_split 0
		.amdhsa_exception_fp_ieee_invalid_op 0
		.amdhsa_exception_fp_denorm_src 0
		.amdhsa_exception_fp_ieee_div_zero 0
		.amdhsa_exception_fp_ieee_overflow 0
		.amdhsa_exception_fp_ieee_underflow 0
		.amdhsa_exception_fp_ieee_inexact 0
		.amdhsa_exception_int_div_zero 0
	.end_amdhsa_kernel
	.section	.text._ZL12mul_mat_q5_KIN3c104HalfELb1EEvPKvS3_PT_iiiii,"axG",@progbits,_ZL12mul_mat_q5_KIN3c104HalfELb1EEvPKvS3_PT_iiiii,comdat
.Lfunc_end154:
	.size	_ZL12mul_mat_q5_KIN3c104HalfELb1EEvPKvS3_PT_iiiii, .Lfunc_end154-_ZL12mul_mat_q5_KIN3c104HalfELb1EEvPKvS3_PT_iiiii
                                        ; -- End function
	.section	.AMDGPU.csdata,"",@progbits
; Kernel info:
; codeLenInByte = 17312
; NumSgprs: 27
; NumVgprs: 256
; NumAgprs: 0
; TotalNumVgprs: 256
; ScratchSize: 116
; MemoryBound: 0
; FloatMode: 240
; IeeeMode: 1
; LDSByteSize: 45136 bytes/workgroup (compile time only)
; SGPRBlocks: 3
; VGPRBlocks: 31
; NumSGPRsForWavesPerEU: 27
; NumVGPRsForWavesPerEU: 256
; AccumOffset: 256
; Occupancy: 1
; WaveLimiterHint : 0
; COMPUTE_PGM_RSRC2:SCRATCH_EN: 1
; COMPUTE_PGM_RSRC2:USER_SGPR: 2
; COMPUTE_PGM_RSRC2:TRAP_HANDLER: 0
; COMPUTE_PGM_RSRC2:TGID_X_EN: 1
; COMPUTE_PGM_RSRC2:TGID_Y_EN: 1
; COMPUTE_PGM_RSRC2:TGID_Z_EN: 0
; COMPUTE_PGM_RSRC2:TIDIG_COMP_CNT: 1
; COMPUTE_PGM_RSRC3_GFX90A:ACCUM_OFFSET: 63
; COMPUTE_PGM_RSRC3_GFX90A:TG_SPLIT: 0
	.section	.text._ZL12mul_mat_q6_KIN3c104HalfELb0EEvPKvS3_PT_iiiii,"axG",@progbits,_ZL12mul_mat_q6_KIN3c104HalfELb0EEvPKvS3_PT_iiiii,comdat
	.globl	_ZL12mul_mat_q6_KIN3c104HalfELb0EEvPKvS3_PT_iiiii ; -- Begin function _ZL12mul_mat_q6_KIN3c104HalfELb0EEvPKvS3_PT_iiiii
	.p2align	8
	.type	_ZL12mul_mat_q6_KIN3c104HalfELb0EEvPKvS3_PT_iiiii,@function
_ZL12mul_mat_q6_KIN3c104HalfELb0EEvPKvS3_PT_iiiii: ; @_ZL12mul_mat_q6_KIN3c104HalfELb0EEvPKvS3_PT_iiiii
; %bb.0:
	s_load_dword s7, s[0:1], 0x18
	s_load_dwordx4 s[8:11], s[0:1], 0x20
	s_waitcnt lgkmcnt(0)
	s_lshl_b32 s11, s3, 6
	v_bfe_u32 v132, v0, 10, 10
	s_cmpk_gt_i32 s7, 0xff
	s_cbranch_scc1 .LBB155_2
; %bb.1:
	v_bfe_u32 v1, v0, 10, 10
	v_and_b32_e32 v61, 0x3ff, v0
	v_add_u32_e32 v137, s11, v1
	s_mov_b64 s[4:5], 0
	s_mov_b32 s3, 0
	s_branch .LBB155_3
.LBB155_2:
	s_mov_b64 s[4:5], -1
                                        ; implicit-def: $sgpr3
                                        ; implicit-def: $vgpr1
                                        ; implicit-def: $vgpr61
                                        ; implicit-def: $vgpr137
.LBB155_3:
	s_load_dwordx2 s[12:13], s[0:1], 0x10
	s_lshl_b32 s6, s2, 7
	s_andn2_b64 vcc, exec, s[4:5]
	v_mov_b32_e32 v17, s3
	v_mov_b32_e32 v29, s3
	;; [unrolled: 1-line block ×32, first 2 shown]
	s_cbranch_vccnz .LBB155_11
; %bb.4:
	v_and_b32_e32 v61, 0x3ff, v0
	v_and_b32_e32 v6, 31, v61
	s_ashr_i32 s4, s7, 31
	v_cmp_lt_u32_e32 vcc, 15, v6
	s_load_dwordx4 s[0:3], s[0:1], 0x0
	s_lshr_b32 s4, s4, 24
	v_cndmask_b32_e64 v1, 0, 1, vcc
	s_add_i32 s7, s7, s4
	s_ashr_i32 s5, s9, 31
	v_and_b32_e32 v0, 7, v61
	v_lshlrev_b32_e32 v1, 5, v1
	s_ashr_i32 s4, s7, 8
	s_lshr_b32 s5, s5, 27
	v_lshl_or_b32 v20, v0, 2, v1
	v_add_u16_e32 v0, -16, v6
	v_cmp_gt_u32_e32 vcc, 16, v6
	s_add_i32 s5, s9, s5
	s_mul_i32 s7, s4, s6
	v_cndmask_b32_e32 v0, v0, v6, vcc
	s_ashr_i32 s15, s5, 5
	s_mul_hi_i32 s9, s7, 0xd2
	s_mulk_i32 s7, 0xd2
	v_cmp_lt_u16_e32 vcc, 7, v0
	s_waitcnt lgkmcnt(0)
	s_add_u32 s7, s0, s7
	s_addc_u32 s9, s1, s9
	v_cndmask_b32_e64 v0, 0, 1, vcc
	v_lshlrev_b32_e32 v141, 1, v0
	v_and_or_b32 v0, v61, 15, v1
	v_mul_u32_u24_e32 v1, 0x41, v132
	s_lshl_b32 s0, s4, 3
	v_add_lshl_u32 v142, v0, v1, 2
	v_mov_b32_e32 v0, s0
	v_mad_i32_i24 v24, s4, v132, v0
	v_add_u32_e32 v26, s0, v24
	v_add_u32_e32 v28, s0, v26
	v_lshlrev_b32_e32 v160, 5, v132
	v_add_u32_e32 v30, s0, v28
	v_add_u32_e32 v0, v160, v61
	;; [unrolled: 1-line block ×3, first 2 shown]
	v_and_b32_e32 v1, 0x7f, v0
	v_lshrrev_b32_e32 v0, 3, v0
	v_add_u32_e32 v34, s0, v32
	v_mul_i32_i24_e32 v54, s4, v1
	v_and_b32_e32 v0, 12, v0
	v_lshlrev_b32_e32 v1, 2, v1
	s_mov_b32 s16, 0xae40
	v_add_u32_e32 v36, s0, v34
	v_add3_u32 v161, v1, v0, s16
	v_lshlrev_b32_e32 v1, 3, v132
	v_lshrrev_b32_e32 v2, 2, v61
	v_add_u32_e32 v38, s0, v36
	v_add_u32_e32 v7, v2, v1
	v_and_b32_e32 v0, 3, v61
	v_add_u16_e32 v1, v2, v1
	v_add_u32_e32 v40, s0, v38
	v_lshlrev_b32_e32 v56, 2, v0
	v_and_b32_e32 v3, 0x7f, v7
	v_lshrrev_b16_e32 v1, 1, v1
	v_add_u32_e32 v42, s0, v40
	v_lshl_or_b32 v4, v3, 4, v56
	v_and_b32_e32 v1, 60, v1
	s_mov_b32 s17, 0xa200
	v_add_u32_e32 v44, s0, v42
	v_add3_u32 v163, v4, v1, s17
	v_xor_b32_e32 v1, 64, v3
	v_add_u32_e32 v46, s0, v44
	v_mul_i32_i24_e32 v60, s4, v1
	v_lshl_or_b32 v2, v1, 4, v56
	v_lshrrev_b32_e32 v1, 1, v1
	v_mov_b32_e32 v19, 0
	v_add_u32_e32 v48, s0, v46
	v_and_b32_e32 v1, 60, v1
	v_lshlrev_b32_e32 v8, 2, v61
	v_add_u32_e32 v50, s0, v48
	v_add3_u32 v165, v2, v1, s17
	v_and_b32_e32 v4, 28, v8
	v_mov_b32_e32 v5, v19
	v_and_b32_e32 v1, 63, v7
	v_add_u32_e32 v52, s0, v50
	s_add_i32 s0, s8, -1
	v_lshl_add_u64 v[62:63], s[2:3], 0, v[4:5]
	v_or_b32_e32 v4, s11, v1
	v_min_i32_e32 v4, s0, v4
	v_mul_i32_i24_e32 v58, s4, v3
	v_add_u32_e32 v137, s11, v132
	v_cvt_f64_i32_e32 v[2:3], s0
	v_mad_u64_u32 v[64:65], s[0:1], v4, s15, v[0:1]
	v_lshl_or_b32 v0, v1, 4, v56
	v_add_u32_e32 v166, 0xaa40, v0
	v_cvt_f64_u32_e32 v[0:1], v137
	v_min_f64 v[0:1], v[0:1], v[2:3]
	v_cvt_i32_f64_e32 v0, v[0:1]
	v_mul_lo_u32 v168, s15, v0
	v_or_b32_e32 v0, v160, v6
	v_mov_b32_e32 v4, 0x8200
	v_lshl_add_u32 v170, v0, 2, v4
	v_add_u32_e32 v0, 8, v137
	v_cvt_f64_u32_e32 v[0:1], v0
	v_min_f64 v[0:1], v[0:1], v[2:3]
	v_cvt_i32_f64_e32 v0, v[0:1]
	v_add_u32_e32 v172, 0x100, v160
	v_mul_lo_u32 v171, s15, v0
	v_or_b32_e32 v0, v172, v6
	v_lshl_add_u32 v173, v0, 2, v4
	v_add_u32_e32 v0, 16, v137
	v_cvt_f64_u32_e32 v[0:1], v0
	v_min_f64 v[0:1], v[0:1], v[2:3]
	v_cvt_i32_f64_e32 v0, v[0:1]
	v_add_u32_e32 v175, 0x200, v160
	v_mul_lo_u32 v174, s15, v0
	v_or_b32_e32 v0, v175, v6
	;; [unrolled: 8-line block ×6, first 2 shown]
	v_lshl_add_u32 v188, v0, 2, v4
	v_add_u32_e32 v0, 56, v137
	v_cvt_f64_u32_e32 v[0:1], v0
	v_min_f64 v[0:1], v[0:1], v[2:3]
	v_cvt_i32_f64_e32 v0, v[0:1]
	v_add_u32_e32 v190, 0x700, v160
	v_lshrrev_b32_e32 v16, 5, v61
	v_mul_lo_u32 v189, s15, v0
	v_or_b32_e32 v0, v190, v6
	v_lshl_add_u32 v191, v0, 2, v4
	v_lshlrev_b32_e32 v0, 2, v16
	v_add3_u32 v192, v0, v8, s16
	v_add_u32_e32 v0, 32, v61
	v_lshrrev_b32_e32 v193, 3, v0
	v_and_b32_e32 v1, 60, v193
	v_add3_u32 v194, v8, v1, s16
	v_add_u32_e32 v1, 64, v61
	v_lshrrev_b32_e32 v2, 3, v1
	v_and_b32_e32 v2, 60, v2
	v_add3_u32 v195, v8, v2, s16
	v_add_u32_e32 v2, 0x60, v61
	v_lshrrev_b32_e32 v3, 3, v2
	v_lshrrev_b32_e32 v167, 3, v61
	v_and_b32_e32 v3, 60, v3
	v_add3_u32 v196, v8, v3, s16
	v_lshlrev_b32_e32 v3, 2, v167
	v_lshlrev_b32_e32 v4, 4, v61
	v_add3_u32 v197, v4, v3, s17
	v_lshlrev_b32_e32 v3, 2, v193
	v_lshlrev_b32_e32 v0, 4, v0
	s_movk_i32 s0, 0x104
	v_add3_u32 v199, v3, v0, s17
	v_mov_b32_e32 v0, 0x2080
	v_mad_u32_u24 v200, v61, s0, v0
	v_lshrrev_b32_e32 v0, 1, v1
	v_and_b32_e32 v0, 0xfc, v0
	v_lshlrev_b32_e32 v1, 4, v1
	v_add3_u32 v201, v1, v0, s17
	v_mov_b32_e32 v0, 0x4100
	v_mad_u32_u24 v202, v61, s0, v0
	v_lshrrev_b32_e32 v0, 1, v2
	v_and_b32_e32 v0, 0xfc, v0
	v_lshlrev_b32_e32 v1, 4, v2
	v_add3_u32 v203, v1, v0, s17
	v_mov_b32_e32 v0, 0x6180
	s_movk_i32 s5, 0xd2
	s_mov_b32 s14, 0
	v_lshlrev_b32_e32 v18, 2, v6
	v_mov_b32_e32 v21, v19
	v_mul_i32_i24_e32 v22, s4, v132
	v_add_u32_e32 v143, 0x820, v142
	v_add_u32_e32 v144, 0x1040, v142
	;; [unrolled: 1-line block ×15, first 2 shown]
	v_mov_b32_e32 v57, v19
	v_mul_u32_u24_e32 v198, 0x104, v61
	v_mad_u32_u24 v204, v61, s0, v0
	s_mov_b32 s15, 0xf0f0f0f
	s_mov_b32 s16, 0x30303030
	s_movk_i32 s17, 0x3f00
	s_movk_i32 s18, 0xe000
	v_mov_b32_e32 v205, 8
	v_mov_b32_e32 v169, v19
	;; [unrolled: 1-line block ×33, first 2 shown]
.LBB155_5:                              ; =>This Loop Header: Depth=1
                                        ;     Child Loop BB155_6 Depth 2
                                        ;     Child Loop BB155_8 Depth 2
	s_mul_i32 s0, s14, 0xd2
	s_mul_hi_u32 s1, s14, 0xd2
	s_add_u32 s0, s7, s0
	s_addc_u32 s1, s9, s1
	v_mov_b64_e32 v[0:1], s[0:1]
	v_mad_u64_u32 v[2:3], s[20:21], v16, s5, v[0:1]
	v_mad_u64_u32 v[4:5], s[20:21], v22, s5, v[2:3]
	v_lshl_add_u64 v[6:7], v[4:5], 0, v[18:19]
	v_lshl_add_u64 v[4:5], v[4:5], 0, v[20:21]
	v_mad_u64_u32 v[8:9], s[20:21], v24, s5, v[2:3]
	global_load_dword v12, v[6:7], off
	v_lshl_add_u64 v[10:11], v[8:9], 0, v[18:19]
	v_lshl_add_u64 v[8:9], v[8:9], 0, v[20:21]
	v_mad_u64_u32 v[6:7], s[20:21], v26, s5, v[2:3]
	global_load_dword v13, v[4:5], off offset:128
	global_load_dword v14, v[10:11], off
	v_lshl_add_u64 v[4:5], v[6:7], 0, v[18:19]
	global_load_dword v15, v[8:9], off offset:128
	global_load_dword v66, v[4:5], off
	v_lshl_add_u64 v[4:5], v[6:7], 0, v[20:21]
	global_load_dword v67, v[4:5], off offset:128
	v_mad_u64_u32 v[4:5], s[20:21], v28, s5, v[2:3]
	v_lshl_add_u64 v[8:9], v[4:5], 0, v[18:19]
	v_lshl_add_u64 v[4:5], v[4:5], 0, v[20:21]
	global_load_dword v8, v[8:9], off
	s_nop 0
	global_load_dword v9, v[4:5], off offset:128
	v_mad_u64_u32 v[6:7], s[20:21], v30, s5, v[2:3]
	v_lshl_add_u64 v[10:11], v[6:7], 0, v[18:19]
	s_lshl_b32 s19, s14, 3
	v_mad_u64_u32 v[0:1], s[20:21], v54, s5, v[0:1]
	v_add_u32_e32 v206, s19, v64
	s_waitcnt vmcnt(7)
	v_and_b32_e32 v4, 0xf0f0f0f, v12
	v_lshrrev_b32_e32 v5, 4, v12
	s_waitcnt vmcnt(6)
	v_ashrrev_i32_e32 v12, v141, v13
	v_lshlrev_b32_e32 v69, 4, v12
	s_waitcnt vmcnt(4)
	v_ashrrev_i32_e32 v15, v141, v15
	v_and_b32_e32 v12, 0x30303030, v12
	v_and_b32_e32 v13, 0xf0f0f0f, v14
	v_lshrrev_b32_e32 v14, 4, v14
	v_lshlrev_b32_e32 v70, 4, v15
	v_and_b32_e32 v15, 0x30303030, v15
	v_and_or_b32 v4, v69, s16, v4
	v_and_or_b32 v5, v5, s15, v12
	;; [unrolled: 1-line block ×4, first 2 shown]
	v_and_b32_e32 v14, 0x3f00, v4
	v_lshlrev_b16_e32 v15, 8, v4
	v_and_b32_sdwa v69, v4, s17 dst_sel:DWORD dst_unused:UNUSED_PAD src0_sel:WORD_1 src1_sel:DWORD
	v_lshlrev_b16_sdwa v4, v205, v4 dst_sel:DWORD dst_unused:UNUSED_PAD src0_sel:DWORD src1_sel:WORD_1
	v_and_b32_e32 v70, 0x3f00, v5
	v_lshlrev_b16_e32 v71, 8, v5
	v_and_b32_sdwa v72, v5, s17 dst_sel:DWORD dst_unused:UNUSED_PAD src0_sel:WORD_1 src1_sel:DWORD
	v_lshlrev_b16_sdwa v5, v205, v5 dst_sel:DWORD dst_unused:UNUSED_PAD src0_sel:DWORD src1_sel:WORD_1
	;; [unrolled: 4-line block ×4, first 2 shown]
	v_add_u16_e32 v15, 0xe000, v15
	v_add_u16_e32 v4, 0xe000, v4
	;; [unrolled: 1-line block ×8, first 2 shown]
	v_or_b32_sdwa v14, v14, v15 dst_sel:DWORD dst_unused:UNUSED_PAD src0_sel:DWORD src1_sel:BYTE_1
	v_or_b32_sdwa v4, v69, v4 dst_sel:DWORD dst_unused:UNUSED_PAD src0_sel:DWORD src1_sel:BYTE_1
	v_or_b32_sdwa v15, v70, v71 dst_sel:DWORD dst_unused:UNUSED_PAD src0_sel:DWORD src1_sel:BYTE_1
	v_or_b32_sdwa v5, v72, v5 dst_sel:DWORD dst_unused:UNUSED_PAD src0_sel:DWORD src1_sel:BYTE_1
	v_or_b32_sdwa v69, v73, v74 dst_sel:DWORD dst_unused:UNUSED_PAD src0_sel:DWORD src1_sel:BYTE_1
	v_or_b32_sdwa v12, v75, v12 dst_sel:DWORD dst_unused:UNUSED_PAD src0_sel:DWORD src1_sel:BYTE_1
	v_or_b32_sdwa v70, v76, v77 dst_sel:DWORD dst_unused:UNUSED_PAD src0_sel:DWORD src1_sel:BYTE_1
	v_or_b32_sdwa v13, v78, v13 dst_sel:DWORD dst_unused:UNUSED_PAD src0_sel:DWORD src1_sel:BYTE_1
	v_add_u16_e32 v14, 0xe000, v14
	v_add_u16_sdwa v4, v4, s18 dst_sel:WORD_1 dst_unused:UNUSED_PAD src0_sel:DWORD src1_sel:DWORD
	v_add_u16_e32 v15, 0xe000, v15
	v_add_u16_sdwa v5, v5, s18 dst_sel:WORD_1 dst_unused:UNUSED_PAD src0_sel:DWORD src1_sel:DWORD
	;; [unrolled: 2-line block ×4, first 2 shown]
	v_or_b32_e32 v4, v14, v4
	v_or_b32_e32 v5, v15, v5
	;; [unrolled: 1-line block ×4, first 2 shown]
	ds_write2_b32 v142, v4, v5 offset1:16
	ds_write2_b32 v143, v12, v13 offset1:16
	v_lshl_add_u64 v[4:5], v[6:7], 0, v[20:21]
	global_load_dword v10, v[10:11], off
	s_waitcnt vmcnt(4)
	v_and_b32_e32 v68, 0xf0f0f0f, v66
	global_load_dword v11, v[4:5], off offset:128
	s_waitcnt vmcnt(4)
	v_ashrrev_i32_e32 v5, v141, v67
	v_lshlrev_b32_e32 v6, 4, v5
	v_and_or_b32 v6, v6, s16, v68
	v_lshlrev_b16_e32 v12, 8, v6
	v_and_b32_e32 v7, 0x3f00, v6
	v_add_u16_e32 v12, 0xe000, v12
	v_or_b32_sdwa v7, v7, v12 dst_sel:DWORD dst_unused:UNUSED_PAD src0_sel:DWORD src1_sel:BYTE_1
	v_and_b32_sdwa v12, v6, s17 dst_sel:DWORD dst_unused:UNUSED_PAD src0_sel:WORD_1 src1_sel:DWORD
	v_lshlrev_b16_sdwa v6, v205, v6 dst_sel:DWORD dst_unused:UNUSED_PAD src0_sel:DWORD src1_sel:WORD_1
	v_add_u16_e32 v6, 0xe000, v6
	v_lshrrev_b32_e32 v4, 4, v66
	v_and_b32_e32 v5, 0x30303030, v5
	v_or_b32_sdwa v6, v12, v6 dst_sel:DWORD dst_unused:UNUSED_PAD src0_sel:DWORD src1_sel:BYTE_1
	v_add_u16_e32 v7, 0xe000, v7
	v_add_u16_sdwa v6, v6, s18 dst_sel:WORD_1 dst_unused:UNUSED_PAD src0_sel:DWORD src1_sel:DWORD
	v_and_or_b32 v4, v4, s15, v5
	v_or_b32_e32 v12, v7, v6
	v_lshlrev_b16_e32 v6, 8, v4
	v_and_b32_e32 v5, 0x3f00, v4
	v_add_u16_e32 v6, 0xe000, v6
	v_or_b32_sdwa v5, v5, v6 dst_sel:DWORD dst_unused:UNUSED_PAD src0_sel:DWORD src1_sel:BYTE_1
	v_add_u16_e32 v13, 0xe000, v5
	v_and_b32_sdwa v14, v4, s17 dst_sel:DWORD dst_unused:UNUSED_PAD src0_sel:WORD_1 src1_sel:DWORD
	v_lshlrev_b16_sdwa v15, v205, v4 dst_sel:DWORD dst_unused:UNUSED_PAD src0_sel:DWORD src1_sel:WORD_1
	v_mad_u64_u32 v[4:5], s[20:21], v32, s5, v[2:3]
	v_lshl_add_u64 v[6:7], v[4:5], 0, v[18:19]
	v_lshl_add_u64 v[4:5], v[4:5], 0, v[20:21]
	global_load_dword v66, v[6:7], off
	global_load_dword v67, v[4:5], off offset:128
	v_add_u16_e32 v4, 0xe000, v15
	v_or_b32_sdwa v4, v14, v4 dst_sel:DWORD dst_unused:UNUSED_PAD src0_sel:DWORD src1_sel:BYTE_1
	v_add_u16_sdwa v4, v4, s18 dst_sel:WORD_1 dst_unused:UNUSED_PAD src0_sel:DWORD src1_sel:DWORD
	s_waitcnt vmcnt(4)
	v_ashrrev_i32_e32 v6, v141, v9
	v_or_b32_e32 v4, v13, v4
	ds_write2_b32 v144, v12, v4 offset1:16
	v_and_b32_e32 v4, 0xf0f0f0f, v8
	v_lshlrev_b32_e32 v7, 4, v6
	v_and_or_b32 v4, v7, s16, v4
	v_lshrrev_b32_e32 v5, 4, v8
	v_lshlrev_b16_e32 v8, 8, v4
	v_and_b32_e32 v7, 0x3f00, v4
	v_add_u16_e32 v8, 0xe000, v8
	v_or_b32_sdwa v7, v7, v8 dst_sel:DWORD dst_unused:UNUSED_PAD src0_sel:DWORD src1_sel:BYTE_1
	v_and_b32_sdwa v8, v4, s17 dst_sel:DWORD dst_unused:UNUSED_PAD src0_sel:WORD_1 src1_sel:DWORD
	v_lshlrev_b16_sdwa v4, v205, v4 dst_sel:DWORD dst_unused:UNUSED_PAD src0_sel:DWORD src1_sel:WORD_1
	v_add_u16_e32 v4, 0xe000, v4
	v_or_b32_sdwa v4, v8, v4 dst_sel:DWORD dst_unused:UNUSED_PAD src0_sel:DWORD src1_sel:BYTE_1
	v_and_b32_e32 v6, 0x30303030, v6
	v_add_u16_e32 v7, 0xe000, v7
	v_add_u16_sdwa v4, v4, s18 dst_sel:WORD_1 dst_unused:UNUSED_PAD src0_sel:DWORD src1_sel:DWORD
	v_and_or_b32 v9, v5, s15, v6
	v_or_b32_e32 v8, v7, v4
	v_mad_u64_u32 v[4:5], s[20:21], v34, s5, v[2:3]
	v_lshl_add_u64 v[6:7], v[4:5], 0, v[18:19]
	global_load_dword v13, v[6:7], off
	v_lshlrev_b16_e32 v6, 8, v9
	v_and_b32_e32 v12, 0x3f00, v9
	v_add_u16_e32 v6, 0xe000, v6
	v_lshl_add_u64 v[4:5], v[4:5], 0, v[20:21]
	v_or_b32_sdwa v6, v12, v6 dst_sel:DWORD dst_unused:UNUSED_PAD src0_sel:DWORD src1_sel:BYTE_1
	global_load_dword v12, v[4:5], off offset:128
	v_and_b32_sdwa v7, v9, s17 dst_sel:DWORD dst_unused:UNUSED_PAD src0_sel:WORD_1 src1_sel:DWORD
	v_lshlrev_b16_sdwa v9, v205, v9 dst_sel:DWORD dst_unused:UNUSED_PAD src0_sel:DWORD src1_sel:WORD_1
	v_add_u16_e32 v4, 0xe000, v9
	v_or_b32_sdwa v4, v7, v4 dst_sel:DWORD dst_unused:UNUSED_PAD src0_sel:DWORD src1_sel:BYTE_1
	v_add_u16_e32 v6, 0xe000, v6
	v_add_u16_sdwa v4, v4, s18 dst_sel:WORD_1 dst_unused:UNUSED_PAD src0_sel:DWORD src1_sel:DWORD
	s_nop 0
	v_or_b32_e32 v4, v6, v4
	ds_write2_b32 v145, v8, v4 offset1:16
	v_mad_u64_u32 v[4:5], s[20:21], v36, s5, v[2:3]
	v_lshl_add_u64 v[6:7], v[4:5], 0, v[18:19]
	v_lshl_add_u64 v[4:5], v[4:5], 0, v[20:21]
	global_load_dword v8, v[6:7], off
	global_load_dword v9, v[4:5], off offset:128
	s_waitcnt vmcnt(7)
	v_and_b32_e32 v4, 0xf0f0f0f, v10
	v_lshrrev_b32_e32 v5, 4, v10
	s_waitcnt vmcnt(6)
	v_ashrrev_i32_e32 v6, v141, v11
	v_lshlrev_b32_e32 v7, 4, v6
	v_and_or_b32 v4, v7, s16, v4
	v_lshlrev_b16_e32 v10, 8, v4
	v_and_b32_e32 v7, 0x3f00, v4
	v_add_u16_e32 v10, 0xe000, v10
	v_or_b32_sdwa v7, v7, v10 dst_sel:DWORD dst_unused:UNUSED_PAD src0_sel:DWORD src1_sel:BYTE_1
	v_and_b32_sdwa v10, v4, s17 dst_sel:DWORD dst_unused:UNUSED_PAD src0_sel:WORD_1 src1_sel:DWORD
	v_lshlrev_b16_sdwa v4, v205, v4 dst_sel:DWORD dst_unused:UNUSED_PAD src0_sel:DWORD src1_sel:WORD_1
	v_add_u16_e32 v4, 0xe000, v4
	v_and_b32_e32 v6, 0x30303030, v6
	v_or_b32_sdwa v4, v10, v4 dst_sel:DWORD dst_unused:UNUSED_PAD src0_sel:DWORD src1_sel:BYTE_1
	v_add_u16_e32 v7, 0xe000, v7
	v_add_u16_sdwa v4, v4, s18 dst_sel:WORD_1 dst_unused:UNUSED_PAD src0_sel:DWORD src1_sel:DWORD
	v_and_or_b32 v5, v5, s15, v6
	v_or_b32_e32 v4, v7, v4
	v_lshlrev_b16_e32 v7, 8, v5
	v_and_b32_e32 v6, 0x3f00, v5
	v_add_u16_e32 v7, 0xe000, v7
	v_or_b32_sdwa v6, v6, v7 dst_sel:DWORD dst_unused:UNUSED_PAD src0_sel:DWORD src1_sel:BYTE_1
	v_and_b32_sdwa v7, v5, s17 dst_sel:DWORD dst_unused:UNUSED_PAD src0_sel:WORD_1 src1_sel:DWORD
	v_lshlrev_b16_sdwa v5, v205, v5 dst_sel:DWORD dst_unused:UNUSED_PAD src0_sel:DWORD src1_sel:WORD_1
	v_add_u16_e32 v5, 0xe000, v5
	v_or_b32_sdwa v5, v7, v5 dst_sel:DWORD dst_unused:UNUSED_PAD src0_sel:DWORD src1_sel:BYTE_1
	v_add_u16_e32 v6, 0xe000, v6
	v_add_u16_sdwa v5, v5, s18 dst_sel:WORD_1 dst_unused:UNUSED_PAD src0_sel:DWORD src1_sel:DWORD
	s_nop 0
	v_or_b32_e32 v5, v6, v5
	ds_write2_b32 v147, v4, v5 offset1:16
	s_waitcnt vmcnt(5)
	v_and_b32_e32 v4, 0xf0f0f0f, v66
	s_waitcnt vmcnt(4)
	v_ashrrev_i32_e32 v6, v141, v67
	v_lshlrev_b32_e32 v7, 4, v6
	v_and_or_b32 v4, v7, s16, v4
	v_lshlrev_b16_e32 v10, 8, v4
	v_and_b32_e32 v7, 0x3f00, v4
	v_add_u16_e32 v10, 0xe000, v10
	v_or_b32_sdwa v7, v7, v10 dst_sel:DWORD dst_unused:UNUSED_PAD src0_sel:DWORD src1_sel:BYTE_1
	v_and_b32_sdwa v10, v4, s17 dst_sel:DWORD dst_unused:UNUSED_PAD src0_sel:WORD_1 src1_sel:DWORD
	v_lshlrev_b16_sdwa v4, v205, v4 dst_sel:DWORD dst_unused:UNUSED_PAD src0_sel:DWORD src1_sel:WORD_1
	v_add_u16_e32 v4, 0xe000, v4
	v_lshrrev_b32_e32 v5, 4, v66
	v_and_b32_e32 v6, 0x30303030, v6
	v_or_b32_sdwa v4, v10, v4 dst_sel:DWORD dst_unused:UNUSED_PAD src0_sel:DWORD src1_sel:BYTE_1
	v_add_u16_e32 v7, 0xe000, v7
	v_add_u16_sdwa v4, v4, s18 dst_sel:WORD_1 dst_unused:UNUSED_PAD src0_sel:DWORD src1_sel:DWORD
	v_and_or_b32 v5, v5, s15, v6
	v_or_b32_e32 v4, v7, v4
	v_lshlrev_b16_e32 v7, 8, v5
	v_and_b32_e32 v6, 0x3f00, v5
	v_add_u16_e32 v7, 0xe000, v7
	v_or_b32_sdwa v6, v6, v7 dst_sel:DWORD dst_unused:UNUSED_PAD src0_sel:DWORD src1_sel:BYTE_1
	v_and_b32_sdwa v7, v5, s17 dst_sel:DWORD dst_unused:UNUSED_PAD src0_sel:WORD_1 src1_sel:DWORD
	v_lshlrev_b16_sdwa v5, v205, v5 dst_sel:DWORD dst_unused:UNUSED_PAD src0_sel:DWORD src1_sel:WORD_1
	v_add_u16_e32 v5, 0xe000, v5
	v_or_b32_sdwa v5, v7, v5 dst_sel:DWORD dst_unused:UNUSED_PAD src0_sel:DWORD src1_sel:BYTE_1
	v_add_u16_e32 v6, 0xe000, v6
	v_add_u16_sdwa v5, v5, s18 dst_sel:WORD_1 dst_unused:UNUSED_PAD src0_sel:DWORD src1_sel:DWORD
	s_waitcnt vmcnt(3)
	v_and_b32_e32 v10, 0xf0f0f0f, v13
	v_or_b32_e32 v5, v6, v5
	ds_write2_b32 v148, v4, v5 offset1:16
	v_mad_u64_u32 v[4:5], s[20:21], v38, s5, v[2:3]
	v_lshl_add_u64 v[6:7], v[4:5], 0, v[18:19]
	v_lshl_add_u64 v[4:5], v[4:5], 0, v[20:21]
	global_load_dword v11, v[6:7], off
	global_load_dword v14, v[4:5], off offset:128
	s_waitcnt vmcnt(4)
	v_ashrrev_i32_e32 v5, v141, v12
	v_lshlrev_b32_e32 v6, 4, v5
	v_and_or_b32 v6, v6, s16, v10
	v_lshlrev_b16_e32 v10, 8, v6
	v_and_b32_e32 v7, 0x3f00, v6
	v_add_u16_e32 v10, 0xe000, v10
	v_or_b32_sdwa v7, v7, v10 dst_sel:DWORD dst_unused:UNUSED_PAD src0_sel:DWORD src1_sel:BYTE_1
	v_and_b32_sdwa v10, v6, s17 dst_sel:DWORD dst_unused:UNUSED_PAD src0_sel:WORD_1 src1_sel:DWORD
	v_lshlrev_b16_sdwa v6, v205, v6 dst_sel:DWORD dst_unused:UNUSED_PAD src0_sel:DWORD src1_sel:WORD_1
	v_add_u16_e32 v6, 0xe000, v6
	v_lshrrev_b32_e32 v4, 4, v13
	v_and_b32_e32 v5, 0x30303030, v5
	v_or_b32_sdwa v6, v10, v6 dst_sel:DWORD dst_unused:UNUSED_PAD src0_sel:DWORD src1_sel:BYTE_1
	v_add_u16_e32 v7, 0xe000, v7
	v_add_u16_sdwa v6, v6, s18 dst_sel:WORD_1 dst_unused:UNUSED_PAD src0_sel:DWORD src1_sel:DWORD
	v_and_or_b32 v4, v4, s15, v5
	v_or_b32_e32 v10, v7, v6
	v_lshlrev_b16_e32 v6, 8, v4
	v_and_b32_e32 v5, 0x3f00, v4
	v_add_u16_e32 v6, 0xe000, v6
	v_or_b32_sdwa v5, v5, v6 dst_sel:DWORD dst_unused:UNUSED_PAD src0_sel:DWORD src1_sel:BYTE_1
	v_add_u16_e32 v12, 0xe000, v5
	v_and_b32_sdwa v13, v4, s17 dst_sel:DWORD dst_unused:UNUSED_PAD src0_sel:WORD_1 src1_sel:DWORD
	v_lshlrev_b16_sdwa v15, v205, v4 dst_sel:DWORD dst_unused:UNUSED_PAD src0_sel:DWORD src1_sel:WORD_1
	v_mad_u64_u32 v[4:5], s[20:21], v40, s5, v[2:3]
	v_lshl_add_u64 v[6:7], v[4:5], 0, v[18:19]
	v_lshl_add_u64 v[4:5], v[4:5], 0, v[20:21]
	global_load_dword v66, v[6:7], off
	global_load_dword v67, v[4:5], off offset:128
	v_add_u16_e32 v4, 0xe000, v15
	v_or_b32_sdwa v4, v13, v4 dst_sel:DWORD dst_unused:UNUSED_PAD src0_sel:DWORD src1_sel:BYTE_1
	v_add_u16_sdwa v4, v4, s18 dst_sel:WORD_1 dst_unused:UNUSED_PAD src0_sel:DWORD src1_sel:DWORD
	s_waitcnt vmcnt(4)
	v_ashrrev_i32_e32 v6, v141, v9
	v_or_b32_e32 v4, v12, v4
	ds_write2_b32 v149, v10, v4 offset1:16
	v_and_b32_e32 v4, 0xf0f0f0f, v8
	v_lshlrev_b32_e32 v7, 4, v6
	v_and_or_b32 v4, v7, s16, v4
	v_lshrrev_b32_e32 v5, 4, v8
	v_lshlrev_b16_e32 v8, 8, v4
	v_and_b32_e32 v7, 0x3f00, v4
	v_add_u16_e32 v8, 0xe000, v8
	v_or_b32_sdwa v7, v7, v8 dst_sel:DWORD dst_unused:UNUSED_PAD src0_sel:DWORD src1_sel:BYTE_1
	v_and_b32_sdwa v8, v4, s17 dst_sel:DWORD dst_unused:UNUSED_PAD src0_sel:WORD_1 src1_sel:DWORD
	v_lshlrev_b16_sdwa v4, v205, v4 dst_sel:DWORD dst_unused:UNUSED_PAD src0_sel:DWORD src1_sel:WORD_1
	v_add_u16_e32 v4, 0xe000, v4
	v_or_b32_sdwa v4, v8, v4 dst_sel:DWORD dst_unused:UNUSED_PAD src0_sel:DWORD src1_sel:BYTE_1
	v_and_b32_e32 v6, 0x30303030, v6
	v_add_u16_e32 v7, 0xe000, v7
	v_add_u16_sdwa v4, v4, s18 dst_sel:WORD_1 dst_unused:UNUSED_PAD src0_sel:DWORD src1_sel:DWORD
	v_and_or_b32 v9, v5, s15, v6
	v_or_b32_e32 v8, v7, v4
	v_mad_u64_u32 v[4:5], s[20:21], v42, s5, v[2:3]
	v_lshl_add_u64 v[6:7], v[4:5], 0, v[18:19]
	global_load_dword v12, v[6:7], off
	v_lshlrev_b16_e32 v6, 8, v9
	v_and_b32_e32 v10, 0x3f00, v9
	v_add_u16_e32 v6, 0xe000, v6
	v_lshl_add_u64 v[4:5], v[4:5], 0, v[20:21]
	v_or_b32_sdwa v6, v10, v6 dst_sel:DWORD dst_unused:UNUSED_PAD src0_sel:DWORD src1_sel:BYTE_1
	global_load_dword v10, v[4:5], off offset:128
	v_and_b32_sdwa v7, v9, s17 dst_sel:DWORD dst_unused:UNUSED_PAD src0_sel:WORD_1 src1_sel:DWORD
	v_lshlrev_b16_sdwa v9, v205, v9 dst_sel:DWORD dst_unused:UNUSED_PAD src0_sel:DWORD src1_sel:WORD_1
	v_add_u16_e32 v4, 0xe000, v9
	v_or_b32_sdwa v4, v7, v4 dst_sel:DWORD dst_unused:UNUSED_PAD src0_sel:DWORD src1_sel:BYTE_1
	v_add_u16_e32 v6, 0xe000, v6
	v_add_u16_sdwa v4, v4, s18 dst_sel:WORD_1 dst_unused:UNUSED_PAD src0_sel:DWORD src1_sel:DWORD
	s_nop 0
	v_or_b32_e32 v4, v6, v4
	ds_write2_b32 v150, v8, v4 offset1:16
	v_mad_u64_u32 v[4:5], s[20:21], v44, s5, v[2:3]
	v_lshl_add_u64 v[6:7], v[4:5], 0, v[18:19]
	v_lshl_add_u64 v[4:5], v[4:5], 0, v[20:21]
	global_load_dword v8, v[6:7], off
	global_load_dword v9, v[4:5], off offset:128
	s_waitcnt vmcnt(7)
	v_and_b32_e32 v4, 0xf0f0f0f, v11
	s_waitcnt vmcnt(6)
	v_ashrrev_i32_e32 v6, v141, v14
	v_lshlrev_b32_e32 v7, 4, v6
	v_and_or_b32 v4, v7, s16, v4
	v_lshrrev_b32_e32 v5, 4, v11
	v_lshlrev_b16_e32 v11, 8, v4
	v_and_b32_e32 v7, 0x3f00, v4
	v_add_u16_e32 v11, 0xe000, v11
	v_or_b32_sdwa v7, v7, v11 dst_sel:DWORD dst_unused:UNUSED_PAD src0_sel:DWORD src1_sel:BYTE_1
	v_and_b32_sdwa v11, v4, s17 dst_sel:DWORD dst_unused:UNUSED_PAD src0_sel:WORD_1 src1_sel:DWORD
	v_lshlrev_b16_sdwa v4, v205, v4 dst_sel:DWORD dst_unused:UNUSED_PAD src0_sel:DWORD src1_sel:WORD_1
	v_add_u16_e32 v4, 0xe000, v4
	v_and_b32_e32 v6, 0x30303030, v6
	v_or_b32_sdwa v4, v11, v4 dst_sel:DWORD dst_unused:UNUSED_PAD src0_sel:DWORD src1_sel:BYTE_1
	v_add_u16_e32 v7, 0xe000, v7
	v_add_u16_sdwa v4, v4, s18 dst_sel:WORD_1 dst_unused:UNUSED_PAD src0_sel:DWORD src1_sel:DWORD
	v_and_or_b32 v5, v5, s15, v6
	v_or_b32_e32 v4, v7, v4
	v_lshlrev_b16_e32 v7, 8, v5
	v_and_b32_e32 v6, 0x3f00, v5
	v_add_u16_e32 v7, 0xe000, v7
	v_or_b32_sdwa v6, v6, v7 dst_sel:DWORD dst_unused:UNUSED_PAD src0_sel:DWORD src1_sel:BYTE_1
	v_and_b32_sdwa v7, v5, s17 dst_sel:DWORD dst_unused:UNUSED_PAD src0_sel:WORD_1 src1_sel:DWORD
	v_lshlrev_b16_sdwa v5, v205, v5 dst_sel:DWORD dst_unused:UNUSED_PAD src0_sel:DWORD src1_sel:WORD_1
	v_add_u16_e32 v5, 0xe000, v5
	v_or_b32_sdwa v5, v7, v5 dst_sel:DWORD dst_unused:UNUSED_PAD src0_sel:DWORD src1_sel:BYTE_1
	v_add_u16_e32 v6, 0xe000, v6
	v_add_u16_sdwa v5, v5, s18 dst_sel:WORD_1 dst_unused:UNUSED_PAD src0_sel:DWORD src1_sel:DWORD
	s_nop 0
	v_or_b32_e32 v5, v6, v5
	ds_write2_b32 v151, v4, v5 offset1:16
	s_waitcnt vmcnt(4)
	v_ashrrev_i32_e32 v6, v141, v67
	v_and_b32_e32 v4, 0xf0f0f0f, v66
	v_lshlrev_b32_e32 v7, 4, v6
	v_and_or_b32 v4, v7, s16, v4
	v_lshlrev_b16_e32 v11, 8, v4
	v_and_b32_e32 v7, 0x3f00, v4
	v_add_u16_e32 v11, 0xe000, v11
	v_or_b32_sdwa v7, v7, v11 dst_sel:DWORD dst_unused:UNUSED_PAD src0_sel:DWORD src1_sel:BYTE_1
	v_and_b32_sdwa v11, v4, s17 dst_sel:DWORD dst_unused:UNUSED_PAD src0_sel:WORD_1 src1_sel:DWORD
	v_lshlrev_b16_sdwa v4, v205, v4 dst_sel:DWORD dst_unused:UNUSED_PAD src0_sel:DWORD src1_sel:WORD_1
	v_add_u16_e32 v4, 0xe000, v4
	v_lshrrev_b32_e32 v5, 4, v66
	v_and_b32_e32 v6, 0x30303030, v6
	v_or_b32_sdwa v4, v11, v4 dst_sel:DWORD dst_unused:UNUSED_PAD src0_sel:DWORD src1_sel:BYTE_1
	v_add_u16_e32 v7, 0xe000, v7
	v_add_u16_sdwa v4, v4, s18 dst_sel:WORD_1 dst_unused:UNUSED_PAD src0_sel:DWORD src1_sel:DWORD
	v_and_or_b32 v5, v5, s15, v6
	v_or_b32_e32 v4, v7, v4
	v_lshlrev_b16_e32 v7, 8, v5
	v_and_b32_e32 v6, 0x3f00, v5
	v_add_u16_e32 v7, 0xe000, v7
	v_or_b32_sdwa v6, v6, v7 dst_sel:DWORD dst_unused:UNUSED_PAD src0_sel:DWORD src1_sel:BYTE_1
	v_and_b32_sdwa v7, v5, s17 dst_sel:DWORD dst_unused:UNUSED_PAD src0_sel:WORD_1 src1_sel:DWORD
	v_lshlrev_b16_sdwa v5, v205, v5 dst_sel:DWORD dst_unused:UNUSED_PAD src0_sel:DWORD src1_sel:WORD_1
	v_add_u16_e32 v5, 0xe000, v5
	v_or_b32_sdwa v5, v7, v5 dst_sel:DWORD dst_unused:UNUSED_PAD src0_sel:DWORD src1_sel:BYTE_1
	v_add_u16_e32 v6, 0xe000, v6
	v_add_u16_sdwa v5, v5, s18 dst_sel:WORD_1 dst_unused:UNUSED_PAD src0_sel:DWORD src1_sel:DWORD
	s_waitcnt vmcnt(3)
	v_and_b32_e32 v11, 0xf0f0f0f, v12
	v_or_b32_e32 v5, v6, v5
	ds_write2_b32 v152, v4, v5 offset1:16
	v_mad_u64_u32 v[4:5], s[20:21], v46, s5, v[2:3]
	v_lshl_add_u64 v[6:7], v[4:5], 0, v[18:19]
	v_lshl_add_u64 v[4:5], v[4:5], 0, v[20:21]
	global_load_dword v13, v[6:7], off
	global_load_dword v14, v[4:5], off offset:128
	s_waitcnt vmcnt(4)
	v_ashrrev_i32_e32 v5, v141, v10
	v_lshlrev_b32_e32 v6, 4, v5
	v_and_or_b32 v6, v6, s16, v11
	v_lshlrev_b16_e32 v10, 8, v6
	v_and_b32_e32 v7, 0x3f00, v6
	v_add_u16_e32 v10, 0xe000, v10
	v_or_b32_sdwa v7, v7, v10 dst_sel:DWORD dst_unused:UNUSED_PAD src0_sel:DWORD src1_sel:BYTE_1
	v_and_b32_sdwa v10, v6, s17 dst_sel:DWORD dst_unused:UNUSED_PAD src0_sel:WORD_1 src1_sel:DWORD
	v_lshlrev_b16_sdwa v6, v205, v6 dst_sel:DWORD dst_unused:UNUSED_PAD src0_sel:DWORD src1_sel:WORD_1
	v_add_u16_e32 v6, 0xe000, v6
	v_lshrrev_b32_e32 v4, 4, v12
	v_and_b32_e32 v5, 0x30303030, v5
	v_or_b32_sdwa v6, v10, v6 dst_sel:DWORD dst_unused:UNUSED_PAD src0_sel:DWORD src1_sel:BYTE_1
	v_add_u16_e32 v7, 0xe000, v7
	v_add_u16_sdwa v6, v6, s18 dst_sel:WORD_1 dst_unused:UNUSED_PAD src0_sel:DWORD src1_sel:DWORD
	v_and_or_b32 v4, v4, s15, v5
	v_or_b32_e32 v10, v7, v6
	v_lshlrev_b16_e32 v6, 8, v4
	v_and_b32_e32 v5, 0x3f00, v4
	v_add_u16_e32 v6, 0xe000, v6
	v_or_b32_sdwa v5, v5, v6 dst_sel:DWORD dst_unused:UNUSED_PAD src0_sel:DWORD src1_sel:BYTE_1
	v_add_u16_e32 v11, 0xe000, v5
	v_and_b32_sdwa v12, v4, s17 dst_sel:DWORD dst_unused:UNUSED_PAD src0_sel:WORD_1 src1_sel:DWORD
	v_lshlrev_b16_sdwa v15, v205, v4 dst_sel:DWORD dst_unused:UNUSED_PAD src0_sel:DWORD src1_sel:WORD_1
	v_mad_u64_u32 v[4:5], s[20:21], v48, s5, v[2:3]
	v_lshl_add_u64 v[6:7], v[4:5], 0, v[18:19]
	v_lshl_add_u64 v[4:5], v[4:5], 0, v[20:21]
	global_load_dword v66, v[6:7], off
	global_load_dword v67, v[4:5], off offset:128
	v_add_u16_e32 v4, 0xe000, v15
	v_or_b32_sdwa v4, v12, v4 dst_sel:DWORD dst_unused:UNUSED_PAD src0_sel:DWORD src1_sel:BYTE_1
	v_add_u16_sdwa v4, v4, s18 dst_sel:WORD_1 dst_unused:UNUSED_PAD src0_sel:DWORD src1_sel:DWORD
	s_waitcnt vmcnt(4)
	v_ashrrev_i32_e32 v6, v141, v9
	v_or_b32_e32 v4, v11, v4
	ds_write2_b32 v153, v10, v4 offset1:16
	v_and_b32_e32 v4, 0xf0f0f0f, v8
	v_lshlrev_b32_e32 v7, 4, v6
	v_and_or_b32 v4, v7, s16, v4
	v_lshrrev_b32_e32 v5, 4, v8
	v_lshlrev_b16_e32 v8, 8, v4
	v_and_b32_e32 v7, 0x3f00, v4
	v_add_u16_e32 v8, 0xe000, v8
	v_or_b32_sdwa v7, v7, v8 dst_sel:DWORD dst_unused:UNUSED_PAD src0_sel:DWORD src1_sel:BYTE_1
	v_and_b32_sdwa v8, v4, s17 dst_sel:DWORD dst_unused:UNUSED_PAD src0_sel:WORD_1 src1_sel:DWORD
	v_lshlrev_b16_sdwa v4, v205, v4 dst_sel:DWORD dst_unused:UNUSED_PAD src0_sel:DWORD src1_sel:WORD_1
	v_add_u16_e32 v4, 0xe000, v4
	v_and_b32_e32 v6, 0x30303030, v6
	v_or_b32_sdwa v4, v8, v4 dst_sel:DWORD dst_unused:UNUSED_PAD src0_sel:DWORD src1_sel:BYTE_1
	v_add_u16_e32 v7, 0xe000, v7
	v_add_u16_sdwa v4, v4, s18 dst_sel:WORD_1 dst_unused:UNUSED_PAD src0_sel:DWORD src1_sel:DWORD
	v_and_or_b32 v5, v5, s15, v6
	v_or_b32_e32 v4, v7, v4
	v_lshlrev_b16_e32 v7, 8, v5
	v_and_b32_e32 v6, 0x3f00, v5
	v_add_u16_e32 v7, 0xe000, v7
	v_or_b32_sdwa v6, v6, v7 dst_sel:DWORD dst_unused:UNUSED_PAD src0_sel:DWORD src1_sel:BYTE_1
	v_and_b32_sdwa v7, v5, s17 dst_sel:DWORD dst_unused:UNUSED_PAD src0_sel:WORD_1 src1_sel:DWORD
	v_lshlrev_b16_sdwa v5, v205, v5 dst_sel:DWORD dst_unused:UNUSED_PAD src0_sel:DWORD src1_sel:WORD_1
	v_add_u16_e32 v5, 0xe000, v5
	v_or_b32_sdwa v5, v7, v5 dst_sel:DWORD dst_unused:UNUSED_PAD src0_sel:DWORD src1_sel:BYTE_1
	v_add_u16_e32 v6, 0xe000, v6
	v_add_u16_sdwa v5, v5, s18 dst_sel:WORD_1 dst_unused:UNUSED_PAD src0_sel:DWORD src1_sel:DWORD
	s_nop 0
	v_or_b32_e32 v5, v6, v5
	ds_write2_b32 v154, v4, v5 offset1:16
	v_mad_u64_u32 v[4:5], s[20:21], v50, s5, v[2:3]
	v_lshl_add_u64 v[6:7], v[4:5], 0, v[18:19]
	v_lshl_add_u64 v[4:5], v[4:5], 0, v[20:21]
	v_mad_u64_u32 v[2:3], s[20:21], v52, s5, v[2:3]
	v_lshl_add_u64 v[8:9], v[2:3], 0, v[18:19]
	v_lshl_add_u64 v[2:3], v[2:3], 0, v[20:21]
	global_load_dword v68, v[6:7], off
	global_load_dword v69, v[4:5], off offset:128
	global_load_dword v70, v[8:9], off
	global_load_dword v71, v[2:3], off offset:128
	s_mov_b32 s21, 0
	s_waitcnt vmcnt(7)
	v_and_b32_e32 v2, 0xf0f0f0f, v13
	s_waitcnt vmcnt(6)
	v_ashrrev_i32_e32 v4, v141, v14
	v_lshlrev_b32_e32 v5, 4, v4
	v_and_or_b32 v2, v5, s16, v2
	v_lshlrev_b16_e32 v6, 8, v2
	v_and_b32_e32 v5, 0x3f00, v2
	v_add_u16_e32 v6, 0xe000, v6
	v_or_b32_sdwa v5, v5, v6 dst_sel:DWORD dst_unused:UNUSED_PAD src0_sel:DWORD src1_sel:BYTE_1
	v_and_b32_sdwa v6, v2, s17 dst_sel:DWORD dst_unused:UNUSED_PAD src0_sel:WORD_1 src1_sel:DWORD
	v_lshlrev_b16_sdwa v2, v205, v2 dst_sel:DWORD dst_unused:UNUSED_PAD src0_sel:DWORD src1_sel:WORD_1
	v_add_u16_e32 v2, 0xe000, v2
	v_lshrrev_b32_e32 v3, 4, v13
	v_and_b32_e32 v4, 0x30303030, v4
	v_or_b32_sdwa v2, v6, v2 dst_sel:DWORD dst_unused:UNUSED_PAD src0_sel:DWORD src1_sel:BYTE_1
	v_add_u16_e32 v5, 0xe000, v5
	v_add_u16_sdwa v2, v2, s18 dst_sel:WORD_1 dst_unused:UNUSED_PAD src0_sel:DWORD src1_sel:DWORD
	v_and_or_b32 v3, v3, s15, v4
	v_or_b32_e32 v2, v5, v2
	v_lshlrev_b16_e32 v5, 8, v3
	v_and_b32_e32 v4, 0x3f00, v3
	v_add_u16_e32 v5, 0xe000, v5
	v_or_b32_sdwa v4, v4, v5 dst_sel:DWORD dst_unused:UNUSED_PAD src0_sel:DWORD src1_sel:BYTE_1
	v_and_b32_sdwa v5, v3, s17 dst_sel:DWORD dst_unused:UNUSED_PAD src0_sel:WORD_1 src1_sel:DWORD
	v_lshlrev_b16_sdwa v3, v205, v3 dst_sel:DWORD dst_unused:UNUSED_PAD src0_sel:DWORD src1_sel:WORD_1
	v_add_u16_e32 v3, 0xe000, v3
	v_or_b32_sdwa v3, v5, v3 dst_sel:DWORD dst_unused:UNUSED_PAD src0_sel:DWORD src1_sel:BYTE_1
	v_add_u16_e32 v4, 0xe000, v4
	v_add_u16_sdwa v3, v3, s18 dst_sel:WORD_1 dst_unused:UNUSED_PAD src0_sel:DWORD src1_sel:DWORD
	v_add_u32_e32 v14, s19, v167
	v_or_b32_e32 v3, v4, v3
	ds_write2_b32 v155, v2, v3 offset1:16
	s_waitcnt vmcnt(4)
	v_ashrrev_i32_e32 v4, v141, v67
	v_and_b32_e32 v2, 0xf0f0f0f, v66
	v_lshlrev_b32_e32 v5, 4, v4
	v_and_or_b32 v2, v5, s16, v2
	v_lshlrev_b16_e32 v6, 8, v2
	v_and_b32_e32 v5, 0x3f00, v2
	v_add_u16_e32 v6, 0xe000, v6
	v_or_b32_sdwa v5, v5, v6 dst_sel:DWORD dst_unused:UNUSED_PAD src0_sel:DWORD src1_sel:BYTE_1
	v_and_b32_sdwa v6, v2, s17 dst_sel:DWORD dst_unused:UNUSED_PAD src0_sel:WORD_1 src1_sel:DWORD
	v_lshlrev_b16_sdwa v2, v205, v2 dst_sel:DWORD dst_unused:UNUSED_PAD src0_sel:DWORD src1_sel:WORD_1
	v_lshrrev_b32_e32 v3, 4, v66
	v_and_b32_e32 v4, 0x30303030, v4
	v_add_u16_e32 v2, 0xe000, v2
	v_or_b32_sdwa v2, v6, v2 dst_sel:DWORD dst_unused:UNUSED_PAD src0_sel:DWORD src1_sel:BYTE_1
	v_and_or_b32 v73, v3, s15, v4
	v_add_u16_e32 v5, 0xe000, v5
	v_add_u16_sdwa v2, v2, s18 dst_sel:WORD_1 dst_unused:UNUSED_PAD src0_sel:DWORD src1_sel:DWORD
	v_lshlrev_b16_e32 v3, 8, v73
	v_or_b32_e32 v72, v5, v2
	v_and_b32_e32 v2, 0x3f00, v73
	v_add_u16_e32 v3, 0xe000, v3
	v_or_b32_sdwa v2, v2, v3 dst_sel:DWORD dst_unused:UNUSED_PAD src0_sel:DWORD src1_sel:BYTE_1
	v_add_u16_e32 v74, 0xe000, v2
	v_lshl_add_u64 v[2:3], s[0:1], 0, v[56:57]
	v_mad_u64_u32 v[4:5], s[0:1], v58, s5, v[2:3]
	v_mad_u64_u32 v[2:3], s[0:1], v60, s5, v[2:3]
	global_load_ushort v75, v[0:1], off offset:208
	global_load_dword v76, v[4:5], off offset:192
	global_load_dword v77, v[2:3], off offset:192
	v_add_u32_e32 v0, v14, v168
	v_add_u32_e32 v2, v14, v171
	;; [unrolled: 1-line block ×5, first 2 shown]
	v_mad_i64_i32 v[0:1], s[0:1], v0, 36, v[62:63]
	v_mad_i64_i32 v[2:3], s[0:1], v2, 36, v[62:63]
	;; [unrolled: 1-line block ×5, first 2 shown]
	v_add_u32_e32 v10, v14, v183
	v_add_u32_e32 v12, v14, v186
	;; [unrolled: 1-line block ×3, first 2 shown]
	v_mad_i64_i32 v[10:11], s[0:1], v10, 36, v[62:63]
	v_mad_i64_i32 v[12:13], s[0:1], v12, 36, v[62:63]
	;; [unrolled: 1-line block ×3, first 2 shown]
	v_mad_u64_u32 v[66:67], s[0:1], v206, 36, s[2:3]
	global_load_dword v0, v[0:1], off offset:4
	s_nop 0
	global_load_dword v1, v[2:3], off offset:4
	s_nop 0
	global_load_dword v2, v[4:5], off offset:4
	global_load_dword v3, v[6:7], off offset:4
	s_nop 0
	global_load_dword v4, v[8:9], off offset:4
	global_load_dword v5, v[66:67], off
	global_load_dword v6, v[10:11], off offset:4
	global_load_dword v7, v[12:13], off offset:4
	s_nop 0
	global_load_dword v8, v[14:15], off offset:4
	v_lshlrev_b16_sdwa v10, v205, v73 dst_sel:DWORD dst_unused:UNUSED_PAD src0_sel:DWORD src1_sel:WORD_1
	v_and_b32_sdwa v9, v73, s17 dst_sel:DWORD dst_unused:UNUSED_PAD src0_sel:WORD_1 src1_sel:DWORD
	v_add_u16_e32 v10, 0xe000, v10
	v_or_b32_sdwa v9, v9, v10 dst_sel:DWORD dst_unused:UNUSED_PAD src0_sel:DWORD src1_sel:BYTE_1
	v_add_u16_sdwa v9, v9, s18 dst_sel:WORD_1 dst_unused:UNUSED_PAD src0_sel:DWORD src1_sel:DWORD
	s_waitcnt vmcnt(14)
	v_ashrrev_i32_e32 v11, v141, v69
	v_or_b32_e32 v9, v74, v9
	ds_write2_b32 v157, v72, v9 offset1:16
	v_and_b32_e32 v9, 0xf0f0f0f, v68
	v_lshlrev_b32_e32 v12, 4, v11
	v_and_or_b32 v9, v12, s16, v9
	v_lshlrev_b16_e32 v13, 8, v9
	v_and_b32_e32 v12, 0x3f00, v9
	v_add_u16_e32 v13, 0xe000, v13
	v_or_b32_sdwa v12, v12, v13 dst_sel:DWORD dst_unused:UNUSED_PAD src0_sel:DWORD src1_sel:BYTE_1
	v_and_b32_sdwa v13, v9, s17 dst_sel:DWORD dst_unused:UNUSED_PAD src0_sel:WORD_1 src1_sel:DWORD
	v_lshlrev_b16_sdwa v9, v205, v9 dst_sel:DWORD dst_unused:UNUSED_PAD src0_sel:DWORD src1_sel:WORD_1
	v_add_u16_e32 v9, 0xe000, v9
	v_lshrrev_b32_e32 v10, 4, v68
	v_and_b32_e32 v11, 0x30303030, v11
	v_or_b32_sdwa v9, v13, v9 dst_sel:DWORD dst_unused:UNUSED_PAD src0_sel:DWORD src1_sel:BYTE_1
	v_add_u16_e32 v12, 0xe000, v12
	v_add_u16_sdwa v9, v9, s18 dst_sel:WORD_1 dst_unused:UNUSED_PAD src0_sel:DWORD src1_sel:DWORD
	v_and_or_b32 v10, v10, s15, v11
	v_or_b32_e32 v9, v12, v9
	v_lshlrev_b16_e32 v12, 8, v10
	v_and_b32_e32 v11, 0x3f00, v10
	v_add_u16_e32 v12, 0xe000, v12
	v_or_b32_sdwa v11, v11, v12 dst_sel:DWORD dst_unused:UNUSED_PAD src0_sel:DWORD src1_sel:BYTE_1
	v_and_b32_sdwa v12, v10, s17 dst_sel:DWORD dst_unused:UNUSED_PAD src0_sel:WORD_1 src1_sel:DWORD
	v_lshlrev_b16_sdwa v10, v205, v10 dst_sel:DWORD dst_unused:UNUSED_PAD src0_sel:DWORD src1_sel:WORD_1
	v_add_u16_e32 v10, 0xe000, v10
	v_or_b32_sdwa v10, v12, v10 dst_sel:DWORD dst_unused:UNUSED_PAD src0_sel:DWORD src1_sel:BYTE_1
	v_add_u16_e32 v11, 0xe000, v11
	v_add_u16_sdwa v10, v10, s18 dst_sel:WORD_1 dst_unused:UNUSED_PAD src0_sel:DWORD src1_sel:DWORD
	s_mov_b64 s[0:1], -1
	v_or_b32_e32 v10, v11, v10
	s_waitcnt vmcnt(12)
	v_ashrrev_i32_e32 v11, v141, v71
	ds_write2_b32 v158, v9, v10 offset1:16
	v_and_b32_e32 v9, 0xf0f0f0f, v70
	v_lshlrev_b32_e32 v12, 4, v11
	v_and_or_b32 v9, v12, s16, v9
	v_lshlrev_b16_e32 v13, 8, v9
	v_and_b32_e32 v12, 0x3f00, v9
	v_add_u16_e32 v13, 0xe000, v13
	v_or_b32_sdwa v12, v12, v13 dst_sel:DWORD dst_unused:UNUSED_PAD src0_sel:DWORD src1_sel:BYTE_1
	v_and_b32_sdwa v13, v9, s17 dst_sel:DWORD dst_unused:UNUSED_PAD src0_sel:WORD_1 src1_sel:DWORD
	v_lshlrev_b16_sdwa v9, v205, v9 dst_sel:DWORD dst_unused:UNUSED_PAD src0_sel:DWORD src1_sel:WORD_1
	v_add_u16_e32 v9, 0xe000, v9
	v_lshrrev_b32_e32 v10, 4, v70
	v_and_b32_e32 v11, 0x30303030, v11
	v_or_b32_sdwa v9, v13, v9 dst_sel:DWORD dst_unused:UNUSED_PAD src0_sel:DWORD src1_sel:BYTE_1
	v_add_u16_e32 v12, 0xe000, v12
	v_add_u16_sdwa v9, v9, s18 dst_sel:WORD_1 dst_unused:UNUSED_PAD src0_sel:DWORD src1_sel:DWORD
	v_and_or_b32 v10, v10, s15, v11
	v_or_b32_e32 v9, v12, v9
	v_lshlrev_b16_e32 v12, 8, v10
	v_and_b32_e32 v11, 0x3f00, v10
	v_add_u16_e32 v12, 0xe000, v12
	v_or_b32_sdwa v11, v11, v12 dst_sel:DWORD dst_unused:UNUSED_PAD src0_sel:DWORD src1_sel:BYTE_1
	v_and_b32_sdwa v12, v10, s17 dst_sel:DWORD dst_unused:UNUSED_PAD src0_sel:WORD_1 src1_sel:DWORD
	v_lshlrev_b16_sdwa v10, v205, v10 dst_sel:DWORD dst_unused:UNUSED_PAD src0_sel:DWORD src1_sel:WORD_1
	v_add_u16_e32 v10, 0xe000, v10
	v_or_b32_sdwa v10, v12, v10 dst_sel:DWORD dst_unused:UNUSED_PAD src0_sel:DWORD src1_sel:BYTE_1
	s_waitcnt vmcnt(11)
	v_cvt_f32_f16_e32 v12, v75
	v_add_u16_e32 v11, 0xe000, v11
	v_add_u16_sdwa v10, v10, s18 dst_sel:WORD_1 dst_unused:UNUSED_PAD src0_sel:DWORD src1_sel:DWORD
	s_nop 0
	v_or_b32_e32 v10, v11, v10
	ds_write2_b32 v159, v9, v10 offset1:16
	ds_write_b32 v161, v12
	s_waitcnt vmcnt(10)
	ds_write_b32 v163, v76
	s_waitcnt vmcnt(9)
	;; [unrolled: 2-line block ×8, first 2 shown]
	v_cvt_f32_f16_e32 v0, v5
	s_waitcnt vmcnt(2)
	ds_write_b32 v185, v6
	s_waitcnt vmcnt(1)
	ds_write_b32 v188, v7
	;; [unrolled: 2-line block ×3, first 2 shown]
	ds_write_b32 v166, v0
	s_waitcnt lgkmcnt(0)
	s_barrier
	ds_read_b32 v207, v192
	ds_read_b32 v208, v194 offset:128
	ds_read_b32 v209, v195 offset:256
	;; [unrolled: 1-line block ×3, first 2 shown]
.LBB155_6:                              ;   Parent Loop BB155_5 Depth=1
                                        ; =>  This Inner Loop Header: Depth=2
	s_lshl_b32 s20, s21, 1
	v_or_b32_e32 v0, s20, v160
	v_lshlrev_b32_e32 v12, 2, v0
	s_lshr_b32 s22, s21, 1
	s_lshl_b32 s21, s21, 3
	v_lshrrev_b32_e32 v66, 1, v0
	ds_read_b128 v[0:3], v12 offset:33280
	ds_read_b128 v[4:7], v12 offset:33296
	;; [unrolled: 1-line block ×4, first 2 shown]
	ds_read_b64 v[130:131], v66 offset:43584
	v_add_u32_e32 v74, s22, v197
	v_add_u32_e32 v75, s21, v198
	ds_read2_b32 v[70:71], v75 offset0:6 offset1:7
	ds_read2_b32 v[72:73], v75 offset0:4 offset1:5
	;; [unrolled: 1-line block ×3, first 2 shown]
	ds_read2_b32 v[68:69], v75 offset1:1
	ds_read_b32 v76, v74
	ds_read2_b32 v[126:127], v75 offset0:14 offset1:15
	ds_read2_b32 v[128:129], v75 offset0:12 offset1:13
	v_mov_b32_e32 v74, 0
	ds_read2_b32 v[82:83], v75 offset0:10 offset1:11
	ds_read2_b32 v[84:85], v75 offset0:8 offset1:9
	s_waitcnt lgkmcnt(7)
	v_dot4c_i32_i8_e32 v74, v72, v4
	v_mov_b32_e32 v75, 0
	v_dot4c_i32_i8_e32 v74, v73, v5
	s_waitcnt lgkmcnt(5)
	v_dot4c_i32_i8_e32 v75, v68, v0
	v_dot4c_i32_i8_e32 v74, v70, v6
	;; [unrolled: 1-line block ×4, first 2 shown]
	s_waitcnt lgkmcnt(4)
	v_bfe_i32 v211, v76, 8, 8
	v_dot4c_i32_i8_e32 v75, v66, v2
	v_dot4c_i32_i8_e32 v75, v67, v3
	v_mul_lo_u32 v74, v74, v211
	v_bfe_i32 v212, v76, 0, 8
	v_mov_b32_e32 v77, 0
	v_mad_u64_u32 v[74:75], s[24:25], v75, v212, v[74:75]
	s_waitcnt lgkmcnt(2)
	v_dot4c_i32_i8_e32 v77, v128, v12
	v_mov_b32_e32 v78, 0
	v_cvt_f32_i32_e32 v74, v74
	v_dot4c_i32_i8_e32 v77, v129, v13
	s_waitcnt lgkmcnt(0)
	v_dot4c_i32_i8_e32 v78, v84, v8
	v_dot4c_i32_i8_e32 v77, v126, v14
	;; [unrolled: 1-line block ×5, first 2 shown]
	v_ashrrev_i32_e32 v214, 24, v76
	v_dot4c_i32_i8_e32 v78, v83, v11
	v_fma_f32 v79, v130, v74, 0
	v_bfe_i32 v213, v76, 16, 8
	v_mul_lo_u32 v74, v77, v214
	v_mad_u64_u32 v[74:75], s[24:25], v78, v213, v[74:75]
	v_cvt_f32_i32_e32 v74, v74
	v_add_u32_e32 v86, s22, v199
	v_add_u32_e32 v90, s21, v200
	v_mov_b32_e32 v91, 0
	v_fmac_f32_e32 v79, v131, v74
	v_fmac_f32_e32 v169, v207, v79
	ds_read2_b32 v[78:79], v90 offset0:6 offset1:7
	ds_read2_b32 v[80:81], v90 offset0:4 offset1:5
	;; [unrolled: 1-line block ×3, first 2 shown]
	ds_read2_b32 v[76:77], v90 offset1:1
	ds_read_b32 v92, v86
	ds_read2_b32 v[86:87], v90 offset0:14 offset1:15
	ds_read2_b32 v[88:89], v90 offset0:12 offset1:13
	;; [unrolled: 1-line block ×4, first 2 shown]
	v_mov_b32_e32 v90, 0
	s_waitcnt lgkmcnt(7)
	v_dot4c_i32_i8_e32 v90, v80, v4
	v_dot4c_i32_i8_e32 v90, v81, v5
	s_waitcnt lgkmcnt(5)
	v_dot4c_i32_i8_e32 v91, v76, v0
	v_dot4c_i32_i8_e32 v90, v78, v6
	v_dot4c_i32_i8_e32 v91, v77, v1
	v_dot4c_i32_i8_e32 v90, v79, v7
	s_waitcnt lgkmcnt(4)
	v_bfe_i32 v215, v92, 8, 8
	v_dot4c_i32_i8_e32 v91, v74, v2
	v_dot4c_i32_i8_e32 v91, v75, v3
	v_mul_lo_u32 v90, v90, v215
	v_bfe_i32 v216, v92, 0, 8
	v_mov_b32_e32 v93, 0
	v_mad_u64_u32 v[90:91], s[24:25], v91, v216, v[90:91]
	s_waitcnt lgkmcnt(2)
	v_dot4c_i32_i8_e32 v93, v88, v12
	v_mov_b32_e32 v94, 0
	v_cvt_f32_i32_e32 v90, v90
	v_dot4c_i32_i8_e32 v93, v89, v13
	s_waitcnt lgkmcnt(0)
	v_dot4c_i32_i8_e32 v94, v104, v8
	v_dot4c_i32_i8_e32 v93, v86, v14
	;; [unrolled: 1-line block ×5, first 2 shown]
	v_ashrrev_i32_e32 v218, 24, v92
	v_dot4c_i32_i8_e32 v94, v101, v11
	v_fma_f32 v95, v130, v90, 0
	v_bfe_i32 v217, v92, 16, 8
	v_mul_lo_u32 v90, v93, v218
	v_mad_u64_u32 v[90:91], s[24:25], v94, v217, v[90:91]
	v_cvt_f32_i32_e32 v90, v90
	v_add_u32_e32 v98, s22, v201
	v_add_u32_e32 v99, s21, v202
	v_mov_b32_e32 v103, 0
	v_fmac_f32_e32 v95, v131, v90
	v_fmac_f32_e32 v164, v208, v95
	ds_read2_b32 v[94:95], v99 offset0:6 offset1:7
	ds_read2_b32 v[96:97], v99 offset0:4 offset1:5
	;; [unrolled: 1-line block ×3, first 2 shown]
	ds_read2_b32 v[92:93], v99 offset1:1
	ds_read_b32 v102, v98
	ds_read2_b32 v[106:107], v99 offset0:14 offset1:15
	ds_read2_b32 v[108:109], v99 offset0:12 offset1:13
	v_mov_b32_e32 v98, 0
	ds_read2_b32 v[116:117], v99 offset0:10 offset1:11
	ds_read2_b32 v[120:121], v99 offset0:8 offset1:9
	s_waitcnt lgkmcnt(7)
	v_dot4c_i32_i8_e32 v98, v96, v4
	v_mov_b32_e32 v99, 0
	v_dot4c_i32_i8_e32 v98, v97, v5
	s_waitcnt lgkmcnt(5)
	v_dot4c_i32_i8_e32 v99, v92, v0
	v_dot4c_i32_i8_e32 v98, v94, v6
	;; [unrolled: 1-line block ×4, first 2 shown]
	s_waitcnt lgkmcnt(4)
	v_bfe_i32 v219, v102, 8, 8
	v_dot4c_i32_i8_e32 v99, v90, v2
	v_dot4c_i32_i8_e32 v99, v91, v3
	v_mul_lo_u32 v98, v98, v219
	v_bfe_i32 v220, v102, 0, 8
	s_waitcnt lgkmcnt(2)
	v_dot4c_i32_i8_e32 v103, v108, v12
	v_mad_u64_u32 v[98:99], s[24:25], v99, v220, v[98:99]
	v_mov_b32_e32 v110, 0
	v_cvt_f32_i32_e32 v98, v98
	v_dot4c_i32_i8_e32 v103, v109, v13
	s_waitcnt lgkmcnt(0)
	v_dot4c_i32_i8_e32 v110, v120, v8
	v_dot4c_i32_i8_e32 v103, v106, v14
	;; [unrolled: 1-line block ×5, first 2 shown]
	v_ashrrev_i32_e32 v222, 24, v102
	v_dot4c_i32_i8_e32 v110, v117, v11
	v_fma_f32 v111, v130, v98, 0
	v_bfe_i32 v221, v102, 16, 8
	v_mul_lo_u32 v98, v103, v222
	v_mad_u64_u32 v[98:99], s[24:25], v110, v221, v[98:99]
	v_cvt_f32_i32_e32 v98, v98
	v_add_u32_e32 v114, s22, v203
	v_add_u32_e32 v124, s21, v204
	v_mov_b32_e32 v227, 0
	v_fmac_f32_e32 v111, v131, v98
	v_fmac_f32_e32 v162, v209, v111
	ds_read2_b32 v[110:111], v124 offset0:6 offset1:7
	ds_read2_b32 v[112:113], v124 offset0:4 offset1:5
	;; [unrolled: 1-line block ×3, first 2 shown]
	ds_read2_b32 v[102:103], v124 offset1:1
	ds_read_b32 v226, v114
	ds_read2_b32 v[114:115], v124 offset0:14 offset1:15
	ds_read2_b32 v[118:119], v124 offset0:12 offset1:13
	;; [unrolled: 1-line block ×4, first 2 shown]
	v_mov_b32_e32 v228, 0
	s_waitcnt lgkmcnt(4)
	v_bfe_i32 v223, v226, 8, 8
	v_bfe_i32 v224, v226, 0, 8
	s_waitcnt lgkmcnt(2)
	v_dot4c_i32_i8_e32 v227, v118, v12
	v_mov_b32_e32 v12, 0
	s_waitcnt lgkmcnt(0)
	v_dot4c_i32_i8_e32 v12, v124, v8
	v_mov_b32_e32 v8, 0
	v_dot4c_i32_i8_e32 v8, v112, v4
	v_dot4c_i32_i8_e32 v8, v113, v5
	v_mov_b32_e32 v5, 0
	v_dot4c_i32_i8_e32 v5, v102, v0
	v_dot4c_i32_i8_e32 v8, v110, v6
	;; [unrolled: 1-line block ×7, first 2 shown]
	v_mul_lo_u32 v4, v8, v223
	v_dot4c_i32_i8_e32 v227, v114, v14
	v_mad_u64_u32 v[0:1], s[22:23], v5, v224, v[4:5]
	v_cvt_f32_i32_e32 v0, v0
	v_dot4c_i32_i8_e32 v12, v125, v9
	v_dot4c_i32_i8_e32 v227, v115, v15
	;; [unrolled: 1-line block ×3, first 2 shown]
	v_bfe_i32 v225, v226, 16, 8
	v_ashrrev_i32_e32 v226, 24, v226
	v_dot4c_i32_i8_e32 v12, v123, v11
	v_fma_f32 v2, v130, v0, 0
	v_mul_lo_u32 v0, v227, v226
	v_mov_b32_e32 v229, 0
	v_mad_u64_u32 v[0:1], s[22:23], v12, v225, v[0:1]
	v_cvt_f32_i32_e32 v0, v0
	v_mov_b32_e32 v227, 0
	v_mov_b32_e32 v230, 0
	s_and_b64 vcc, exec, s[0:1]
	v_fmac_f32_e32 v2, v131, v0
	v_or_b32_e32 v0, s20, v172
	v_lshlrev_b32_e32 v12, 2, v0
	v_lshrrev_b32_e32 v130, 1, v0
	v_fmac_f32_e32 v156, v210, v2
	ds_read_b128 v[0:3], v12 offset:33280
	ds_read_b128 v[4:7], v12 offset:33296
	;; [unrolled: 1-line block ×4, first 2 shown]
	ds_read_b64 v[130:131], v130 offset:43584
	s_waitcnt lgkmcnt(4)
	v_dot4c_i32_i8_e32 v229, v68, v0
	s_waitcnt lgkmcnt(3)
	v_dot4c_i32_i8_e32 v228, v72, v4
	v_dot4c_i32_i8_e32 v228, v73, v5
	;; [unrolled: 1-line block ×7, first 2 shown]
	s_waitcnt lgkmcnt(1)
	v_dot4c_i32_i8_e32 v227, v128, v12
	v_mul_lo_u32 v228, v228, v211
	v_dot4c_i32_i8_e32 v227, v129, v13
	v_mad_u64_u32 v[228:229], s[22:23], v229, v212, v[228:229]
	v_cvt_f32_i32_e32 v228, v228
	v_dot4c_i32_i8_e32 v230, v84, v8
	v_dot4c_i32_i8_e32 v227, v126, v14
	;; [unrolled: 1-line block ×6, first 2 shown]
	s_waitcnt lgkmcnt(0)
	v_fma_f32 v231, v130, v228, 0
	v_mul_lo_u32 v228, v227, v214
	s_mov_b64 s[0:1], 0
	v_mad_u64_u32 v[228:229], s[22:23], v230, v213, v[228:229]
	v_cvt_f32_i32_e32 v227, v228
	v_mov_b32_e32 v228, 0
	v_dot4c_i32_i8_e32 v228, v80, v4
	v_mov_b32_e32 v229, 0
	v_dot4c_i32_i8_e32 v228, v81, v5
	v_dot4c_i32_i8_e32 v229, v76, v0
	;; [unrolled: 1-line block ×7, first 2 shown]
	v_fmac_f32_e32 v231, v131, v227
	v_mul_lo_u32 v228, v228, v215
	v_mov_b32_e32 v227, 0
	v_mad_u64_u32 v[228:229], s[22:23], v229, v216, v[228:229]
	v_dot4c_i32_i8_e32 v227, v88, v12
	v_mov_b32_e32 v230, 0
	v_cvt_f32_i32_e32 v228, v228
	v_dot4c_i32_i8_e32 v227, v89, v13
	v_dot4c_i32_i8_e32 v230, v104, v8
	;; [unrolled: 1-line block ×6, first 2 shown]
	v_fmac_f32_e32 v146, v207, v231
	v_dot4c_i32_i8_e32 v230, v101, v11
	v_fma_f32 v231, v130, v228, 0
	v_mul_lo_u32 v228, v227, v218
	s_nop 0
	v_mad_u64_u32 v[228:229], s[22:23], v230, v217, v[228:229]
	v_cvt_f32_i32_e32 v227, v228
	v_mov_b32_e32 v228, 0
	v_dot4c_i32_i8_e32 v228, v96, v4
	v_mov_b32_e32 v229, 0
	v_dot4c_i32_i8_e32 v228, v97, v5
	v_dot4c_i32_i8_e32 v229, v92, v0
	;; [unrolled: 1-line block ×7, first 2 shown]
	v_fmac_f32_e32 v231, v131, v227
	v_mul_lo_u32 v228, v228, v219
	v_mov_b32_e32 v227, 0
	v_mad_u64_u32 v[228:229], s[22:23], v229, v220, v[228:229]
	v_dot4c_i32_i8_e32 v227, v108, v12
	v_mov_b32_e32 v230, 0
	v_cvt_f32_i32_e32 v228, v228
	v_dot4c_i32_i8_e32 v227, v109, v13
	v_dot4c_i32_i8_e32 v230, v120, v8
	;; [unrolled: 1-line block ×6, first 2 shown]
	v_fmac_f32_e32 v140, v208, v231
	v_dot4c_i32_i8_e32 v230, v117, v11
	v_fma_f32 v231, v130, v228, 0
	v_mul_lo_u32 v228, v227, v222
	s_nop 0
	v_mad_u64_u32 v[228:229], s[22:23], v230, v221, v[228:229]
	v_cvt_f32_i32_e32 v227, v228
	v_mov_b32_e32 v228, 0
	v_mov_b32_e32 v229, 0
	;; [unrolled: 1-line block ×3, first 2 shown]
	v_fmac_f32_e32 v231, v131, v227
	v_mov_b32_e32 v227, 0
	v_dot4c_i32_i8_e32 v227, v118, v12
	v_mov_b32_e32 v12, 0
	v_dot4c_i32_i8_e32 v12, v124, v8
	;; [unrolled: 2-line block ×3, first 2 shown]
	v_dot4c_i32_i8_e32 v8, v113, v5
	v_mov_b32_e32 v5, 0
	v_dot4c_i32_i8_e32 v5, v102, v0
	v_dot4c_i32_i8_e32 v8, v110, v6
	;; [unrolled: 1-line block ×7, first 2 shown]
	v_mul_lo_u32 v4, v8, v223
	v_dot4c_i32_i8_e32 v227, v114, v14
	v_mad_u64_u32 v[0:1], s[22:23], v5, v224, v[4:5]
	v_cvt_f32_i32_e32 v0, v0
	v_dot4c_i32_i8_e32 v12, v125, v9
	v_dot4c_i32_i8_e32 v227, v115, v15
	;; [unrolled: 1-line block ×4, first 2 shown]
	v_fma_f32 v2, v130, v0, 0
	v_mul_lo_u32 v0, v227, v226
	v_mov_b32_e32 v227, 0
	v_mad_u64_u32 v[0:1], s[22:23], v12, v225, v[0:1]
	v_cvt_f32_i32_e32 v0, v0
	v_fmac_f32_e32 v139, v209, v231
	v_fmac_f32_e32 v2, v131, v0
	v_or_b32_e32 v0, s20, v175
	v_lshlrev_b32_e32 v12, 2, v0
	v_lshrrev_b32_e32 v130, 1, v0
	v_fmac_f32_e32 v138, v210, v2
	ds_read_b128 v[0:3], v12 offset:33280
	ds_read_b128 v[4:7], v12 offset:33296
	;; [unrolled: 1-line block ×4, first 2 shown]
	ds_read_b64 v[130:131], v130 offset:43584
	s_waitcnt lgkmcnt(4)
	v_dot4c_i32_i8_e32 v229, v68, v0
	s_waitcnt lgkmcnt(3)
	v_dot4c_i32_i8_e32 v228, v72, v4
	v_dot4c_i32_i8_e32 v228, v73, v5
	;; [unrolled: 1-line block ×7, first 2 shown]
	s_waitcnt lgkmcnt(1)
	v_dot4c_i32_i8_e32 v227, v128, v12
	v_mul_lo_u32 v228, v228, v211
	v_dot4c_i32_i8_e32 v227, v129, v13
	v_mad_u64_u32 v[228:229], s[22:23], v229, v212, v[228:229]
	v_cvt_f32_i32_e32 v228, v228
	v_dot4c_i32_i8_e32 v230, v84, v8
	v_dot4c_i32_i8_e32 v227, v126, v14
	;; [unrolled: 1-line block ×6, first 2 shown]
	s_waitcnt lgkmcnt(0)
	v_fma_f32 v231, v130, v228, 0
	v_mul_lo_u32 v228, v227, v214
	v_mad_u64_u32 v[228:229], s[22:23], v230, v213, v[228:229]
	v_cvt_f32_i32_e32 v227, v228
	v_mov_b32_e32 v228, 0
	v_dot4c_i32_i8_e32 v228, v80, v4
	v_mov_b32_e32 v229, 0
	v_dot4c_i32_i8_e32 v228, v81, v5
	v_dot4c_i32_i8_e32 v229, v76, v0
	v_dot4c_i32_i8_e32 v228, v78, v6
	v_dot4c_i32_i8_e32 v229, v77, v1
	v_dot4c_i32_i8_e32 v228, v79, v7
	v_dot4c_i32_i8_e32 v229, v74, v2
	v_dot4c_i32_i8_e32 v229, v75, v3
	v_fmac_f32_e32 v231, v131, v227
	v_mul_lo_u32 v228, v228, v215
	v_mov_b32_e32 v227, 0
	v_mad_u64_u32 v[228:229], s[22:23], v229, v216, v[228:229]
	v_dot4c_i32_i8_e32 v227, v88, v12
	v_mov_b32_e32 v230, 0
	v_cvt_f32_i32_e32 v228, v228
	v_dot4c_i32_i8_e32 v227, v89, v13
	v_dot4c_i32_i8_e32 v230, v104, v8
	;; [unrolled: 1-line block ×6, first 2 shown]
	v_fmac_f32_e32 v136, v207, v231
	v_dot4c_i32_i8_e32 v230, v101, v11
	v_fma_f32 v231, v130, v228, 0
	v_mul_lo_u32 v228, v227, v218
	s_nop 0
	v_mad_u64_u32 v[228:229], s[22:23], v230, v217, v[228:229]
	v_cvt_f32_i32_e32 v227, v228
	v_mov_b32_e32 v228, 0
	v_dot4c_i32_i8_e32 v228, v96, v4
	v_mov_b32_e32 v229, 0
	v_dot4c_i32_i8_e32 v228, v97, v5
	v_dot4c_i32_i8_e32 v229, v92, v0
	;; [unrolled: 1-line block ×7, first 2 shown]
	v_fmac_f32_e32 v231, v131, v227
	v_mul_lo_u32 v228, v228, v219
	v_mov_b32_e32 v227, 0
	v_mad_u64_u32 v[228:229], s[22:23], v229, v220, v[228:229]
	v_dot4c_i32_i8_e32 v227, v108, v12
	v_mov_b32_e32 v230, 0
	v_cvt_f32_i32_e32 v228, v228
	v_dot4c_i32_i8_e32 v227, v109, v13
	v_dot4c_i32_i8_e32 v230, v120, v8
	v_dot4c_i32_i8_e32 v227, v106, v14
	v_dot4c_i32_i8_e32 v230, v121, v9
	v_dot4c_i32_i8_e32 v227, v107, v15
	v_dot4c_i32_i8_e32 v230, v116, v10
	v_fmac_f32_e32 v135, v208, v231
	v_dot4c_i32_i8_e32 v230, v117, v11
	v_fma_f32 v231, v130, v228, 0
	v_mul_lo_u32 v228, v227, v222
	s_nop 0
	v_mad_u64_u32 v[228:229], s[22:23], v230, v221, v[228:229]
	v_cvt_f32_i32_e32 v227, v228
	v_mov_b32_e32 v228, 0
	v_mov_b32_e32 v229, 0
	;; [unrolled: 1-line block ×3, first 2 shown]
	v_fmac_f32_e32 v231, v131, v227
	v_mov_b32_e32 v227, 0
	v_dot4c_i32_i8_e32 v227, v118, v12
	v_mov_b32_e32 v12, 0
	v_dot4c_i32_i8_e32 v12, v124, v8
	;; [unrolled: 2-line block ×3, first 2 shown]
	v_dot4c_i32_i8_e32 v8, v113, v5
	v_mov_b32_e32 v5, 0
	v_dot4c_i32_i8_e32 v5, v102, v0
	v_dot4c_i32_i8_e32 v8, v110, v6
	;; [unrolled: 1-line block ×7, first 2 shown]
	v_mul_lo_u32 v4, v8, v223
	v_dot4c_i32_i8_e32 v227, v114, v14
	v_mad_u64_u32 v[0:1], s[22:23], v5, v224, v[4:5]
	v_cvt_f32_i32_e32 v0, v0
	v_dot4c_i32_i8_e32 v12, v125, v9
	v_dot4c_i32_i8_e32 v227, v115, v15
	v_dot4c_i32_i8_e32 v12, v122, v10
	v_dot4c_i32_i8_e32 v12, v123, v11
	v_fma_f32 v2, v130, v0, 0
	v_mul_lo_u32 v0, v227, v226
	v_mov_b32_e32 v227, 0
	v_mad_u64_u32 v[0:1], s[22:23], v12, v225, v[0:1]
	v_cvt_f32_i32_e32 v0, v0
	v_fmac_f32_e32 v134, v209, v231
	v_fmac_f32_e32 v2, v131, v0
	v_or_b32_e32 v0, s20, v178
	v_lshlrev_b32_e32 v12, 2, v0
	v_lshrrev_b32_e32 v130, 1, v0
	v_fmac_f32_e32 v133, v210, v2
	ds_read_b128 v[0:3], v12 offset:33280
	ds_read_b128 v[4:7], v12 offset:33296
	;; [unrolled: 1-line block ×4, first 2 shown]
	ds_read_b64 v[130:131], v130 offset:43584
	s_waitcnt lgkmcnt(4)
	v_dot4c_i32_i8_e32 v229, v68, v0
	s_waitcnt lgkmcnt(3)
	v_dot4c_i32_i8_e32 v228, v72, v4
	v_dot4c_i32_i8_e32 v228, v73, v5
	;; [unrolled: 1-line block ×7, first 2 shown]
	s_waitcnt lgkmcnt(1)
	v_dot4c_i32_i8_e32 v227, v128, v12
	v_mul_lo_u32 v228, v228, v211
	v_dot4c_i32_i8_e32 v227, v129, v13
	v_mad_u64_u32 v[228:229], s[22:23], v229, v212, v[228:229]
	v_cvt_f32_i32_e32 v228, v228
	v_dot4c_i32_i8_e32 v230, v84, v8
	v_dot4c_i32_i8_e32 v227, v126, v14
	;; [unrolled: 1-line block ×6, first 2 shown]
	s_waitcnt lgkmcnt(0)
	v_fma_f32 v231, v130, v228, 0
	v_mul_lo_u32 v228, v227, v214
	v_mad_u64_u32 v[228:229], s[22:23], v230, v213, v[228:229]
	v_cvt_f32_i32_e32 v227, v228
	v_mov_b32_e32 v228, 0
	v_dot4c_i32_i8_e32 v228, v80, v4
	v_mov_b32_e32 v229, 0
	v_dot4c_i32_i8_e32 v228, v81, v5
	v_dot4c_i32_i8_e32 v229, v76, v0
	;; [unrolled: 1-line block ×7, first 2 shown]
	v_fmac_f32_e32 v231, v131, v227
	v_mul_lo_u32 v228, v228, v215
	v_mov_b32_e32 v227, 0
	v_mad_u64_u32 v[228:229], s[22:23], v229, v216, v[228:229]
	v_dot4c_i32_i8_e32 v227, v88, v12
	v_mov_b32_e32 v230, 0
	v_cvt_f32_i32_e32 v228, v228
	v_dot4c_i32_i8_e32 v227, v89, v13
	v_dot4c_i32_i8_e32 v230, v104, v8
	;; [unrolled: 1-line block ×6, first 2 shown]
	v_fmac_f32_e32 v65, v207, v231
	v_dot4c_i32_i8_e32 v230, v101, v11
	v_fma_f32 v231, v130, v228, 0
	v_mul_lo_u32 v228, v227, v218
	s_nop 0
	v_mad_u64_u32 v[228:229], s[22:23], v230, v217, v[228:229]
	v_cvt_f32_i32_e32 v227, v228
	v_mov_b32_e32 v228, 0
	v_dot4c_i32_i8_e32 v228, v96, v4
	v_mov_b32_e32 v229, 0
	v_dot4c_i32_i8_e32 v228, v97, v5
	v_dot4c_i32_i8_e32 v229, v92, v0
	;; [unrolled: 1-line block ×7, first 2 shown]
	v_fmac_f32_e32 v231, v131, v227
	v_mul_lo_u32 v228, v228, v219
	v_mov_b32_e32 v227, 0
	v_mad_u64_u32 v[228:229], s[22:23], v229, v220, v[228:229]
	v_dot4c_i32_i8_e32 v227, v108, v12
	v_mov_b32_e32 v230, 0
	v_cvt_f32_i32_e32 v228, v228
	v_dot4c_i32_i8_e32 v227, v109, v13
	v_dot4c_i32_i8_e32 v230, v120, v8
	;; [unrolled: 1-line block ×6, first 2 shown]
	v_fmac_f32_e32 v59, v208, v231
	v_dot4c_i32_i8_e32 v230, v117, v11
	v_fma_f32 v231, v130, v228, 0
	v_mul_lo_u32 v228, v227, v222
	s_nop 0
	v_mad_u64_u32 v[228:229], s[22:23], v230, v221, v[228:229]
	v_cvt_f32_i32_e32 v227, v228
	v_mov_b32_e32 v228, 0
	v_mov_b32_e32 v229, 0
	;; [unrolled: 1-line block ×3, first 2 shown]
	v_fmac_f32_e32 v231, v131, v227
	v_mov_b32_e32 v227, 0
	v_dot4c_i32_i8_e32 v227, v118, v12
	v_mov_b32_e32 v12, 0
	v_dot4c_i32_i8_e32 v12, v124, v8
	;; [unrolled: 2-line block ×3, first 2 shown]
	v_dot4c_i32_i8_e32 v8, v113, v5
	v_mov_b32_e32 v5, 0
	v_dot4c_i32_i8_e32 v5, v102, v0
	v_dot4c_i32_i8_e32 v8, v110, v6
	;; [unrolled: 1-line block ×7, first 2 shown]
	v_mul_lo_u32 v4, v8, v223
	v_dot4c_i32_i8_e32 v227, v114, v14
	v_mad_u64_u32 v[0:1], s[22:23], v5, v224, v[4:5]
	v_cvt_f32_i32_e32 v0, v0
	v_dot4c_i32_i8_e32 v12, v125, v9
	v_dot4c_i32_i8_e32 v227, v115, v15
	;; [unrolled: 1-line block ×4, first 2 shown]
	v_fma_f32 v2, v130, v0, 0
	v_mul_lo_u32 v0, v227, v226
	v_mov_b32_e32 v227, 0
	v_mad_u64_u32 v[0:1], s[22:23], v12, v225, v[0:1]
	v_cvt_f32_i32_e32 v0, v0
	v_fmac_f32_e32 v55, v209, v231
	v_fmac_f32_e32 v2, v131, v0
	v_or_b32_e32 v0, s20, v181
	v_lshlrev_b32_e32 v12, 2, v0
	v_lshrrev_b32_e32 v130, 1, v0
	v_fmac_f32_e32 v53, v210, v2
	ds_read_b128 v[0:3], v12 offset:33280
	ds_read_b128 v[4:7], v12 offset:33296
	;; [unrolled: 1-line block ×4, first 2 shown]
	ds_read_b64 v[130:131], v130 offset:43584
	s_waitcnt lgkmcnt(4)
	v_dot4c_i32_i8_e32 v229, v68, v0
	s_waitcnt lgkmcnt(3)
	v_dot4c_i32_i8_e32 v228, v72, v4
	v_dot4c_i32_i8_e32 v228, v73, v5
	;; [unrolled: 1-line block ×7, first 2 shown]
	s_waitcnt lgkmcnt(1)
	v_dot4c_i32_i8_e32 v227, v128, v12
	v_mul_lo_u32 v228, v228, v211
	v_dot4c_i32_i8_e32 v227, v129, v13
	v_mad_u64_u32 v[228:229], s[22:23], v229, v212, v[228:229]
	v_cvt_f32_i32_e32 v228, v228
	v_dot4c_i32_i8_e32 v230, v84, v8
	v_dot4c_i32_i8_e32 v227, v126, v14
	;; [unrolled: 1-line block ×6, first 2 shown]
	s_waitcnt lgkmcnt(0)
	v_fma_f32 v231, v130, v228, 0
	v_mul_lo_u32 v228, v227, v214
	v_mad_u64_u32 v[228:229], s[22:23], v230, v213, v[228:229]
	v_cvt_f32_i32_e32 v227, v228
	v_mov_b32_e32 v228, 0
	v_dot4c_i32_i8_e32 v228, v80, v4
	v_mov_b32_e32 v229, 0
	v_dot4c_i32_i8_e32 v228, v81, v5
	v_dot4c_i32_i8_e32 v229, v76, v0
	;; [unrolled: 1-line block ×7, first 2 shown]
	v_fmac_f32_e32 v231, v131, v227
	v_mul_lo_u32 v228, v228, v215
	v_mov_b32_e32 v227, 0
	v_mad_u64_u32 v[228:229], s[22:23], v229, v216, v[228:229]
	v_dot4c_i32_i8_e32 v227, v88, v12
	v_mov_b32_e32 v230, 0
	v_cvt_f32_i32_e32 v228, v228
	v_dot4c_i32_i8_e32 v227, v89, v13
	v_dot4c_i32_i8_e32 v230, v104, v8
	;; [unrolled: 1-line block ×6, first 2 shown]
	v_fmac_f32_e32 v51, v207, v231
	v_dot4c_i32_i8_e32 v230, v101, v11
	v_fma_f32 v231, v130, v228, 0
	v_mul_lo_u32 v228, v227, v218
	s_nop 0
	v_mad_u64_u32 v[228:229], s[22:23], v230, v217, v[228:229]
	v_cvt_f32_i32_e32 v227, v228
	v_mov_b32_e32 v228, 0
	v_dot4c_i32_i8_e32 v228, v96, v4
	v_mov_b32_e32 v229, 0
	v_dot4c_i32_i8_e32 v228, v97, v5
	v_dot4c_i32_i8_e32 v229, v92, v0
	;; [unrolled: 1-line block ×7, first 2 shown]
	v_fmac_f32_e32 v231, v131, v227
	v_mul_lo_u32 v228, v228, v219
	v_mov_b32_e32 v227, 0
	v_mad_u64_u32 v[228:229], s[22:23], v229, v220, v[228:229]
	v_dot4c_i32_i8_e32 v227, v108, v12
	v_mov_b32_e32 v230, 0
	v_cvt_f32_i32_e32 v228, v228
	v_dot4c_i32_i8_e32 v227, v109, v13
	v_dot4c_i32_i8_e32 v230, v120, v8
	;; [unrolled: 1-line block ×6, first 2 shown]
	v_fmac_f32_e32 v49, v208, v231
	v_dot4c_i32_i8_e32 v230, v117, v11
	v_fma_f32 v231, v130, v228, 0
	v_mul_lo_u32 v228, v227, v222
	s_nop 0
	v_mad_u64_u32 v[228:229], s[22:23], v230, v221, v[228:229]
	v_cvt_f32_i32_e32 v227, v228
	v_mov_b32_e32 v228, 0
	v_mov_b32_e32 v229, 0
	v_mov_b32_e32 v230, 0
	v_fmac_f32_e32 v231, v131, v227
	v_mov_b32_e32 v227, 0
	v_dot4c_i32_i8_e32 v227, v118, v12
	v_mov_b32_e32 v12, 0
	v_dot4c_i32_i8_e32 v12, v124, v8
	;; [unrolled: 2-line block ×3, first 2 shown]
	v_dot4c_i32_i8_e32 v8, v113, v5
	v_mov_b32_e32 v5, 0
	v_dot4c_i32_i8_e32 v5, v102, v0
	v_dot4c_i32_i8_e32 v8, v110, v6
	;; [unrolled: 1-line block ×7, first 2 shown]
	v_mul_lo_u32 v4, v8, v223
	v_dot4c_i32_i8_e32 v227, v114, v14
	v_mad_u64_u32 v[0:1], s[22:23], v5, v224, v[4:5]
	v_cvt_f32_i32_e32 v0, v0
	v_dot4c_i32_i8_e32 v12, v125, v9
	v_dot4c_i32_i8_e32 v227, v115, v15
	;; [unrolled: 1-line block ×4, first 2 shown]
	v_fma_f32 v2, v130, v0, 0
	v_mul_lo_u32 v0, v227, v226
	v_mov_b32_e32 v227, 0
	v_mad_u64_u32 v[0:1], s[22:23], v12, v225, v[0:1]
	v_cvt_f32_i32_e32 v0, v0
	v_fmac_f32_e32 v47, v209, v231
	v_fmac_f32_e32 v2, v131, v0
	v_or_b32_e32 v0, s20, v184
	v_lshlrev_b32_e32 v12, 2, v0
	v_lshrrev_b32_e32 v130, 1, v0
	v_fmac_f32_e32 v45, v210, v2
	ds_read_b128 v[0:3], v12 offset:33280
	ds_read_b128 v[4:7], v12 offset:33296
	;; [unrolled: 1-line block ×4, first 2 shown]
	ds_read_b64 v[130:131], v130 offset:43584
	s_waitcnt lgkmcnt(4)
	v_dot4c_i32_i8_e32 v229, v68, v0
	s_waitcnt lgkmcnt(3)
	v_dot4c_i32_i8_e32 v228, v72, v4
	v_dot4c_i32_i8_e32 v228, v73, v5
	;; [unrolled: 1-line block ×7, first 2 shown]
	s_waitcnt lgkmcnt(1)
	v_dot4c_i32_i8_e32 v227, v128, v12
	v_mul_lo_u32 v228, v228, v211
	v_dot4c_i32_i8_e32 v227, v129, v13
	v_mad_u64_u32 v[228:229], s[22:23], v229, v212, v[228:229]
	v_cvt_f32_i32_e32 v228, v228
	v_dot4c_i32_i8_e32 v230, v84, v8
	v_dot4c_i32_i8_e32 v227, v126, v14
	;; [unrolled: 1-line block ×6, first 2 shown]
	s_waitcnt lgkmcnt(0)
	v_fma_f32 v231, v130, v228, 0
	v_mul_lo_u32 v228, v227, v214
	v_mad_u64_u32 v[228:229], s[22:23], v230, v213, v[228:229]
	v_cvt_f32_i32_e32 v227, v228
	v_mov_b32_e32 v228, 0
	v_dot4c_i32_i8_e32 v228, v80, v4
	v_mov_b32_e32 v229, 0
	v_dot4c_i32_i8_e32 v228, v81, v5
	v_dot4c_i32_i8_e32 v229, v76, v0
	;; [unrolled: 1-line block ×7, first 2 shown]
	v_fmac_f32_e32 v231, v131, v227
	v_mul_lo_u32 v228, v228, v215
	v_mov_b32_e32 v227, 0
	v_mad_u64_u32 v[228:229], s[22:23], v229, v216, v[228:229]
	v_dot4c_i32_i8_e32 v227, v88, v12
	v_mov_b32_e32 v230, 0
	v_cvt_f32_i32_e32 v228, v228
	v_dot4c_i32_i8_e32 v227, v89, v13
	v_dot4c_i32_i8_e32 v230, v104, v8
	;; [unrolled: 1-line block ×6, first 2 shown]
	v_fmac_f32_e32 v43, v207, v231
	v_dot4c_i32_i8_e32 v230, v101, v11
	v_fma_f32 v231, v130, v228, 0
	v_mul_lo_u32 v228, v227, v218
	s_nop 0
	v_mad_u64_u32 v[228:229], s[22:23], v230, v217, v[228:229]
	v_cvt_f32_i32_e32 v227, v228
	v_mov_b32_e32 v228, 0
	v_dot4c_i32_i8_e32 v228, v96, v4
	v_mov_b32_e32 v229, 0
	v_dot4c_i32_i8_e32 v228, v97, v5
	v_dot4c_i32_i8_e32 v229, v92, v0
	;; [unrolled: 1-line block ×7, first 2 shown]
	v_fmac_f32_e32 v231, v131, v227
	v_mul_lo_u32 v228, v228, v219
	v_mov_b32_e32 v227, 0
	v_mad_u64_u32 v[228:229], s[22:23], v229, v220, v[228:229]
	v_dot4c_i32_i8_e32 v227, v108, v12
	v_mov_b32_e32 v230, 0
	v_cvt_f32_i32_e32 v228, v228
	v_dot4c_i32_i8_e32 v227, v109, v13
	v_dot4c_i32_i8_e32 v230, v120, v8
	;; [unrolled: 1-line block ×6, first 2 shown]
	v_fmac_f32_e32 v41, v208, v231
	v_dot4c_i32_i8_e32 v230, v117, v11
	v_fma_f32 v231, v130, v228, 0
	v_mul_lo_u32 v228, v227, v222
	s_nop 0
	v_mad_u64_u32 v[228:229], s[22:23], v230, v221, v[228:229]
	v_cvt_f32_i32_e32 v227, v228
	v_mov_b32_e32 v228, 0
	v_mov_b32_e32 v229, 0
	v_mov_b32_e32 v230, 0
	v_fmac_f32_e32 v231, v131, v227
	v_mov_b32_e32 v227, 0
	v_dot4c_i32_i8_e32 v227, v118, v12
	v_mov_b32_e32 v12, 0
	v_dot4c_i32_i8_e32 v12, v124, v8
	;; [unrolled: 2-line block ×3, first 2 shown]
	v_dot4c_i32_i8_e32 v8, v113, v5
	v_mov_b32_e32 v5, 0
	v_dot4c_i32_i8_e32 v5, v102, v0
	v_dot4c_i32_i8_e32 v8, v110, v6
	;; [unrolled: 1-line block ×7, first 2 shown]
	v_mul_lo_u32 v4, v8, v223
	v_dot4c_i32_i8_e32 v227, v114, v14
	v_mad_u64_u32 v[0:1], s[22:23], v5, v224, v[4:5]
	v_cvt_f32_i32_e32 v0, v0
	v_dot4c_i32_i8_e32 v12, v125, v9
	v_dot4c_i32_i8_e32 v227, v115, v15
	;; [unrolled: 1-line block ×4, first 2 shown]
	v_fma_f32 v2, v130, v0, 0
	v_mul_lo_u32 v0, v227, v226
	v_mov_b32_e32 v227, 0
	v_mad_u64_u32 v[0:1], s[22:23], v12, v225, v[0:1]
	v_cvt_f32_i32_e32 v0, v0
	v_fmac_f32_e32 v39, v209, v231
	v_fmac_f32_e32 v2, v131, v0
	v_or_b32_e32 v0, s20, v187
	v_lshlrev_b32_e32 v12, 2, v0
	v_lshrrev_b32_e32 v130, 1, v0
	v_fmac_f32_e32 v37, v210, v2
	ds_read_b128 v[0:3], v12 offset:33280
	ds_read_b128 v[4:7], v12 offset:33296
	;; [unrolled: 1-line block ×4, first 2 shown]
	ds_read_b64 v[130:131], v130 offset:43584
	s_waitcnt lgkmcnt(4)
	v_dot4c_i32_i8_e32 v229, v68, v0
	s_waitcnt lgkmcnt(3)
	v_dot4c_i32_i8_e32 v228, v72, v4
	v_dot4c_i32_i8_e32 v228, v73, v5
	;; [unrolled: 1-line block ×7, first 2 shown]
	s_waitcnt lgkmcnt(1)
	v_dot4c_i32_i8_e32 v227, v128, v12
	v_mul_lo_u32 v228, v228, v211
	v_dot4c_i32_i8_e32 v227, v129, v13
	v_mad_u64_u32 v[228:229], s[22:23], v229, v212, v[228:229]
	v_cvt_f32_i32_e32 v228, v228
	v_dot4c_i32_i8_e32 v230, v84, v8
	v_dot4c_i32_i8_e32 v227, v126, v14
	;; [unrolled: 1-line block ×6, first 2 shown]
	s_waitcnt lgkmcnt(0)
	v_fma_f32 v231, v130, v228, 0
	v_mul_lo_u32 v228, v227, v214
	v_mad_u64_u32 v[228:229], s[22:23], v230, v213, v[228:229]
	v_cvt_f32_i32_e32 v227, v228
	v_mov_b32_e32 v228, 0
	v_dot4c_i32_i8_e32 v228, v80, v4
	v_mov_b32_e32 v229, 0
	v_dot4c_i32_i8_e32 v228, v81, v5
	v_dot4c_i32_i8_e32 v229, v76, v0
	;; [unrolled: 1-line block ×7, first 2 shown]
	v_fmac_f32_e32 v231, v131, v227
	v_mul_lo_u32 v228, v228, v215
	v_mov_b32_e32 v227, 0
	v_mad_u64_u32 v[228:229], s[22:23], v229, v216, v[228:229]
	v_dot4c_i32_i8_e32 v227, v88, v12
	v_mov_b32_e32 v230, 0
	v_cvt_f32_i32_e32 v228, v228
	v_dot4c_i32_i8_e32 v227, v89, v13
	v_dot4c_i32_i8_e32 v230, v104, v8
	;; [unrolled: 1-line block ×6, first 2 shown]
	v_fmac_f32_e32 v35, v207, v231
	v_dot4c_i32_i8_e32 v230, v101, v11
	v_fma_f32 v231, v130, v228, 0
	v_mul_lo_u32 v228, v227, v218
	s_nop 0
	v_mad_u64_u32 v[228:229], s[22:23], v230, v217, v[228:229]
	v_cvt_f32_i32_e32 v227, v228
	v_mov_b32_e32 v228, 0
	v_dot4c_i32_i8_e32 v228, v96, v4
	v_mov_b32_e32 v229, 0
	v_dot4c_i32_i8_e32 v228, v97, v5
	v_dot4c_i32_i8_e32 v229, v92, v0
	;; [unrolled: 1-line block ×7, first 2 shown]
	v_fmac_f32_e32 v231, v131, v227
	v_mul_lo_u32 v228, v228, v219
	v_mov_b32_e32 v227, 0
	v_mad_u64_u32 v[228:229], s[22:23], v229, v220, v[228:229]
	v_dot4c_i32_i8_e32 v227, v108, v12
	v_mov_b32_e32 v230, 0
	v_cvt_f32_i32_e32 v228, v228
	v_dot4c_i32_i8_e32 v227, v109, v13
	v_dot4c_i32_i8_e32 v230, v120, v8
	;; [unrolled: 1-line block ×6, first 2 shown]
	v_fmac_f32_e32 v33, v208, v231
	v_dot4c_i32_i8_e32 v230, v117, v11
	v_fma_f32 v231, v130, v228, 0
	v_mul_lo_u32 v228, v227, v222
	s_nop 0
	v_mad_u64_u32 v[228:229], s[22:23], v230, v221, v[228:229]
	v_cvt_f32_i32_e32 v227, v228
	v_fmac_f32_e32 v231, v131, v227
	v_mov_b32_e32 v227, 0
	v_dot4c_i32_i8_e32 v227, v118, v12
	v_mov_b32_e32 v12, 0
	v_dot4c_i32_i8_e32 v12, v124, v8
	;; [unrolled: 2-line block ×3, first 2 shown]
	v_dot4c_i32_i8_e32 v8, v113, v5
	v_mov_b32_e32 v5, 0
	v_dot4c_i32_i8_e32 v5, v102, v0
	v_dot4c_i32_i8_e32 v8, v110, v6
	v_dot4c_i32_i8_e32 v5, v103, v1
	v_dot4c_i32_i8_e32 v8, v111, v7
	v_dot4c_i32_i8_e32 v5, v98, v2
	v_dot4c_i32_i8_e32 v5, v99, v3
	v_dot4c_i32_i8_e32 v227, v119, v13
	v_mul_lo_u32 v4, v8, v223
	v_dot4c_i32_i8_e32 v227, v114, v14
	v_mad_u64_u32 v[0:1], s[22:23], v5, v224, v[4:5]
	v_cvt_f32_i32_e32 v0, v0
	v_dot4c_i32_i8_e32 v12, v125, v9
	v_dot4c_i32_i8_e32 v227, v115, v15
	;; [unrolled: 1-line block ×4, first 2 shown]
	v_fma_f32 v2, v130, v0, 0
	v_mul_lo_u32 v0, v227, v226
	v_mov_b32_e32 v227, 0
	v_mad_u64_u32 v[0:1], s[22:23], v12, v225, v[0:1]
	v_cvt_f32_i32_e32 v0, v0
	v_fmac_f32_e32 v31, v209, v231
	v_fmac_f32_e32 v2, v131, v0
	v_or_b32_e32 v0, s20, v190
	v_lshlrev_b32_e32 v12, 2, v0
	v_lshrrev_b32_e32 v130, 1, v0
	v_fmac_f32_e32 v29, v210, v2
	ds_read_b128 v[0:3], v12 offset:33280
	ds_read_b128 v[4:7], v12 offset:33296
	ds_read_b128 v[8:11], v12 offset:33312
	ds_read_b128 v[12:15], v12 offset:33328
	ds_read_b64 v[130:131], v130 offset:43584
	s_waitcnt lgkmcnt(1)
	v_dot4c_i32_i8_e32 v227, v128, v12
	v_dot4c_i32_i8_e32 v227, v129, v13
	;; [unrolled: 1-line block ×3, first 2 shown]
	v_mov_b32_e32 v126, 0
	v_dot4c_i32_i8_e32 v126, v84, v8
	v_dot4c_i32_i8_e32 v126, v85, v9
	;; [unrolled: 1-line block ×3, first 2 shown]
	v_mov_b32_e32 v82, 0
	v_dot4c_i32_i8_e32 v82, v72, v4
	v_dot4c_i32_i8_e32 v82, v73, v5
	;; [unrolled: 1-line block ×4, first 2 shown]
	v_mov_b32_e32 v71, 0
	v_dot4c_i32_i8_e32 v71, v68, v0
	v_dot4c_i32_i8_e32 v71, v69, v1
	;; [unrolled: 1-line block ×3, first 2 shown]
	v_mul_lo_u32 v70, v82, v211
	v_dot4c_i32_i8_e32 v71, v67, v3
	v_dot4c_i32_i8_e32 v227, v127, v15
	;; [unrolled: 1-line block ×3, first 2 shown]
	v_mov_b32_e32 v69, 0
	v_mad_u64_u32 v[66:67], s[20:21], v71, v212, v[70:71]
	v_cvt_f32_i32_e32 v66, v66
	v_dot4c_i32_i8_e32 v69, v104, v8
	v_dot4c_i32_i8_e32 v69, v105, v9
	;; [unrolled: 1-line block ×3, first 2 shown]
	s_waitcnt lgkmcnt(0)
	v_fma_f32 v68, v130, v66, 0
	v_mul_lo_u32 v66, v227, v214
	v_mad_u64_u32 v[66:67], s[20:21], v126, v213, v[66:67]
	v_cvt_f32_i32_e32 v66, v66
	v_mov_b32_e32 v67, 0
	v_dot4c_i32_i8_e32 v67, v76, v0
	v_dot4c_i32_i8_e32 v67, v77, v1
	v_fmac_f32_e32 v68, v131, v66
	v_mov_b32_e32 v66, 0
	v_dot4c_i32_i8_e32 v66, v80, v4
	v_dot4c_i32_i8_e32 v66, v81, v5
	;; [unrolled: 1-line block ×6, first 2 shown]
	v_fmac_f32_e32 v27, v207, v68
	v_mul_lo_u32 v66, v66, v215
	v_mov_b32_e32 v68, 0
	v_mad_u64_u32 v[66:67], s[20:21], v67, v216, v[66:67]
	v_dot4c_i32_i8_e32 v68, v88, v12
	v_cvt_f32_i32_e32 v66, v66
	v_dot4c_i32_i8_e32 v68, v89, v13
	v_dot4c_i32_i8_e32 v68, v86, v14
	;; [unrolled: 1-line block ×4, first 2 shown]
	v_fma_f32 v70, v130, v66, 0
	s_nop 0
	v_mul_lo_u32 v66, v68, v218
	v_mad_u64_u32 v[66:67], s[20:21], v69, v217, v[66:67]
	v_cvt_f32_i32_e32 v66, v66
	v_mov_b32_e32 v67, 0
	v_dot4c_i32_i8_e32 v67, v92, v0
	v_dot4c_i32_i8_e32 v67, v93, v1
	v_fmac_f32_e32 v70, v131, v66
	v_mov_b32_e32 v66, 0
	v_dot4c_i32_i8_e32 v66, v96, v4
	v_dot4c_i32_i8_e32 v66, v97, v5
	;; [unrolled: 1-line block ×6, first 2 shown]
	v_mov_b32_e32 v68, 0
	v_mul_lo_u32 v66, v66, v219
	v_dot4c_i32_i8_e32 v68, v108, v12
	v_mad_u64_u32 v[66:67], s[20:21], v67, v220, v[66:67]
	v_mov_b32_e32 v69, 0
	v_cvt_f32_i32_e32 v66, v66
	v_dot4c_i32_i8_e32 v68, v109, v13
	v_dot4c_i32_i8_e32 v69, v120, v8
	;; [unrolled: 1-line block ×6, first 2 shown]
	v_fmac_f32_e32 v25, v208, v70
	v_dot4c_i32_i8_e32 v69, v117, v11
	v_fma_f32 v70, v130, v66, 0
	v_mul_lo_u32 v66, v68, v222
	s_nop 0
	v_mad_u64_u32 v[66:67], s[20:21], v69, v221, v[66:67]
	v_cvt_f32_i32_e32 v66, v66
	v_fmac_f32_e32 v70, v131, v66
	v_mov_b32_e32 v66, 0
	v_dot4c_i32_i8_e32 v66, v118, v12
	v_mov_b32_e32 v12, 0
	v_dot4c_i32_i8_e32 v12, v124, v8
	;; [unrolled: 2-line block ×3, first 2 shown]
	v_dot4c_i32_i8_e32 v8, v113, v5
	v_mov_b32_e32 v5, 0
	v_dot4c_i32_i8_e32 v5, v102, v0
	v_dot4c_i32_i8_e32 v8, v110, v6
	v_dot4c_i32_i8_e32 v5, v103, v1
	v_dot4c_i32_i8_e32 v8, v111, v7
	v_dot4c_i32_i8_e32 v5, v98, v2
	v_dot4c_i32_i8_e32 v5, v99, v3
	v_dot4c_i32_i8_e32 v66, v119, v13
	v_mul_lo_u32 v4, v8, v223
	v_dot4c_i32_i8_e32 v66, v114, v14
	v_mad_u64_u32 v[0:1], s[20:21], v5, v224, v[4:5]
	v_cvt_f32_i32_e32 v0, v0
	v_dot4c_i32_i8_e32 v12, v125, v9
	v_dot4c_i32_i8_e32 v66, v115, v15
	;; [unrolled: 1-line block ×4, first 2 shown]
	v_fma_f32 v2, v130, v0, 0
	v_mul_lo_u32 v0, v66, v226
	v_fmac_f32_e32 v23, v209, v70
	v_mad_u64_u32 v[0:1], s[20:21], v12, v225, v[0:1]
	v_cvt_f32_i32_e32 v0, v0
	s_mov_b32 s21, 8
	v_fmac_f32_e32 v2, v131, v0
	v_fmac_f32_e32 v17, v210, v2
	s_cbranch_vccnz .LBB155_6
; %bb.7:                                ;   in Loop: Header=BB155_5 Depth=1
	v_add_u32_e32 v14, s19, v193
	v_add_u32_e32 v0, v14, v168
	;; [unrolled: 1-line block ×6, first 2 shown]
	v_mad_i64_i32 v[0:1], s[0:1], v0, 36, v[62:63]
	v_mad_i64_i32 v[2:3], s[0:1], v2, 36, v[62:63]
	;; [unrolled: 1-line block ×4, first 2 shown]
	v_add_u32_e32 v8, v14, v180
	v_add_u32_e32 v10, v14, v183
	;; [unrolled: 1-line block ×4, first 2 shown]
	v_mad_u64_u32 v[66:67], s[0:1], v66, 36, s[2:3]
	s_barrier
	v_mad_i64_i32 v[8:9], s[0:1], v8, 36, v[62:63]
	v_mad_i64_i32 v[10:11], s[0:1], v10, 36, v[62:63]
	;; [unrolled: 1-line block ×4, first 2 shown]
	global_load_dword v66, v[66:67], off
	s_nop 0
	global_load_dword v0, v[0:1], off offset:4
	s_nop 0
	global_load_dword v1, v[2:3], off offset:4
	;; [unrolled: 2-line block ×3, first 2 shown]
	global_load_dword v3, v[6:7], off offset:4
	s_nop 0
	global_load_dword v4, v[8:9], off offset:4
	global_load_dword v5, v[10:11], off offset:4
	;; [unrolled: 1-line block ×4, first 2 shown]
	s_mov_b32 s0, 16
	s_waitcnt vmcnt(8)
	v_cvt_f32_f16_e32 v8, v66
	s_waitcnt vmcnt(7)
	ds_write_b32 v170, v0
	s_waitcnt vmcnt(6)
	ds_write_b32 v173, v1
	s_waitcnt vmcnt(5)
	ds_write_b32 v176, v2
	s_waitcnt vmcnt(4)
	ds_write_b32 v179, v3
	s_waitcnt vmcnt(3)
	ds_write_b32 v182, v4
	s_waitcnt vmcnt(2)
	ds_write_b32 v185, v5
	s_waitcnt vmcnt(1)
	ds_write_b32 v188, v6
	s_waitcnt vmcnt(0)
	ds_write_b32 v191, v7
	ds_write_b32 v166, v8
	s_waitcnt lgkmcnt(0)
	s_barrier
	ds_read_b32 v206, v192
	ds_read_b32 v207, v194 offset:128
	ds_read_b32 v208, v195 offset:256
	;; [unrolled: 1-line block ×3, first 2 shown]
.LBB155_8:                              ;   Parent Loop BB155_5 Depth=1
                                        ; =>  This Inner Loop Header: Depth=2
	s_lshl_b32 s1, s0, 1
	s_and_b32 s1, s1, 16
	v_or_b32_e32 v0, s1, v160
	v_lshlrev_b32_e32 v12, 2, v0
	s_lshr_b32 s19, s0, 1
	s_lshl_b32 s20, s0, 3
	v_lshrrev_b32_e32 v66, 1, v0
	ds_read_b128 v[0:3], v12 offset:33280
	ds_read_b128 v[4:7], v12 offset:33296
	;; [unrolled: 1-line block ×4, first 2 shown]
	ds_read_b64 v[130:131], v66 offset:43584
	v_add_u32_e32 v74, s19, v197
	v_add_u32_e32 v75, s20, v198
	ds_read2_b32 v[70:71], v75 offset0:6 offset1:7
	ds_read2_b32 v[72:73], v75 offset0:4 offset1:5
	;; [unrolled: 1-line block ×3, first 2 shown]
	ds_read2_b32 v[68:69], v75 offset1:1
	ds_read_b32 v76, v74
	ds_read2_b32 v[126:127], v75 offset0:14 offset1:15
	ds_read2_b32 v[128:129], v75 offset0:12 offset1:13
	v_mov_b32_e32 v74, 0
	ds_read2_b32 v[82:83], v75 offset0:10 offset1:11
	ds_read2_b32 v[84:85], v75 offset0:8 offset1:9
	s_waitcnt lgkmcnt(7)
	v_dot4c_i32_i8_e32 v74, v72, v4
	v_mov_b32_e32 v75, 0
	v_dot4c_i32_i8_e32 v74, v73, v5
	s_waitcnt lgkmcnt(5)
	v_dot4c_i32_i8_e32 v75, v68, v0
	v_dot4c_i32_i8_e32 v74, v70, v6
	;; [unrolled: 1-line block ×4, first 2 shown]
	s_waitcnt lgkmcnt(4)
	v_bfe_i32 v210, v76, 8, 8
	v_dot4c_i32_i8_e32 v75, v66, v2
	v_dot4c_i32_i8_e32 v75, v67, v3
	v_mul_lo_u32 v74, v74, v210
	v_bfe_i32 v211, v76, 0, 8
	v_mov_b32_e32 v77, 0
	v_mad_u64_u32 v[74:75], s[22:23], v75, v211, v[74:75]
	s_waitcnt lgkmcnt(2)
	v_dot4c_i32_i8_e32 v77, v128, v12
	v_mov_b32_e32 v78, 0
	v_cvt_f32_i32_e32 v74, v74
	v_dot4c_i32_i8_e32 v77, v129, v13
	s_waitcnt lgkmcnt(0)
	v_dot4c_i32_i8_e32 v78, v84, v8
	v_dot4c_i32_i8_e32 v77, v126, v14
	;; [unrolled: 1-line block ×5, first 2 shown]
	v_ashrrev_i32_e32 v213, 24, v76
	v_dot4c_i32_i8_e32 v78, v83, v11
	v_fma_f32 v79, v130, v74, 0
	v_bfe_i32 v212, v76, 16, 8
	v_mul_lo_u32 v74, v77, v213
	v_mad_u64_u32 v[74:75], s[22:23], v78, v212, v[74:75]
	v_cvt_f32_i32_e32 v74, v74
	v_add_u32_e32 v86, s19, v199
	v_add_u32_e32 v90, s20, v200
	v_mov_b32_e32 v91, 0
	v_fmac_f32_e32 v79, v131, v74
	v_fmac_f32_e32 v169, v206, v79
	ds_read2_b32 v[78:79], v90 offset0:6 offset1:7
	ds_read2_b32 v[80:81], v90 offset0:4 offset1:5
	;; [unrolled: 1-line block ×3, first 2 shown]
	ds_read2_b32 v[76:77], v90 offset1:1
	ds_read_b32 v92, v86
	ds_read2_b32 v[86:87], v90 offset0:14 offset1:15
	ds_read2_b32 v[88:89], v90 offset0:12 offset1:13
	ds_read2_b32 v[100:101], v90 offset0:10 offset1:11
	ds_read2_b32 v[104:105], v90 offset0:8 offset1:9
	v_mov_b32_e32 v90, 0
	s_waitcnt lgkmcnt(7)
	v_dot4c_i32_i8_e32 v90, v80, v4
	v_dot4c_i32_i8_e32 v90, v81, v5
	s_waitcnt lgkmcnt(5)
	v_dot4c_i32_i8_e32 v91, v76, v0
	v_dot4c_i32_i8_e32 v90, v78, v6
	;; [unrolled: 1-line block ×4, first 2 shown]
	s_waitcnt lgkmcnt(4)
	v_bfe_i32 v214, v92, 8, 8
	v_dot4c_i32_i8_e32 v91, v74, v2
	v_dot4c_i32_i8_e32 v91, v75, v3
	v_mul_lo_u32 v90, v90, v214
	v_bfe_i32 v215, v92, 0, 8
	v_mov_b32_e32 v93, 0
	v_mad_u64_u32 v[90:91], s[22:23], v91, v215, v[90:91]
	s_waitcnt lgkmcnt(2)
	v_dot4c_i32_i8_e32 v93, v88, v12
	v_mov_b32_e32 v94, 0
	v_cvt_f32_i32_e32 v90, v90
	v_dot4c_i32_i8_e32 v93, v89, v13
	s_waitcnt lgkmcnt(0)
	v_dot4c_i32_i8_e32 v94, v104, v8
	v_dot4c_i32_i8_e32 v93, v86, v14
	;; [unrolled: 1-line block ×5, first 2 shown]
	v_ashrrev_i32_e32 v217, 24, v92
	v_dot4c_i32_i8_e32 v94, v101, v11
	v_fma_f32 v95, v130, v90, 0
	v_bfe_i32 v216, v92, 16, 8
	v_mul_lo_u32 v90, v93, v217
	v_mad_u64_u32 v[90:91], s[22:23], v94, v216, v[90:91]
	v_cvt_f32_i32_e32 v90, v90
	v_add_u32_e32 v98, s19, v201
	v_add_u32_e32 v99, s20, v202
	v_mov_b32_e32 v103, 0
	v_fmac_f32_e32 v95, v131, v90
	v_fmac_f32_e32 v164, v207, v95
	ds_read2_b32 v[94:95], v99 offset0:6 offset1:7
	ds_read2_b32 v[96:97], v99 offset0:4 offset1:5
	;; [unrolled: 1-line block ×3, first 2 shown]
	ds_read2_b32 v[92:93], v99 offset1:1
	ds_read_b32 v102, v98
	ds_read2_b32 v[106:107], v99 offset0:14 offset1:15
	ds_read2_b32 v[108:109], v99 offset0:12 offset1:13
	v_mov_b32_e32 v98, 0
	ds_read2_b32 v[116:117], v99 offset0:10 offset1:11
	ds_read2_b32 v[120:121], v99 offset0:8 offset1:9
	s_waitcnt lgkmcnt(7)
	v_dot4c_i32_i8_e32 v98, v96, v4
	v_mov_b32_e32 v99, 0
	v_dot4c_i32_i8_e32 v98, v97, v5
	s_waitcnt lgkmcnt(5)
	v_dot4c_i32_i8_e32 v99, v92, v0
	v_dot4c_i32_i8_e32 v98, v94, v6
	;; [unrolled: 1-line block ×4, first 2 shown]
	s_waitcnt lgkmcnt(4)
	v_bfe_i32 v218, v102, 8, 8
	v_dot4c_i32_i8_e32 v99, v90, v2
	v_dot4c_i32_i8_e32 v99, v91, v3
	v_mul_lo_u32 v98, v98, v218
	v_bfe_i32 v219, v102, 0, 8
	s_waitcnt lgkmcnt(2)
	v_dot4c_i32_i8_e32 v103, v108, v12
	v_mad_u64_u32 v[98:99], s[22:23], v99, v219, v[98:99]
	v_mov_b32_e32 v110, 0
	v_cvt_f32_i32_e32 v98, v98
	v_dot4c_i32_i8_e32 v103, v109, v13
	s_waitcnt lgkmcnt(0)
	v_dot4c_i32_i8_e32 v110, v120, v8
	v_dot4c_i32_i8_e32 v103, v106, v14
	;; [unrolled: 1-line block ×5, first 2 shown]
	v_ashrrev_i32_e32 v221, 24, v102
	v_dot4c_i32_i8_e32 v110, v117, v11
	v_fma_f32 v111, v130, v98, 0
	v_bfe_i32 v220, v102, 16, 8
	v_mul_lo_u32 v98, v103, v221
	v_mad_u64_u32 v[98:99], s[22:23], v110, v220, v[98:99]
	v_cvt_f32_i32_e32 v98, v98
	v_add_u32_e32 v114, s19, v203
	v_add_u32_e32 v124, s20, v204
	v_mov_b32_e32 v226, 0
	v_fmac_f32_e32 v111, v131, v98
	v_fmac_f32_e32 v162, v208, v111
	ds_read2_b32 v[110:111], v124 offset0:6 offset1:7
	ds_read2_b32 v[112:113], v124 offset0:4 offset1:5
	;; [unrolled: 1-line block ×3, first 2 shown]
	ds_read2_b32 v[102:103], v124 offset1:1
	ds_read_b32 v225, v114
	ds_read2_b32 v[114:115], v124 offset0:14 offset1:15
	ds_read2_b32 v[118:119], v124 offset0:12 offset1:13
	;; [unrolled: 1-line block ×4, first 2 shown]
	v_mov_b32_e32 v227, 0
	s_waitcnt lgkmcnt(4)
	v_bfe_i32 v222, v225, 8, 8
	v_bfe_i32 v223, v225, 0, 8
	s_waitcnt lgkmcnt(2)
	v_dot4c_i32_i8_e32 v226, v118, v12
	v_mov_b32_e32 v12, 0
	s_waitcnt lgkmcnt(0)
	v_dot4c_i32_i8_e32 v12, v124, v8
	v_mov_b32_e32 v8, 0
	v_dot4c_i32_i8_e32 v8, v112, v4
	v_dot4c_i32_i8_e32 v8, v113, v5
	v_mov_b32_e32 v5, 0
	v_dot4c_i32_i8_e32 v5, v102, v0
	v_dot4c_i32_i8_e32 v8, v110, v6
	;; [unrolled: 1-line block ×7, first 2 shown]
	v_mul_lo_u32 v4, v8, v222
	v_dot4c_i32_i8_e32 v226, v114, v14
	v_mad_u64_u32 v[0:1], s[20:21], v5, v223, v[4:5]
	v_cvt_f32_i32_e32 v0, v0
	v_dot4c_i32_i8_e32 v12, v125, v9
	v_dot4c_i32_i8_e32 v226, v115, v15
	;; [unrolled: 1-line block ×3, first 2 shown]
	v_bfe_i32 v224, v225, 16, 8
	v_ashrrev_i32_e32 v225, 24, v225
	v_dot4c_i32_i8_e32 v12, v123, v11
	v_fma_f32 v2, v130, v0, 0
	v_mul_lo_u32 v0, v226, v225
	v_mov_b32_e32 v226, 0
	v_mad_u64_u32 v[0:1], s[20:21], v12, v224, v[0:1]
	v_cvt_f32_i32_e32 v0, v0
	v_mov_b32_e32 v228, 0
	v_mov_b32_e32 v229, 0
	v_fmac_f32_e32 v2, v131, v0
	v_or_b32_e32 v0, s1, v172
	v_lshlrev_b32_e32 v12, 2, v0
	v_lshrrev_b32_e32 v130, 1, v0
	v_fmac_f32_e32 v156, v209, v2
	ds_read_b128 v[0:3], v12 offset:33280
	ds_read_b128 v[4:7], v12 offset:33296
	;; [unrolled: 1-line block ×4, first 2 shown]
	ds_read_b64 v[130:131], v130 offset:43584
	s_waitcnt lgkmcnt(4)
	v_dot4c_i32_i8_e32 v227, v68, v0
	s_waitcnt lgkmcnt(3)
	v_dot4c_i32_i8_e32 v226, v72, v4
	v_dot4c_i32_i8_e32 v226, v73, v5
	;; [unrolled: 1-line block ×7, first 2 shown]
	s_waitcnt lgkmcnt(1)
	v_dot4c_i32_i8_e32 v228, v128, v12
	v_mul_lo_u32 v226, v226, v210
	v_dot4c_i32_i8_e32 v228, v129, v13
	v_mad_u64_u32 v[226:227], s[20:21], v227, v211, v[226:227]
	v_cvt_f32_i32_e32 v226, v226
	v_dot4c_i32_i8_e32 v229, v84, v8
	v_dot4c_i32_i8_e32 v228, v126, v14
	;; [unrolled: 1-line block ×6, first 2 shown]
	s_waitcnt lgkmcnt(0)
	v_fma_f32 v230, v130, v226, 0
	v_mul_lo_u32 v226, v228, v213
	v_mov_b32_e32 v228, 0
	v_mad_u64_u32 v[226:227], s[20:21], v229, v212, v[226:227]
	v_cvt_f32_i32_e32 v226, v226
	v_mov_b32_e32 v227, 0
	v_dot4c_i32_i8_e32 v227, v76, v0
	v_dot4c_i32_i8_e32 v227, v77, v1
	v_fmac_f32_e32 v230, v131, v226
	v_mov_b32_e32 v226, 0
	v_dot4c_i32_i8_e32 v226, v80, v4
	v_dot4c_i32_i8_e32 v226, v81, v5
	;; [unrolled: 1-line block ×7, first 2 shown]
	v_mul_lo_u32 v226, v226, v214
	v_mov_b32_e32 v229, 0
	v_mad_u64_u32 v[226:227], s[20:21], v227, v215, v[226:227]
	v_cvt_f32_i32_e32 v226, v226
	v_dot4c_i32_i8_e32 v228, v89, v13
	v_dot4c_i32_i8_e32 v229, v104, v8
	;; [unrolled: 1-line block ×6, first 2 shown]
	v_fmac_f32_e32 v146, v206, v230
	v_dot4c_i32_i8_e32 v229, v101, v11
	v_fma_f32 v230, v130, v226, 0
	v_mul_lo_u32 v226, v228, v217
	v_mov_b32_e32 v228, 0
	v_mad_u64_u32 v[226:227], s[20:21], v229, v216, v[226:227]
	v_cvt_f32_i32_e32 v226, v226
	v_mov_b32_e32 v227, 0
	v_dot4c_i32_i8_e32 v227, v92, v0
	v_dot4c_i32_i8_e32 v227, v93, v1
	v_fmac_f32_e32 v230, v131, v226
	v_mov_b32_e32 v226, 0
	v_dot4c_i32_i8_e32 v226, v96, v4
	v_dot4c_i32_i8_e32 v226, v97, v5
	;; [unrolled: 1-line block ×7, first 2 shown]
	v_mul_lo_u32 v226, v226, v218
	v_mov_b32_e32 v229, 0
	v_mad_u64_u32 v[226:227], s[20:21], v227, v219, v[226:227]
	v_cvt_f32_i32_e32 v226, v226
	v_dot4c_i32_i8_e32 v228, v109, v13
	v_dot4c_i32_i8_e32 v229, v120, v8
	;; [unrolled: 1-line block ×6, first 2 shown]
	v_fmac_f32_e32 v140, v207, v230
	v_dot4c_i32_i8_e32 v229, v117, v11
	v_fma_f32 v230, v130, v226, 0
	v_mul_lo_u32 v226, v228, v221
	v_mov_b32_e32 v228, 0
	v_mad_u64_u32 v[226:227], s[20:21], v229, v220, v[226:227]
	v_cvt_f32_i32_e32 v226, v226
	v_mov_b32_e32 v227, 0
	v_mov_b32_e32 v229, 0
	v_fmac_f32_e32 v230, v131, v226
	v_mov_b32_e32 v226, 0
	v_dot4c_i32_i8_e32 v226, v118, v12
	v_mov_b32_e32 v12, 0
	v_dot4c_i32_i8_e32 v12, v124, v8
	;; [unrolled: 2-line block ×3, first 2 shown]
	v_dot4c_i32_i8_e32 v8, v113, v5
	v_mov_b32_e32 v5, 0
	v_dot4c_i32_i8_e32 v5, v102, v0
	v_dot4c_i32_i8_e32 v8, v110, v6
	;; [unrolled: 1-line block ×7, first 2 shown]
	v_mul_lo_u32 v4, v8, v222
	v_dot4c_i32_i8_e32 v226, v114, v14
	v_mad_u64_u32 v[0:1], s[20:21], v5, v223, v[4:5]
	v_cvt_f32_i32_e32 v0, v0
	v_dot4c_i32_i8_e32 v12, v125, v9
	v_dot4c_i32_i8_e32 v226, v115, v15
	;; [unrolled: 1-line block ×4, first 2 shown]
	v_fma_f32 v2, v130, v0, 0
	v_mul_lo_u32 v0, v226, v225
	v_mov_b32_e32 v226, 0
	v_mad_u64_u32 v[0:1], s[20:21], v12, v224, v[0:1]
	v_cvt_f32_i32_e32 v0, v0
	v_fmac_f32_e32 v139, v208, v230
	v_fmac_f32_e32 v2, v131, v0
	v_or_b32_e32 v0, s1, v175
	v_lshlrev_b32_e32 v12, 2, v0
	v_lshrrev_b32_e32 v130, 1, v0
	v_fmac_f32_e32 v138, v209, v2
	ds_read_b128 v[0:3], v12 offset:33280
	ds_read_b128 v[4:7], v12 offset:33296
	;; [unrolled: 1-line block ×4, first 2 shown]
	ds_read_b64 v[130:131], v130 offset:43584
	s_waitcnt lgkmcnt(4)
	v_dot4c_i32_i8_e32 v227, v68, v0
	s_waitcnt lgkmcnt(3)
	v_dot4c_i32_i8_e32 v226, v72, v4
	v_dot4c_i32_i8_e32 v226, v73, v5
	;; [unrolled: 1-line block ×7, first 2 shown]
	s_waitcnt lgkmcnt(1)
	v_dot4c_i32_i8_e32 v228, v128, v12
	v_mul_lo_u32 v226, v226, v210
	v_dot4c_i32_i8_e32 v228, v129, v13
	v_mad_u64_u32 v[226:227], s[20:21], v227, v211, v[226:227]
	v_cvt_f32_i32_e32 v226, v226
	v_dot4c_i32_i8_e32 v229, v84, v8
	v_dot4c_i32_i8_e32 v228, v126, v14
	;; [unrolled: 1-line block ×6, first 2 shown]
	s_waitcnt lgkmcnt(0)
	v_fma_f32 v230, v130, v226, 0
	v_mul_lo_u32 v226, v228, v213
	v_mov_b32_e32 v228, 0
	v_mad_u64_u32 v[226:227], s[20:21], v229, v212, v[226:227]
	v_cvt_f32_i32_e32 v226, v226
	v_mov_b32_e32 v227, 0
	v_dot4c_i32_i8_e32 v227, v76, v0
	v_dot4c_i32_i8_e32 v227, v77, v1
	v_fmac_f32_e32 v230, v131, v226
	v_mov_b32_e32 v226, 0
	v_dot4c_i32_i8_e32 v226, v80, v4
	v_dot4c_i32_i8_e32 v226, v81, v5
	;; [unrolled: 1-line block ×7, first 2 shown]
	v_mul_lo_u32 v226, v226, v214
	v_mov_b32_e32 v229, 0
	v_mad_u64_u32 v[226:227], s[20:21], v227, v215, v[226:227]
	v_cvt_f32_i32_e32 v226, v226
	v_dot4c_i32_i8_e32 v228, v89, v13
	v_dot4c_i32_i8_e32 v229, v104, v8
	;; [unrolled: 1-line block ×6, first 2 shown]
	v_fmac_f32_e32 v136, v206, v230
	v_dot4c_i32_i8_e32 v229, v101, v11
	v_fma_f32 v230, v130, v226, 0
	v_mul_lo_u32 v226, v228, v217
	v_mov_b32_e32 v228, 0
	v_mad_u64_u32 v[226:227], s[20:21], v229, v216, v[226:227]
	v_cvt_f32_i32_e32 v226, v226
	v_mov_b32_e32 v227, 0
	v_dot4c_i32_i8_e32 v227, v92, v0
	v_dot4c_i32_i8_e32 v227, v93, v1
	v_fmac_f32_e32 v230, v131, v226
	v_mov_b32_e32 v226, 0
	v_dot4c_i32_i8_e32 v226, v96, v4
	v_dot4c_i32_i8_e32 v226, v97, v5
	;; [unrolled: 1-line block ×7, first 2 shown]
	v_mul_lo_u32 v226, v226, v218
	v_mov_b32_e32 v229, 0
	v_mad_u64_u32 v[226:227], s[20:21], v227, v219, v[226:227]
	v_cvt_f32_i32_e32 v226, v226
	v_dot4c_i32_i8_e32 v228, v109, v13
	v_dot4c_i32_i8_e32 v229, v120, v8
	;; [unrolled: 1-line block ×6, first 2 shown]
	v_fmac_f32_e32 v135, v207, v230
	v_dot4c_i32_i8_e32 v229, v117, v11
	v_fma_f32 v230, v130, v226, 0
	v_mul_lo_u32 v226, v228, v221
	v_mov_b32_e32 v228, 0
	v_mad_u64_u32 v[226:227], s[20:21], v229, v220, v[226:227]
	v_cvt_f32_i32_e32 v226, v226
	v_mov_b32_e32 v227, 0
	v_mov_b32_e32 v229, 0
	v_fmac_f32_e32 v230, v131, v226
	v_mov_b32_e32 v226, 0
	v_dot4c_i32_i8_e32 v226, v118, v12
	v_mov_b32_e32 v12, 0
	v_dot4c_i32_i8_e32 v12, v124, v8
	;; [unrolled: 2-line block ×3, first 2 shown]
	v_dot4c_i32_i8_e32 v8, v113, v5
	v_mov_b32_e32 v5, 0
	v_dot4c_i32_i8_e32 v5, v102, v0
	v_dot4c_i32_i8_e32 v8, v110, v6
	;; [unrolled: 1-line block ×7, first 2 shown]
	v_mul_lo_u32 v4, v8, v222
	v_dot4c_i32_i8_e32 v226, v114, v14
	v_mad_u64_u32 v[0:1], s[20:21], v5, v223, v[4:5]
	v_cvt_f32_i32_e32 v0, v0
	v_dot4c_i32_i8_e32 v12, v125, v9
	v_dot4c_i32_i8_e32 v226, v115, v15
	;; [unrolled: 1-line block ×4, first 2 shown]
	v_fma_f32 v2, v130, v0, 0
	v_mul_lo_u32 v0, v226, v225
	v_mov_b32_e32 v226, 0
	v_mad_u64_u32 v[0:1], s[20:21], v12, v224, v[0:1]
	v_cvt_f32_i32_e32 v0, v0
	v_fmac_f32_e32 v134, v208, v230
	v_fmac_f32_e32 v2, v131, v0
	v_or_b32_e32 v0, s1, v178
	v_lshlrev_b32_e32 v12, 2, v0
	v_lshrrev_b32_e32 v130, 1, v0
	v_fmac_f32_e32 v133, v209, v2
	ds_read_b128 v[0:3], v12 offset:33280
	ds_read_b128 v[4:7], v12 offset:33296
	;; [unrolled: 1-line block ×4, first 2 shown]
	ds_read_b64 v[130:131], v130 offset:43584
	s_waitcnt lgkmcnt(4)
	v_dot4c_i32_i8_e32 v227, v68, v0
	s_waitcnt lgkmcnt(3)
	v_dot4c_i32_i8_e32 v226, v72, v4
	v_dot4c_i32_i8_e32 v226, v73, v5
	;; [unrolled: 1-line block ×7, first 2 shown]
	s_waitcnt lgkmcnt(1)
	v_dot4c_i32_i8_e32 v228, v128, v12
	v_mul_lo_u32 v226, v226, v210
	v_dot4c_i32_i8_e32 v228, v129, v13
	v_mad_u64_u32 v[226:227], s[20:21], v227, v211, v[226:227]
	v_cvt_f32_i32_e32 v226, v226
	v_dot4c_i32_i8_e32 v229, v84, v8
	v_dot4c_i32_i8_e32 v228, v126, v14
	;; [unrolled: 1-line block ×6, first 2 shown]
	s_waitcnt lgkmcnt(0)
	v_fma_f32 v230, v130, v226, 0
	v_mul_lo_u32 v226, v228, v213
	v_mov_b32_e32 v228, 0
	v_mad_u64_u32 v[226:227], s[20:21], v229, v212, v[226:227]
	v_cvt_f32_i32_e32 v226, v226
	v_mov_b32_e32 v227, 0
	v_dot4c_i32_i8_e32 v227, v76, v0
	v_dot4c_i32_i8_e32 v227, v77, v1
	v_fmac_f32_e32 v230, v131, v226
	v_mov_b32_e32 v226, 0
	v_dot4c_i32_i8_e32 v226, v80, v4
	v_dot4c_i32_i8_e32 v226, v81, v5
	;; [unrolled: 1-line block ×7, first 2 shown]
	v_mul_lo_u32 v226, v226, v214
	v_mov_b32_e32 v229, 0
	v_mad_u64_u32 v[226:227], s[20:21], v227, v215, v[226:227]
	v_cvt_f32_i32_e32 v226, v226
	v_dot4c_i32_i8_e32 v228, v89, v13
	v_dot4c_i32_i8_e32 v229, v104, v8
	;; [unrolled: 1-line block ×6, first 2 shown]
	v_fmac_f32_e32 v65, v206, v230
	v_dot4c_i32_i8_e32 v229, v101, v11
	v_fma_f32 v230, v130, v226, 0
	v_mul_lo_u32 v226, v228, v217
	v_mov_b32_e32 v228, 0
	v_mad_u64_u32 v[226:227], s[20:21], v229, v216, v[226:227]
	v_cvt_f32_i32_e32 v226, v226
	v_mov_b32_e32 v227, 0
	v_dot4c_i32_i8_e32 v227, v92, v0
	v_dot4c_i32_i8_e32 v227, v93, v1
	v_fmac_f32_e32 v230, v131, v226
	v_mov_b32_e32 v226, 0
	v_dot4c_i32_i8_e32 v226, v96, v4
	v_dot4c_i32_i8_e32 v226, v97, v5
	;; [unrolled: 1-line block ×7, first 2 shown]
	v_mul_lo_u32 v226, v226, v218
	v_mov_b32_e32 v229, 0
	v_mad_u64_u32 v[226:227], s[20:21], v227, v219, v[226:227]
	v_cvt_f32_i32_e32 v226, v226
	v_dot4c_i32_i8_e32 v228, v109, v13
	v_dot4c_i32_i8_e32 v229, v120, v8
	;; [unrolled: 1-line block ×6, first 2 shown]
	v_fmac_f32_e32 v59, v207, v230
	v_dot4c_i32_i8_e32 v229, v117, v11
	v_fma_f32 v230, v130, v226, 0
	v_mul_lo_u32 v226, v228, v221
	v_mov_b32_e32 v228, 0
	v_mad_u64_u32 v[226:227], s[20:21], v229, v220, v[226:227]
	v_cvt_f32_i32_e32 v226, v226
	v_mov_b32_e32 v227, 0
	v_mov_b32_e32 v229, 0
	v_fmac_f32_e32 v230, v131, v226
	v_mov_b32_e32 v226, 0
	v_dot4c_i32_i8_e32 v226, v118, v12
	v_mov_b32_e32 v12, 0
	v_dot4c_i32_i8_e32 v12, v124, v8
	;; [unrolled: 2-line block ×3, first 2 shown]
	v_dot4c_i32_i8_e32 v8, v113, v5
	v_mov_b32_e32 v5, 0
	v_dot4c_i32_i8_e32 v5, v102, v0
	v_dot4c_i32_i8_e32 v8, v110, v6
	;; [unrolled: 1-line block ×7, first 2 shown]
	v_mul_lo_u32 v4, v8, v222
	v_dot4c_i32_i8_e32 v226, v114, v14
	v_mad_u64_u32 v[0:1], s[20:21], v5, v223, v[4:5]
	v_cvt_f32_i32_e32 v0, v0
	v_dot4c_i32_i8_e32 v12, v125, v9
	v_dot4c_i32_i8_e32 v226, v115, v15
	;; [unrolled: 1-line block ×4, first 2 shown]
	v_fma_f32 v2, v130, v0, 0
	v_mul_lo_u32 v0, v226, v225
	v_mov_b32_e32 v226, 0
	v_mad_u64_u32 v[0:1], s[20:21], v12, v224, v[0:1]
	v_cvt_f32_i32_e32 v0, v0
	v_fmac_f32_e32 v55, v208, v230
	v_fmac_f32_e32 v2, v131, v0
	v_or_b32_e32 v0, s1, v181
	v_lshlrev_b32_e32 v12, 2, v0
	v_lshrrev_b32_e32 v130, 1, v0
	v_fmac_f32_e32 v53, v209, v2
	ds_read_b128 v[0:3], v12 offset:33280
	ds_read_b128 v[4:7], v12 offset:33296
	ds_read_b128 v[8:11], v12 offset:33312
	ds_read_b128 v[12:15], v12 offset:33328
	ds_read_b64 v[130:131], v130 offset:43584
	s_waitcnt lgkmcnt(4)
	v_dot4c_i32_i8_e32 v227, v68, v0
	s_waitcnt lgkmcnt(3)
	v_dot4c_i32_i8_e32 v226, v72, v4
	v_dot4c_i32_i8_e32 v226, v73, v5
	;; [unrolled: 1-line block ×7, first 2 shown]
	s_waitcnt lgkmcnt(1)
	v_dot4c_i32_i8_e32 v228, v128, v12
	v_mul_lo_u32 v226, v226, v210
	v_dot4c_i32_i8_e32 v228, v129, v13
	v_mad_u64_u32 v[226:227], s[20:21], v227, v211, v[226:227]
	v_cvt_f32_i32_e32 v226, v226
	v_dot4c_i32_i8_e32 v229, v84, v8
	v_dot4c_i32_i8_e32 v228, v126, v14
	;; [unrolled: 1-line block ×6, first 2 shown]
	s_waitcnt lgkmcnt(0)
	v_fma_f32 v230, v130, v226, 0
	v_mul_lo_u32 v226, v228, v213
	v_mov_b32_e32 v228, 0
	v_mad_u64_u32 v[226:227], s[20:21], v229, v212, v[226:227]
	v_cvt_f32_i32_e32 v226, v226
	v_mov_b32_e32 v227, 0
	v_dot4c_i32_i8_e32 v227, v76, v0
	v_dot4c_i32_i8_e32 v227, v77, v1
	v_fmac_f32_e32 v230, v131, v226
	v_mov_b32_e32 v226, 0
	v_dot4c_i32_i8_e32 v226, v80, v4
	v_dot4c_i32_i8_e32 v226, v81, v5
	;; [unrolled: 1-line block ×7, first 2 shown]
	v_mul_lo_u32 v226, v226, v214
	v_mov_b32_e32 v229, 0
	v_mad_u64_u32 v[226:227], s[20:21], v227, v215, v[226:227]
	v_cvt_f32_i32_e32 v226, v226
	v_dot4c_i32_i8_e32 v228, v89, v13
	v_dot4c_i32_i8_e32 v229, v104, v8
	;; [unrolled: 1-line block ×6, first 2 shown]
	v_fmac_f32_e32 v51, v206, v230
	v_dot4c_i32_i8_e32 v229, v101, v11
	v_fma_f32 v230, v130, v226, 0
	v_mul_lo_u32 v226, v228, v217
	v_mov_b32_e32 v228, 0
	v_mad_u64_u32 v[226:227], s[20:21], v229, v216, v[226:227]
	v_cvt_f32_i32_e32 v226, v226
	v_mov_b32_e32 v227, 0
	v_dot4c_i32_i8_e32 v227, v92, v0
	v_dot4c_i32_i8_e32 v227, v93, v1
	v_fmac_f32_e32 v230, v131, v226
	v_mov_b32_e32 v226, 0
	v_dot4c_i32_i8_e32 v226, v96, v4
	v_dot4c_i32_i8_e32 v226, v97, v5
	;; [unrolled: 1-line block ×7, first 2 shown]
	v_mul_lo_u32 v226, v226, v218
	v_mov_b32_e32 v229, 0
	v_mad_u64_u32 v[226:227], s[20:21], v227, v219, v[226:227]
	v_cvt_f32_i32_e32 v226, v226
	v_dot4c_i32_i8_e32 v228, v109, v13
	v_dot4c_i32_i8_e32 v229, v120, v8
	;; [unrolled: 1-line block ×6, first 2 shown]
	v_fmac_f32_e32 v49, v207, v230
	v_dot4c_i32_i8_e32 v229, v117, v11
	v_fma_f32 v230, v130, v226, 0
	v_mul_lo_u32 v226, v228, v221
	v_mov_b32_e32 v228, 0
	v_mad_u64_u32 v[226:227], s[20:21], v229, v220, v[226:227]
	v_cvt_f32_i32_e32 v226, v226
	v_mov_b32_e32 v227, 0
	v_mov_b32_e32 v229, 0
	v_fmac_f32_e32 v230, v131, v226
	v_mov_b32_e32 v226, 0
	v_dot4c_i32_i8_e32 v226, v118, v12
	v_mov_b32_e32 v12, 0
	v_dot4c_i32_i8_e32 v12, v124, v8
	;; [unrolled: 2-line block ×3, first 2 shown]
	v_dot4c_i32_i8_e32 v8, v113, v5
	v_mov_b32_e32 v5, 0
	v_dot4c_i32_i8_e32 v5, v102, v0
	v_dot4c_i32_i8_e32 v8, v110, v6
	;; [unrolled: 1-line block ×7, first 2 shown]
	v_mul_lo_u32 v4, v8, v222
	v_dot4c_i32_i8_e32 v226, v114, v14
	v_mad_u64_u32 v[0:1], s[20:21], v5, v223, v[4:5]
	v_cvt_f32_i32_e32 v0, v0
	v_dot4c_i32_i8_e32 v12, v125, v9
	v_dot4c_i32_i8_e32 v226, v115, v15
	;; [unrolled: 1-line block ×4, first 2 shown]
	v_fma_f32 v2, v130, v0, 0
	v_mul_lo_u32 v0, v226, v225
	v_mov_b32_e32 v226, 0
	v_mad_u64_u32 v[0:1], s[20:21], v12, v224, v[0:1]
	v_cvt_f32_i32_e32 v0, v0
	v_fmac_f32_e32 v47, v208, v230
	v_fmac_f32_e32 v2, v131, v0
	v_or_b32_e32 v0, s1, v184
	v_lshlrev_b32_e32 v12, 2, v0
	v_lshrrev_b32_e32 v130, 1, v0
	v_fmac_f32_e32 v45, v209, v2
	ds_read_b128 v[0:3], v12 offset:33280
	ds_read_b128 v[4:7], v12 offset:33296
	ds_read_b128 v[8:11], v12 offset:33312
	ds_read_b128 v[12:15], v12 offset:33328
	ds_read_b64 v[130:131], v130 offset:43584
	s_waitcnt lgkmcnt(4)
	v_dot4c_i32_i8_e32 v227, v68, v0
	s_waitcnt lgkmcnt(3)
	v_dot4c_i32_i8_e32 v226, v72, v4
	v_dot4c_i32_i8_e32 v226, v73, v5
	;; [unrolled: 1-line block ×7, first 2 shown]
	s_waitcnt lgkmcnt(1)
	v_dot4c_i32_i8_e32 v228, v128, v12
	v_mul_lo_u32 v226, v226, v210
	v_dot4c_i32_i8_e32 v228, v129, v13
	v_mad_u64_u32 v[226:227], s[20:21], v227, v211, v[226:227]
	v_cvt_f32_i32_e32 v226, v226
	v_dot4c_i32_i8_e32 v229, v84, v8
	v_dot4c_i32_i8_e32 v228, v126, v14
	;; [unrolled: 1-line block ×6, first 2 shown]
	s_waitcnt lgkmcnt(0)
	v_fma_f32 v230, v130, v226, 0
	v_mul_lo_u32 v226, v228, v213
	v_mov_b32_e32 v228, 0
	v_mad_u64_u32 v[226:227], s[20:21], v229, v212, v[226:227]
	v_cvt_f32_i32_e32 v226, v226
	v_mov_b32_e32 v227, 0
	v_dot4c_i32_i8_e32 v227, v76, v0
	v_dot4c_i32_i8_e32 v227, v77, v1
	v_fmac_f32_e32 v230, v131, v226
	v_mov_b32_e32 v226, 0
	v_dot4c_i32_i8_e32 v226, v80, v4
	v_dot4c_i32_i8_e32 v226, v81, v5
	;; [unrolled: 1-line block ×7, first 2 shown]
	v_mul_lo_u32 v226, v226, v214
	v_mov_b32_e32 v229, 0
	v_mad_u64_u32 v[226:227], s[20:21], v227, v215, v[226:227]
	v_cvt_f32_i32_e32 v226, v226
	v_dot4c_i32_i8_e32 v228, v89, v13
	v_dot4c_i32_i8_e32 v229, v104, v8
	;; [unrolled: 1-line block ×6, first 2 shown]
	v_fmac_f32_e32 v43, v206, v230
	v_dot4c_i32_i8_e32 v229, v101, v11
	v_fma_f32 v230, v130, v226, 0
	v_mul_lo_u32 v226, v228, v217
	v_mov_b32_e32 v228, 0
	v_mad_u64_u32 v[226:227], s[20:21], v229, v216, v[226:227]
	v_cvt_f32_i32_e32 v226, v226
	v_mov_b32_e32 v227, 0
	v_dot4c_i32_i8_e32 v227, v92, v0
	v_dot4c_i32_i8_e32 v227, v93, v1
	v_fmac_f32_e32 v230, v131, v226
	v_mov_b32_e32 v226, 0
	v_dot4c_i32_i8_e32 v226, v96, v4
	v_dot4c_i32_i8_e32 v226, v97, v5
	;; [unrolled: 1-line block ×7, first 2 shown]
	v_mul_lo_u32 v226, v226, v218
	v_mov_b32_e32 v229, 0
	v_mad_u64_u32 v[226:227], s[20:21], v227, v219, v[226:227]
	v_cvt_f32_i32_e32 v226, v226
	v_dot4c_i32_i8_e32 v228, v109, v13
	v_dot4c_i32_i8_e32 v229, v120, v8
	;; [unrolled: 1-line block ×6, first 2 shown]
	v_fmac_f32_e32 v41, v207, v230
	v_dot4c_i32_i8_e32 v229, v117, v11
	v_fma_f32 v230, v130, v226, 0
	v_mul_lo_u32 v226, v228, v221
	v_mov_b32_e32 v228, 0
	v_mad_u64_u32 v[226:227], s[20:21], v229, v220, v[226:227]
	v_cvt_f32_i32_e32 v226, v226
	v_mov_b32_e32 v227, 0
	v_mov_b32_e32 v229, 0
	v_fmac_f32_e32 v230, v131, v226
	v_mov_b32_e32 v226, 0
	v_dot4c_i32_i8_e32 v226, v118, v12
	v_mov_b32_e32 v12, 0
	v_dot4c_i32_i8_e32 v12, v124, v8
	;; [unrolled: 2-line block ×3, first 2 shown]
	v_dot4c_i32_i8_e32 v8, v113, v5
	v_mov_b32_e32 v5, 0
	v_dot4c_i32_i8_e32 v5, v102, v0
	v_dot4c_i32_i8_e32 v8, v110, v6
	;; [unrolled: 1-line block ×7, first 2 shown]
	v_mul_lo_u32 v4, v8, v222
	v_dot4c_i32_i8_e32 v226, v114, v14
	v_mad_u64_u32 v[0:1], s[20:21], v5, v223, v[4:5]
	v_cvt_f32_i32_e32 v0, v0
	v_dot4c_i32_i8_e32 v12, v125, v9
	v_dot4c_i32_i8_e32 v226, v115, v15
	;; [unrolled: 1-line block ×4, first 2 shown]
	v_fma_f32 v2, v130, v0, 0
	v_mul_lo_u32 v0, v226, v225
	v_mov_b32_e32 v226, 0
	v_mad_u64_u32 v[0:1], s[20:21], v12, v224, v[0:1]
	v_cvt_f32_i32_e32 v0, v0
	v_fmac_f32_e32 v39, v208, v230
	v_fmac_f32_e32 v2, v131, v0
	v_or_b32_e32 v0, s1, v187
	v_lshlrev_b32_e32 v12, 2, v0
	v_lshrrev_b32_e32 v130, 1, v0
	v_fmac_f32_e32 v37, v209, v2
	ds_read_b128 v[0:3], v12 offset:33280
	ds_read_b128 v[4:7], v12 offset:33296
	;; [unrolled: 1-line block ×4, first 2 shown]
	ds_read_b64 v[130:131], v130 offset:43584
	s_waitcnt lgkmcnt(4)
	v_dot4c_i32_i8_e32 v227, v68, v0
	s_waitcnt lgkmcnt(3)
	v_dot4c_i32_i8_e32 v226, v72, v4
	v_dot4c_i32_i8_e32 v226, v73, v5
	;; [unrolled: 1-line block ×7, first 2 shown]
	s_waitcnt lgkmcnt(1)
	v_dot4c_i32_i8_e32 v228, v128, v12
	v_mul_lo_u32 v226, v226, v210
	v_dot4c_i32_i8_e32 v228, v129, v13
	v_mad_u64_u32 v[226:227], s[20:21], v227, v211, v[226:227]
	v_cvt_f32_i32_e32 v226, v226
	v_dot4c_i32_i8_e32 v229, v84, v8
	v_dot4c_i32_i8_e32 v228, v126, v14
	;; [unrolled: 1-line block ×6, first 2 shown]
	s_waitcnt lgkmcnt(0)
	v_fma_f32 v230, v130, v226, 0
	v_mul_lo_u32 v226, v228, v213
	v_mov_b32_e32 v228, 0
	v_mad_u64_u32 v[226:227], s[20:21], v229, v212, v[226:227]
	v_cvt_f32_i32_e32 v226, v226
	v_mov_b32_e32 v227, 0
	v_dot4c_i32_i8_e32 v227, v76, v0
	v_dot4c_i32_i8_e32 v227, v77, v1
	v_fmac_f32_e32 v230, v131, v226
	v_mov_b32_e32 v226, 0
	v_dot4c_i32_i8_e32 v226, v80, v4
	v_dot4c_i32_i8_e32 v226, v81, v5
	v_dot4c_i32_i8_e32 v226, v78, v6
	v_dot4c_i32_i8_e32 v226, v79, v7
	v_dot4c_i32_i8_e32 v227, v74, v2
	v_dot4c_i32_i8_e32 v227, v75, v3
	v_dot4c_i32_i8_e32 v228, v88, v12
	v_mul_lo_u32 v226, v226, v214
	v_mov_b32_e32 v229, 0
	v_mad_u64_u32 v[226:227], s[20:21], v227, v215, v[226:227]
	v_cvt_f32_i32_e32 v226, v226
	v_dot4c_i32_i8_e32 v228, v89, v13
	v_dot4c_i32_i8_e32 v229, v104, v8
	;; [unrolled: 1-line block ×6, first 2 shown]
	v_fmac_f32_e32 v35, v206, v230
	v_dot4c_i32_i8_e32 v229, v101, v11
	v_fma_f32 v230, v130, v226, 0
	v_mul_lo_u32 v226, v228, v217
	v_mov_b32_e32 v228, 0
	v_mad_u64_u32 v[226:227], s[20:21], v229, v216, v[226:227]
	v_cvt_f32_i32_e32 v226, v226
	v_mov_b32_e32 v227, 0
	v_dot4c_i32_i8_e32 v227, v92, v0
	v_dot4c_i32_i8_e32 v227, v93, v1
	v_fmac_f32_e32 v230, v131, v226
	v_mov_b32_e32 v226, 0
	v_dot4c_i32_i8_e32 v226, v96, v4
	v_dot4c_i32_i8_e32 v226, v97, v5
	;; [unrolled: 1-line block ×7, first 2 shown]
	v_mul_lo_u32 v226, v226, v218
	v_mov_b32_e32 v229, 0
	v_mad_u64_u32 v[226:227], s[20:21], v227, v219, v[226:227]
	v_cvt_f32_i32_e32 v226, v226
	v_dot4c_i32_i8_e32 v228, v109, v13
	v_dot4c_i32_i8_e32 v229, v120, v8
	;; [unrolled: 1-line block ×6, first 2 shown]
	v_fmac_f32_e32 v33, v207, v230
	v_dot4c_i32_i8_e32 v229, v117, v11
	v_fma_f32 v230, v130, v226, 0
	v_mul_lo_u32 v226, v228, v221
	s_nop 0
	v_mad_u64_u32 v[226:227], s[20:21], v229, v220, v[226:227]
	v_cvt_f32_i32_e32 v226, v226
	v_fmac_f32_e32 v230, v131, v226
	v_mov_b32_e32 v226, 0
	v_dot4c_i32_i8_e32 v226, v118, v12
	v_mov_b32_e32 v12, 0
	v_dot4c_i32_i8_e32 v12, v124, v8
	;; [unrolled: 2-line block ×3, first 2 shown]
	v_dot4c_i32_i8_e32 v8, v113, v5
	v_mov_b32_e32 v5, 0
	v_dot4c_i32_i8_e32 v5, v102, v0
	v_dot4c_i32_i8_e32 v8, v110, v6
	;; [unrolled: 1-line block ×7, first 2 shown]
	v_mul_lo_u32 v4, v8, v222
	v_dot4c_i32_i8_e32 v226, v114, v14
	v_mad_u64_u32 v[0:1], s[20:21], v5, v223, v[4:5]
	v_cvt_f32_i32_e32 v0, v0
	v_dot4c_i32_i8_e32 v12, v125, v9
	v_dot4c_i32_i8_e32 v226, v115, v15
	;; [unrolled: 1-line block ×4, first 2 shown]
	v_fma_f32 v2, v130, v0, 0
	v_mul_lo_u32 v0, v226, v225
	v_mov_b32_e32 v226, 0
	v_mad_u64_u32 v[0:1], s[20:21], v12, v224, v[0:1]
	v_cvt_f32_i32_e32 v0, v0
	v_fmac_f32_e32 v31, v208, v230
	v_fmac_f32_e32 v2, v131, v0
	v_or_b32_e32 v0, s1, v190
	v_lshlrev_b32_e32 v12, 2, v0
	v_lshrrev_b32_e32 v130, 1, v0
	v_fmac_f32_e32 v29, v209, v2
	ds_read_b128 v[0:3], v12 offset:33280
	ds_read_b128 v[4:7], v12 offset:33296
	;; [unrolled: 1-line block ×4, first 2 shown]
	ds_read_b64 v[130:131], v130 offset:43584
	s_add_i32 s1, s0, 8
	s_cmp_lt_u32 s0, 24
	s_mov_b32 s0, s1
	s_waitcnt lgkmcnt(1)
	v_dot4c_i32_i8_e32 v226, v128, v12
	v_dot4c_i32_i8_e32 v226, v129, v13
	;; [unrolled: 1-line block ×3, first 2 shown]
	v_mov_b32_e32 v126, 0
	v_dot4c_i32_i8_e32 v126, v84, v8
	v_dot4c_i32_i8_e32 v126, v85, v9
	;; [unrolled: 1-line block ×3, first 2 shown]
	v_mov_b32_e32 v82, 0
	v_dot4c_i32_i8_e32 v82, v72, v4
	v_dot4c_i32_i8_e32 v82, v73, v5
	;; [unrolled: 1-line block ×4, first 2 shown]
	v_mov_b32_e32 v71, 0
	v_dot4c_i32_i8_e32 v71, v68, v0
	v_dot4c_i32_i8_e32 v71, v69, v1
	;; [unrolled: 1-line block ×3, first 2 shown]
	v_mul_lo_u32 v70, v82, v210
	v_dot4c_i32_i8_e32 v71, v67, v3
	v_dot4c_i32_i8_e32 v226, v127, v15
	;; [unrolled: 1-line block ×3, first 2 shown]
	v_mov_b32_e32 v69, 0
	v_mad_u64_u32 v[66:67], s[20:21], v71, v211, v[70:71]
	v_cvt_f32_i32_e32 v66, v66
	v_dot4c_i32_i8_e32 v69, v104, v8
	v_dot4c_i32_i8_e32 v69, v105, v9
	;; [unrolled: 1-line block ×3, first 2 shown]
	s_waitcnt lgkmcnt(0)
	v_fma_f32 v68, v130, v66, 0
	v_mul_lo_u32 v66, v226, v213
	v_mad_u64_u32 v[66:67], s[20:21], v126, v212, v[66:67]
	v_cvt_f32_i32_e32 v66, v66
	v_mov_b32_e32 v67, 0
	v_dot4c_i32_i8_e32 v67, v76, v0
	v_dot4c_i32_i8_e32 v67, v77, v1
	v_fmac_f32_e32 v68, v131, v66
	v_mov_b32_e32 v66, 0
	v_dot4c_i32_i8_e32 v66, v80, v4
	v_dot4c_i32_i8_e32 v66, v81, v5
	;; [unrolled: 1-line block ×6, first 2 shown]
	v_fmac_f32_e32 v27, v206, v68
	v_mul_lo_u32 v66, v66, v214
	v_mov_b32_e32 v68, 0
	v_mad_u64_u32 v[66:67], s[20:21], v67, v215, v[66:67]
	v_dot4c_i32_i8_e32 v68, v88, v12
	v_cvt_f32_i32_e32 v66, v66
	v_dot4c_i32_i8_e32 v68, v89, v13
	v_dot4c_i32_i8_e32 v68, v86, v14
	;; [unrolled: 1-line block ×4, first 2 shown]
	v_fma_f32 v70, v130, v66, 0
	s_nop 0
	v_mul_lo_u32 v66, v68, v217
	v_mad_u64_u32 v[66:67], s[20:21], v69, v216, v[66:67]
	v_cvt_f32_i32_e32 v66, v66
	v_mov_b32_e32 v67, 0
	v_dot4c_i32_i8_e32 v67, v92, v0
	v_dot4c_i32_i8_e32 v67, v93, v1
	v_fmac_f32_e32 v70, v131, v66
	v_mov_b32_e32 v66, 0
	v_dot4c_i32_i8_e32 v66, v96, v4
	v_dot4c_i32_i8_e32 v66, v97, v5
	v_dot4c_i32_i8_e32 v66, v94, v6
	v_dot4c_i32_i8_e32 v66, v95, v7
	v_dot4c_i32_i8_e32 v67, v90, v2
	v_dot4c_i32_i8_e32 v67, v91, v3
	v_mov_b32_e32 v68, 0
	v_mul_lo_u32 v66, v66, v218
	v_dot4c_i32_i8_e32 v68, v108, v12
	v_mad_u64_u32 v[66:67], s[20:21], v67, v219, v[66:67]
	v_mov_b32_e32 v69, 0
	v_cvt_f32_i32_e32 v66, v66
	v_dot4c_i32_i8_e32 v68, v109, v13
	v_dot4c_i32_i8_e32 v69, v120, v8
	;; [unrolled: 1-line block ×6, first 2 shown]
	v_fmac_f32_e32 v25, v207, v70
	v_dot4c_i32_i8_e32 v69, v117, v11
	v_fma_f32 v70, v130, v66, 0
	v_mul_lo_u32 v66, v68, v221
	s_nop 0
	v_mad_u64_u32 v[66:67], s[20:21], v69, v220, v[66:67]
	v_cvt_f32_i32_e32 v66, v66
	v_fmac_f32_e32 v70, v131, v66
	v_mov_b32_e32 v66, 0
	v_dot4c_i32_i8_e32 v66, v118, v12
	v_mov_b32_e32 v12, 0
	v_dot4c_i32_i8_e32 v12, v124, v8
	;; [unrolled: 2-line block ×3, first 2 shown]
	v_dot4c_i32_i8_e32 v8, v113, v5
	v_mov_b32_e32 v5, 0
	v_dot4c_i32_i8_e32 v5, v102, v0
	v_dot4c_i32_i8_e32 v8, v110, v6
	;; [unrolled: 1-line block ×7, first 2 shown]
	v_mul_lo_u32 v4, v8, v222
	v_dot4c_i32_i8_e32 v66, v114, v14
	v_mad_u64_u32 v[0:1], s[20:21], v5, v223, v[4:5]
	v_cvt_f32_i32_e32 v0, v0
	v_dot4c_i32_i8_e32 v12, v125, v9
	v_dot4c_i32_i8_e32 v66, v115, v15
	v_dot4c_i32_i8_e32 v12, v122, v10
	v_dot4c_i32_i8_e32 v12, v123, v11
	v_fma_f32 v2, v130, v0, 0
	v_mul_lo_u32 v0, v66, v225
	v_fmac_f32_e32 v23, v208, v70
	v_mad_u64_u32 v[0:1], s[20:21], v12, v224, v[0:1]
	v_cvt_f32_i32_e32 v0, v0
	v_fmac_f32_e32 v2, v131, v0
	v_fmac_f32_e32 v17, v209, v2
	s_cbranch_scc1 .LBB155_8
; %bb.9:                                ;   in Loop: Header=BB155_5 Depth=1
	s_add_i32 s14, s14, 1
	s_cmp_eq_u32 s14, s4
	s_barrier
	s_cbranch_scc0 .LBB155_5
; %bb.10:
	v_mov_b32_e32 v1, v132
.LBB155_11:
	v_cmp_gt_u32_e32 vcc, s8, v137
	s_and_saveexec_b64 s[0:1], vcc
	s_cbranch_execz .LBB155_62
; %bb.12:
	v_add_u32_e32 v0, s6, v61
	v_mul_lo_u32 v5, v137, s10
	v_cmp_gt_u32_e32 vcc, s10, v0
	s_and_saveexec_b64 s[0:1], vcc
	s_cbranch_execz .LBB155_14
; %bb.13:
	v_cvt_f16_f32_e32 v4, v169
	v_add_u32_e32 v2, v0, v5
	v_mov_b32_e32 v3, 0
	s_waitcnt lgkmcnt(0)
	v_lshl_add_u64 v[2:3], v[2:3], 1, s[12:13]
	global_store_short v[2:3], v4, off
.LBB155_14:
	s_or_b64 exec, exec, s[0:1]
	v_add_u32_e32 v2, 32, v0
	v_cmp_gt_u32_e64 s[0:1], s10, v2
	s_and_saveexec_b64 s[2:3], s[0:1]
	s_cbranch_execz .LBB155_16
; %bb.15:
	v_cvt_f16_f32_e32 v3, v164
	v_add_u32_e32 v6, v2, v5
	v_mov_b32_e32 v7, 0
	s_waitcnt lgkmcnt(0)
	v_lshl_add_u64 v[6:7], v[6:7], 1, s[12:13]
	global_store_short v[6:7], v3, off
.LBB155_16:
	s_or_b64 exec, exec, s[2:3]
	v_add_u32_e32 v3, 64, v0
	v_cmp_gt_u32_e64 s[2:3], s10, v3
	s_and_saveexec_b64 s[4:5], s[2:3]
	;; [unrolled: 13-line block ×3, first 2 shown]
	s_cbranch_execz .LBB155_20
; %bb.19:
	v_cvt_f16_f32_e32 v8, v156
	v_add_u32_e32 v6, v4, v5
	v_mov_b32_e32 v7, 0
	s_waitcnt lgkmcnt(0)
	v_lshl_add_u64 v[6:7], v[6:7], 1, s[12:13]
	global_store_short v[6:7], v8, off
.LBB155_20:
	s_or_b64 exec, exec, s[6:7]
	v_add3_u32 v5, v1, s11, 8
	v_cmp_gt_u32_e64 s[6:7], s8, v5
	s_and_b64 exec, exec, s[6:7]
	s_cbranch_execz .LBB155_62
; %bb.21:
	v_mul_lo_u32 v5, v5, s10
	s_and_saveexec_b64 s[6:7], vcc
	s_cbranch_execnz .LBB155_63
; %bb.22:
	s_or_b64 exec, exec, s[6:7]
	s_and_saveexec_b64 s[6:7], s[0:1]
	s_cbranch_execnz .LBB155_64
.LBB155_23:
	s_or_b64 exec, exec, s[6:7]
	s_and_saveexec_b64 s[6:7], s[2:3]
	s_cbranch_execnz .LBB155_65
.LBB155_24:
	s_or_b64 exec, exec, s[6:7]
	s_and_saveexec_b64 s[6:7], s[4:5]
	s_cbranch_execz .LBB155_26
.LBB155_25:
	v_cvt_f16_f32_e32 v8, v138
	v_add_u32_e32 v6, v5, v4
	v_mov_b32_e32 v7, 0
	s_waitcnt lgkmcnt(0)
	v_lshl_add_u64 v[6:7], v[6:7], 1, s[12:13]
	global_store_short v[6:7], v8, off
.LBB155_26:
	s_or_b64 exec, exec, s[6:7]
	v_add3_u32 v5, v1, s11, 16
	v_cmp_gt_u32_e64 s[6:7], s8, v5
	s_and_b64 exec, exec, s[6:7]
	s_cbranch_execz .LBB155_62
; %bb.27:
	v_mul_lo_u32 v5, v5, s10
	s_and_saveexec_b64 s[6:7], vcc
	s_cbranch_execnz .LBB155_66
; %bb.28:
	s_or_b64 exec, exec, s[6:7]
	s_and_saveexec_b64 s[6:7], s[0:1]
	s_cbranch_execnz .LBB155_67
.LBB155_29:
	s_or_b64 exec, exec, s[6:7]
	s_and_saveexec_b64 s[6:7], s[2:3]
	s_cbranch_execnz .LBB155_68
.LBB155_30:
	s_or_b64 exec, exec, s[6:7]
	s_and_saveexec_b64 s[6:7], s[4:5]
	s_cbranch_execz .LBB155_32
.LBB155_31:
	v_cvt_f16_f32_e32 v8, v133
	v_add_u32_e32 v6, v5, v4
	v_mov_b32_e32 v7, 0
	s_waitcnt lgkmcnt(0)
	v_lshl_add_u64 v[6:7], v[6:7], 1, s[12:13]
	global_store_short v[6:7], v8, off
.LBB155_32:
	s_or_b64 exec, exec, s[6:7]
	v_add3_u32 v5, v1, s11, 24
	v_cmp_gt_u32_e64 s[6:7], s8, v5
	s_and_b64 exec, exec, s[6:7]
	s_cbranch_execz .LBB155_62
; %bb.33:
	v_mul_lo_u32 v5, v5, s10
	s_and_saveexec_b64 s[6:7], vcc
	s_cbranch_execnz .LBB155_69
; %bb.34:
	s_or_b64 exec, exec, s[6:7]
	s_and_saveexec_b64 s[6:7], s[0:1]
	s_cbranch_execnz .LBB155_70
.LBB155_35:
	s_or_b64 exec, exec, s[6:7]
	s_and_saveexec_b64 s[6:7], s[2:3]
	s_cbranch_execnz .LBB155_71
.LBB155_36:
	s_or_b64 exec, exec, s[6:7]
	s_and_saveexec_b64 s[6:7], s[4:5]
	s_cbranch_execz .LBB155_38
.LBB155_37:
	v_cvt_f16_f32_e32 v8, v53
	v_add_u32_e32 v6, v5, v4
	v_mov_b32_e32 v7, 0
	s_waitcnt lgkmcnt(0)
	v_lshl_add_u64 v[6:7], v[6:7], 1, s[12:13]
	global_store_short v[6:7], v8, off
.LBB155_38:
	s_or_b64 exec, exec, s[6:7]
	v_add3_u32 v5, v1, s11, 32
	v_cmp_gt_u32_e64 s[6:7], s8, v5
	s_and_b64 exec, exec, s[6:7]
	s_cbranch_execz .LBB155_62
; %bb.39:
	v_mul_lo_u32 v5, v5, s10
	s_and_saveexec_b64 s[6:7], vcc
	s_cbranch_execnz .LBB155_72
; %bb.40:
	s_or_b64 exec, exec, s[6:7]
	s_and_saveexec_b64 s[6:7], s[0:1]
	s_cbranch_execnz .LBB155_73
.LBB155_41:
	s_or_b64 exec, exec, s[6:7]
	s_and_saveexec_b64 s[6:7], s[2:3]
	s_cbranch_execnz .LBB155_74
.LBB155_42:
	s_or_b64 exec, exec, s[6:7]
	s_and_saveexec_b64 s[6:7], s[4:5]
	s_cbranch_execz .LBB155_44
.LBB155_43:
	v_cvt_f16_f32_e32 v8, v45
	v_add_u32_e32 v6, v5, v4
	v_mov_b32_e32 v7, 0
	s_waitcnt lgkmcnt(0)
	v_lshl_add_u64 v[6:7], v[6:7], 1, s[12:13]
	global_store_short v[6:7], v8, off
.LBB155_44:
	s_or_b64 exec, exec, s[6:7]
	v_add3_u32 v5, v1, s11, 40
	v_cmp_gt_u32_e64 s[6:7], s8, v5
	s_and_b64 exec, exec, s[6:7]
	s_cbranch_execz .LBB155_62
; %bb.45:
	v_mul_lo_u32 v5, v5, s10
	s_and_saveexec_b64 s[6:7], vcc
	s_cbranch_execnz .LBB155_75
; %bb.46:
	s_or_b64 exec, exec, s[6:7]
	s_and_saveexec_b64 s[6:7], s[0:1]
	s_cbranch_execnz .LBB155_76
.LBB155_47:
	s_or_b64 exec, exec, s[6:7]
	s_and_saveexec_b64 s[6:7], s[2:3]
	s_cbranch_execnz .LBB155_77
.LBB155_48:
	s_or_b64 exec, exec, s[6:7]
	s_and_saveexec_b64 s[6:7], s[4:5]
	s_cbranch_execz .LBB155_50
.LBB155_49:
	v_cvt_f16_f32_e32 v8, v37
	v_add_u32_e32 v6, v5, v4
	v_mov_b32_e32 v7, 0
	s_waitcnt lgkmcnt(0)
	v_lshl_add_u64 v[6:7], v[6:7], 1, s[12:13]
	global_store_short v[6:7], v8, off
.LBB155_50:
	s_or_b64 exec, exec, s[6:7]
	v_add3_u32 v5, v1, s11, 48
	v_cmp_gt_u32_e64 s[6:7], s8, v5
	s_and_b64 exec, exec, s[6:7]
	s_cbranch_execz .LBB155_62
; %bb.51:
	v_mul_lo_u32 v5, v5, s10
	s_and_saveexec_b64 s[6:7], vcc
	s_cbranch_execnz .LBB155_78
; %bb.52:
	s_or_b64 exec, exec, s[6:7]
	s_and_saveexec_b64 s[6:7], s[0:1]
	s_cbranch_execnz .LBB155_79
.LBB155_53:
	s_or_b64 exec, exec, s[6:7]
	s_and_saveexec_b64 s[6:7], s[2:3]
	s_cbranch_execnz .LBB155_80
.LBB155_54:
	s_or_b64 exec, exec, s[6:7]
	s_and_saveexec_b64 s[6:7], s[4:5]
	s_cbranch_execz .LBB155_56
.LBB155_55:
	v_cvt_f16_f32_e32 v8, v29
	v_add_u32_e32 v6, v5, v4
	v_mov_b32_e32 v7, 0
	s_waitcnt lgkmcnt(0)
	v_lshl_add_u64 v[6:7], v[6:7], 1, s[12:13]
	global_store_short v[6:7], v8, off
.LBB155_56:
	s_or_b64 exec, exec, s[6:7]
	v_add3_u32 v1, v1, s11, 56
	v_cmp_gt_u32_e64 s[6:7], s8, v1
	s_and_b64 exec, exec, s[6:7]
	s_cbranch_execz .LBB155_62
; %bb.57:
	v_mul_lo_u32 v1, v1, s10
	s_and_saveexec_b64 s[6:7], vcc
	s_cbranch_execnz .LBB155_81
; %bb.58:
	s_or_b64 exec, exec, s[6:7]
	s_and_saveexec_b64 s[6:7], s[0:1]
	s_cbranch_execnz .LBB155_82
.LBB155_59:
	s_or_b64 exec, exec, s[6:7]
	s_and_saveexec_b64 s[0:1], s[2:3]
	s_cbranch_execnz .LBB155_83
.LBB155_60:
	s_or_b64 exec, exec, s[0:1]
	s_and_b64 exec, exec, s[4:5]
	s_cbranch_execz .LBB155_62
.LBB155_61:
	v_cvt_f16_f32_e32 v2, v17
	v_add_u32_e32 v0, v1, v4
	v_mov_b32_e32 v1, 0
	s_waitcnt lgkmcnt(0)
	v_lshl_add_u64 v[0:1], v[0:1], 1, s[12:13]
	global_store_short v[0:1], v2, off
.LBB155_62:
	s_endpgm
.LBB155_63:
	v_cvt_f16_f32_e32 v8, v146
	v_add_u32_e32 v6, v5, v0
	v_mov_b32_e32 v7, 0
	s_waitcnt lgkmcnt(0)
	v_lshl_add_u64 v[6:7], v[6:7], 1, s[12:13]
	global_store_short v[6:7], v8, off
	s_or_b64 exec, exec, s[6:7]
	s_and_saveexec_b64 s[6:7], s[0:1]
	s_cbranch_execz .LBB155_23
.LBB155_64:
	v_cvt_f16_f32_e32 v8, v140
	v_add_u32_e32 v6, v5, v2
	v_mov_b32_e32 v7, 0
	s_waitcnt lgkmcnt(0)
	v_lshl_add_u64 v[6:7], v[6:7], 1, s[12:13]
	global_store_short v[6:7], v8, off
	s_or_b64 exec, exec, s[6:7]
	s_and_saveexec_b64 s[6:7], s[2:3]
	s_cbranch_execz .LBB155_24
.LBB155_65:
	v_cvt_f16_f32_e32 v8, v139
	v_add_u32_e32 v6, v5, v3
	v_mov_b32_e32 v7, 0
	s_waitcnt lgkmcnt(0)
	v_lshl_add_u64 v[6:7], v[6:7], 1, s[12:13]
	global_store_short v[6:7], v8, off
	s_or_b64 exec, exec, s[6:7]
	s_and_saveexec_b64 s[6:7], s[4:5]
	s_cbranch_execnz .LBB155_25
	s_branch .LBB155_26
.LBB155_66:
	v_cvt_f16_f32_e32 v8, v136
	v_add_u32_e32 v6, v5, v0
	v_mov_b32_e32 v7, 0
	s_waitcnt lgkmcnt(0)
	v_lshl_add_u64 v[6:7], v[6:7], 1, s[12:13]
	global_store_short v[6:7], v8, off
	s_or_b64 exec, exec, s[6:7]
	s_and_saveexec_b64 s[6:7], s[0:1]
	s_cbranch_execz .LBB155_29
.LBB155_67:
	v_cvt_f16_f32_e32 v8, v135
	v_add_u32_e32 v6, v5, v2
	v_mov_b32_e32 v7, 0
	s_waitcnt lgkmcnt(0)
	v_lshl_add_u64 v[6:7], v[6:7], 1, s[12:13]
	global_store_short v[6:7], v8, off
	s_or_b64 exec, exec, s[6:7]
	s_and_saveexec_b64 s[6:7], s[2:3]
	s_cbranch_execz .LBB155_30
.LBB155_68:
	v_cvt_f16_f32_e32 v8, v134
	v_add_u32_e32 v6, v5, v3
	v_mov_b32_e32 v7, 0
	s_waitcnt lgkmcnt(0)
	v_lshl_add_u64 v[6:7], v[6:7], 1, s[12:13]
	global_store_short v[6:7], v8, off
	s_or_b64 exec, exec, s[6:7]
	s_and_saveexec_b64 s[6:7], s[4:5]
	s_cbranch_execnz .LBB155_31
	s_branch .LBB155_32
.LBB155_69:
	v_cvt_f16_f32_e32 v8, v65
	v_add_u32_e32 v6, v5, v0
	v_mov_b32_e32 v7, 0
	s_waitcnt lgkmcnt(0)
	v_lshl_add_u64 v[6:7], v[6:7], 1, s[12:13]
	global_store_short v[6:7], v8, off
	s_or_b64 exec, exec, s[6:7]
	s_and_saveexec_b64 s[6:7], s[0:1]
	s_cbranch_execz .LBB155_35
.LBB155_70:
	v_cvt_f16_f32_e32 v8, v59
	v_add_u32_e32 v6, v5, v2
	v_mov_b32_e32 v7, 0
	s_waitcnt lgkmcnt(0)
	v_lshl_add_u64 v[6:7], v[6:7], 1, s[12:13]
	global_store_short v[6:7], v8, off
	s_or_b64 exec, exec, s[6:7]
	s_and_saveexec_b64 s[6:7], s[2:3]
	s_cbranch_execz .LBB155_36
.LBB155_71:
	v_cvt_f16_f32_e32 v8, v55
	v_add_u32_e32 v6, v5, v3
	v_mov_b32_e32 v7, 0
	s_waitcnt lgkmcnt(0)
	v_lshl_add_u64 v[6:7], v[6:7], 1, s[12:13]
	global_store_short v[6:7], v8, off
	s_or_b64 exec, exec, s[6:7]
	s_and_saveexec_b64 s[6:7], s[4:5]
	s_cbranch_execnz .LBB155_37
	s_branch .LBB155_38
.LBB155_72:
	v_cvt_f16_f32_e32 v8, v51
	v_add_u32_e32 v6, v5, v0
	v_mov_b32_e32 v7, 0
	s_waitcnt lgkmcnt(0)
	v_lshl_add_u64 v[6:7], v[6:7], 1, s[12:13]
	global_store_short v[6:7], v8, off
	s_or_b64 exec, exec, s[6:7]
	s_and_saveexec_b64 s[6:7], s[0:1]
	s_cbranch_execz .LBB155_41
.LBB155_73:
	v_cvt_f16_f32_e32 v8, v49
	v_add_u32_e32 v6, v5, v2
	v_mov_b32_e32 v7, 0
	s_waitcnt lgkmcnt(0)
	v_lshl_add_u64 v[6:7], v[6:7], 1, s[12:13]
	global_store_short v[6:7], v8, off
	s_or_b64 exec, exec, s[6:7]
	s_and_saveexec_b64 s[6:7], s[2:3]
	s_cbranch_execz .LBB155_42
.LBB155_74:
	v_cvt_f16_f32_e32 v8, v47
	v_add_u32_e32 v6, v5, v3
	v_mov_b32_e32 v7, 0
	s_waitcnt lgkmcnt(0)
	v_lshl_add_u64 v[6:7], v[6:7], 1, s[12:13]
	global_store_short v[6:7], v8, off
	s_or_b64 exec, exec, s[6:7]
	s_and_saveexec_b64 s[6:7], s[4:5]
	s_cbranch_execnz .LBB155_43
	s_branch .LBB155_44
.LBB155_75:
	v_cvt_f16_f32_e32 v8, v43
	v_add_u32_e32 v6, v5, v0
	v_mov_b32_e32 v7, 0
	s_waitcnt lgkmcnt(0)
	v_lshl_add_u64 v[6:7], v[6:7], 1, s[12:13]
	global_store_short v[6:7], v8, off
	s_or_b64 exec, exec, s[6:7]
	s_and_saveexec_b64 s[6:7], s[0:1]
	s_cbranch_execz .LBB155_47
.LBB155_76:
	v_cvt_f16_f32_e32 v8, v41
	v_add_u32_e32 v6, v5, v2
	v_mov_b32_e32 v7, 0
	s_waitcnt lgkmcnt(0)
	v_lshl_add_u64 v[6:7], v[6:7], 1, s[12:13]
	global_store_short v[6:7], v8, off
	s_or_b64 exec, exec, s[6:7]
	s_and_saveexec_b64 s[6:7], s[2:3]
	s_cbranch_execz .LBB155_48
.LBB155_77:
	v_cvt_f16_f32_e32 v8, v39
	v_add_u32_e32 v6, v5, v3
	v_mov_b32_e32 v7, 0
	s_waitcnt lgkmcnt(0)
	v_lshl_add_u64 v[6:7], v[6:7], 1, s[12:13]
	global_store_short v[6:7], v8, off
	s_or_b64 exec, exec, s[6:7]
	s_and_saveexec_b64 s[6:7], s[4:5]
	s_cbranch_execnz .LBB155_49
	s_branch .LBB155_50
.LBB155_78:
	v_cvt_f16_f32_e32 v8, v35
	v_add_u32_e32 v6, v5, v0
	v_mov_b32_e32 v7, 0
	s_waitcnt lgkmcnt(0)
	v_lshl_add_u64 v[6:7], v[6:7], 1, s[12:13]
	global_store_short v[6:7], v8, off
	s_or_b64 exec, exec, s[6:7]
	s_and_saveexec_b64 s[6:7], s[0:1]
	s_cbranch_execz .LBB155_53
.LBB155_79:
	v_cvt_f16_f32_e32 v8, v33
	v_add_u32_e32 v6, v5, v2
	v_mov_b32_e32 v7, 0
	s_waitcnt lgkmcnt(0)
	v_lshl_add_u64 v[6:7], v[6:7], 1, s[12:13]
	global_store_short v[6:7], v8, off
	s_or_b64 exec, exec, s[6:7]
	s_and_saveexec_b64 s[6:7], s[2:3]
	s_cbranch_execz .LBB155_54
.LBB155_80:
	v_cvt_f16_f32_e32 v8, v31
	v_add_u32_e32 v6, v5, v3
	v_mov_b32_e32 v7, 0
	s_waitcnt lgkmcnt(0)
	v_lshl_add_u64 v[6:7], v[6:7], 1, s[12:13]
	global_store_short v[6:7], v8, off
	s_or_b64 exec, exec, s[6:7]
	s_and_saveexec_b64 s[6:7], s[4:5]
	s_cbranch_execnz .LBB155_55
	s_branch .LBB155_56
.LBB155_81:
	v_cvt_f16_f32_e32 v5, v27
	v_add_u32_e32 v6, v1, v0
	v_mov_b32_e32 v7, 0
	s_waitcnt lgkmcnt(0)
	v_lshl_add_u64 v[6:7], v[6:7], 1, s[12:13]
	global_store_short v[6:7], v5, off
	s_or_b64 exec, exec, s[6:7]
	s_and_saveexec_b64 s[6:7], s[0:1]
	s_cbranch_execz .LBB155_59
.LBB155_82:
	v_cvt_f16_f32_e32 v0, v25
	v_add_u32_e32 v6, v1, v2
	v_mov_b32_e32 v7, 0
	s_waitcnt lgkmcnt(0)
	v_lshl_add_u64 v[6:7], v[6:7], 1, s[12:13]
	global_store_short v[6:7], v0, off
	s_or_b64 exec, exec, s[6:7]
	s_and_saveexec_b64 s[0:1], s[2:3]
	s_cbranch_execz .LBB155_60
.LBB155_83:
	v_cvt_f16_f32_e32 v0, v23
	v_add_u32_e32 v2, v1, v3
	v_mov_b32_e32 v3, 0
	s_waitcnt lgkmcnt(0)
	v_lshl_add_u64 v[2:3], v[2:3], 1, s[12:13]
	global_store_short v[2:3], v0, off
	s_or_b64 exec, exec, s[0:1]
	s_and_b64 exec, exec, s[4:5]
	s_cbranch_execnz .LBB155_61
	s_branch .LBB155_62
	.section	.rodata,"a",@progbits
	.p2align	6, 0x0
	.amdhsa_kernel _ZL12mul_mat_q6_KIN3c104HalfELb0EEvPKvS3_PT_iiiii
		.amdhsa_group_segment_fixed_size 45136
		.amdhsa_private_segment_fixed_size 0
		.amdhsa_kernarg_size 44
		.amdhsa_user_sgpr_count 2
		.amdhsa_user_sgpr_dispatch_ptr 0
		.amdhsa_user_sgpr_queue_ptr 0
		.amdhsa_user_sgpr_kernarg_segment_ptr 1
		.amdhsa_user_sgpr_dispatch_id 0
		.amdhsa_user_sgpr_kernarg_preload_length 0
		.amdhsa_user_sgpr_kernarg_preload_offset 0
		.amdhsa_user_sgpr_private_segment_size 0
		.amdhsa_uses_dynamic_stack 0
		.amdhsa_enable_private_segment 0
		.amdhsa_system_sgpr_workgroup_id_x 1
		.amdhsa_system_sgpr_workgroup_id_y 1
		.amdhsa_system_sgpr_workgroup_id_z 0
		.amdhsa_system_sgpr_workgroup_info 0
		.amdhsa_system_vgpr_workitem_id 1
		.amdhsa_next_free_vgpr 232
		.amdhsa_next_free_sgpr 26
		.amdhsa_accum_offset 232
		.amdhsa_reserve_vcc 1
		.amdhsa_float_round_mode_32 0
		.amdhsa_float_round_mode_16_64 0
		.amdhsa_float_denorm_mode_32 3
		.amdhsa_float_denorm_mode_16_64 3
		.amdhsa_dx10_clamp 1
		.amdhsa_ieee_mode 1
		.amdhsa_fp16_overflow 0
		.amdhsa_tg_split 0
		.amdhsa_exception_fp_ieee_invalid_op 0
		.amdhsa_exception_fp_denorm_src 0
		.amdhsa_exception_fp_ieee_div_zero 0
		.amdhsa_exception_fp_ieee_overflow 0
		.amdhsa_exception_fp_ieee_underflow 0
		.amdhsa_exception_fp_ieee_inexact 0
		.amdhsa_exception_int_div_zero 0
	.end_amdhsa_kernel
	.section	.text._ZL12mul_mat_q6_KIN3c104HalfELb0EEvPKvS3_PT_iiiii,"axG",@progbits,_ZL12mul_mat_q6_KIN3c104HalfELb0EEvPKvS3_PT_iiiii,comdat
.Lfunc_end155:
	.size	_ZL12mul_mat_q6_KIN3c104HalfELb0EEvPKvS3_PT_iiiii, .Lfunc_end155-_ZL12mul_mat_q6_KIN3c104HalfELb0EEvPKvS3_PT_iiiii
                                        ; -- End function
	.section	.AMDGPU.csdata,"",@progbits
; Kernel info:
; codeLenInByte = 19472
; NumSgprs: 32
; NumVgprs: 232
; NumAgprs: 0
; TotalNumVgprs: 232
; ScratchSize: 0
; MemoryBound: 0
; FloatMode: 240
; IeeeMode: 1
; LDSByteSize: 45136 bytes/workgroup (compile time only)
; SGPRBlocks: 3
; VGPRBlocks: 28
; NumSGPRsForWavesPerEU: 32
; NumVGPRsForWavesPerEU: 232
; AccumOffset: 232
; Occupancy: 1
; WaveLimiterHint : 0
; COMPUTE_PGM_RSRC2:SCRATCH_EN: 0
; COMPUTE_PGM_RSRC2:USER_SGPR: 2
; COMPUTE_PGM_RSRC2:TRAP_HANDLER: 0
; COMPUTE_PGM_RSRC2:TGID_X_EN: 1
; COMPUTE_PGM_RSRC2:TGID_Y_EN: 1
; COMPUTE_PGM_RSRC2:TGID_Z_EN: 0
; COMPUTE_PGM_RSRC2:TIDIG_COMP_CNT: 1
; COMPUTE_PGM_RSRC3_GFX90A:ACCUM_OFFSET: 57
; COMPUTE_PGM_RSRC3_GFX90A:TG_SPLIT: 0
	.section	.text._ZL12mul_mat_q6_KIN3c104HalfELb1EEvPKvS3_PT_iiiii,"axG",@progbits,_ZL12mul_mat_q6_KIN3c104HalfELb1EEvPKvS3_PT_iiiii,comdat
	.globl	_ZL12mul_mat_q6_KIN3c104HalfELb1EEvPKvS3_PT_iiiii ; -- Begin function _ZL12mul_mat_q6_KIN3c104HalfELb1EEvPKvS3_PT_iiiii
	.p2align	8
	.type	_ZL12mul_mat_q6_KIN3c104HalfELb1EEvPKvS3_PT_iiiii,@function
_ZL12mul_mat_q6_KIN3c104HalfELb1EEvPKvS3_PT_iiiii: ; @_ZL12mul_mat_q6_KIN3c104HalfELb1EEvPKvS3_PT_iiiii
; %bb.0:
	s_load_dwordx4 s[8:11], s[0:1], 0x18
	s_load_dword s14, s[0:1], 0x28
	s_lshl_b32 s15, s3, 6
	v_bfe_u32 v59, v0, 10, 10
	s_waitcnt lgkmcnt(0)
	s_cmpk_gt_i32 s8, 0xff
	s_cbranch_scc1 .LBB156_2
; %bb.1:
	v_bfe_u32 v1, v0, 10, 10
	v_and_b32_e32 v55, 0x3ff, v0
	v_add_u32_e32 v73, s15, v1
	s_mov_b64 s[4:5], 0
	s_mov_b32 s3, 0
	s_branch .LBB156_3
.LBB156_2:
	s_mov_b64 s[4:5], -1
                                        ; implicit-def: $sgpr3
                                        ; implicit-def: $vgpr1
                                        ; implicit-def: $vgpr55
                                        ; implicit-def: $vgpr73
.LBB156_3:
	s_load_dwordx2 s[12:13], s[0:1], 0x10
	s_lshl_b32 s6, s2, 7
	s_andn2_b64 vcc, exec, s[4:5]
	v_mov_b32_e32 v17, s3
	v_mov_b32_e32 v29, s3
	;; [unrolled: 1-line block ×32, first 2 shown]
	s_cbranch_vccnz .LBB156_11
; %bb.4:
	v_and_b32_e32 v55, 0x3ff, v0
	s_ashr_i32 s4, s8, 31
	v_and_b32_e32 v6, 31, v55
	s_load_dwordx4 s[0:3], s[0:1], 0x0
	s_lshr_b32 s4, s4, 24
	v_and_b32_e32 v0, 7, v55
	v_cmp_lt_u32_e32 vcc, 15, v6
	s_add_i32 s4, s8, s4
	s_ashr_i32 s5, s11, 31
	v_lshlrev_b32_e32 v0, 2, v0
	v_cndmask_b32_e64 v1, 0, 1, vcc
	s_ashr_i32 s4, s4, 8
	s_lshr_b32 s5, s5, 27
	v_lshl_or_b32 v20, v1, 5, v0
	v_add_u16_e32 v0, -16, v6
	v_cmp_gt_u32_e32 vcc, 16, v6
	s_add_i32 s5, s11, s5
	s_mul_i32 s7, s4, s6
	v_cndmask_b32_e32 v0, v0, v6, vcc
	s_ashr_i32 s11, s5, 5
	s_mul_hi_i32 s8, s7, 0xd2
	s_mulk_i32 s7, 0xd2
	v_cmp_lt_u16_e32 vcc, 7, v0
	s_waitcnt lgkmcnt(0)
	s_add_u32 s7, s0, s7
	s_addc_u32 s8, s1, s8
	v_cndmask_b32_e64 v0, 0, 1, vcc
	s_not_b32 s0, s6
	v_lshlrev_b32_e32 v75, 1, v0
	v_and_b32_e32 v0, 15, v55
	s_add_i32 s1, s0, s9
	v_lshlrev_b32_e32 v0, 2, v0
	v_min_i32_e32 v2, s1, v59
	v_lshl_or_b32 v0, v1, 7, v0
	s_movk_i32 s0, 0x104
	v_add_u32_e32 v7, 8, v59
	v_mad_u64_u32 v[24:25], s[16:17], v2, s0, v[0:1]
	v_min_i32_e32 v1, s1, v7
	v_add_u32_e32 v8, 16, v59
	v_mul_lo_u32 v26, v1, s4
	v_mad_u64_u32 v[28:29], s[16:17], v1, s0, v[0:1]
	v_min_i32_e32 v1, s1, v8
	v_add_u32_e32 v9, 24, v59
	v_mul_lo_u32 v30, v1, s4
	;; [unrolled: 4-line block ×6, first 2 shown]
	v_mad_u64_u32 v[48:49], s[16:17], v1, s0, v[0:1]
	v_min_i32_e32 v1, s1, v13
	v_mul_lo_u32 v50, v1, s4
	v_mad_u64_u32 v[52:53], s[16:17], v1, s0, v[0:1]
	v_add_u32_e32 v1, 64, v59
	v_min_i32_e32 v1, s1, v1
	v_mul_lo_u32 v54, v1, s4
	v_mad_u64_u32 v[56:57], s[16:17], v1, s0, v[0:1]
	v_add_u32_e32 v1, 0x48, v59
	;; [unrolled: 4-line block ×8, first 2 shown]
	v_min_i32_e32 v1, s1, v1
	v_mad_u64_u32 v[84:85], s[16:17], v1, s0, v[0:1]
	v_lshlrev_b32_e32 v85, 5, v59
	v_add_u32_e32 v0, v85, v55
	v_and_b32_e32 v0, 0x7f, v0
	v_min_i32_e32 v0, s1, v0
	v_mul_lo_u32 v82, v1, s4
	v_ashrrev_i32_e32 v1, 31, v0
	v_lshrrev_b32_e32 v1, 27, v1
	v_add_u32_e32 v1, v0, v1
	v_ashrrev_i32_e32 v1, 5, v1
	v_mul_lo_u32 v86, v0, s4
	v_lshlrev_b32_e32 v1, 2, v1
	v_lshlrev_b32_e32 v0, 2, v0
	s_mov_b32 s18, 0xae40
	v_add3_u32 v91, v1, v0, s18
	v_lshrrev_b32_e32 v0, 2, v55
	v_lshl_add_u32 v1, v59, 3, v0
	v_mul_lo_u32 v22, v2, s4
	v_and_b32_e32 v2, 0x7f, v1
	v_min_i32_e32 v3, s1, v2
	v_ashrrev_i32_e32 v4, 31, v3
	v_lshrrev_b32_e32 v4, 29, v4
	v_add_u32_e32 v4, v3, v4
	v_xor_b32_e32 v2, 64, v2
	v_and_b32_e32 v0, 3, v55
	v_ashrrev_i32_e32 v4, 3, v4
	v_min_i32_e32 v2, s1, v2
	v_mov_b32_e32 v19, 0
	v_lshlrev_b32_e32 v88, 2, v0
	v_mul_lo_u32 v90, v3, s4
	v_lshlrev_b32_e32 v4, 2, v4
	s_mov_b32 s19, 0xa200
	v_lshlrev_b32_e32 v15, 4, v3
	v_ashrrev_i32_e32 v3, 31, v2
	v_lshlrev_b32_e32 v25, 2, v55
	v_add3_u32 v14, v4, v88, s19
	v_lshrrev_b32_e32 v3, 29, v3
	v_and_b32_e32 v4, 28, v25
	v_mov_b32_e32 v5, v19
	v_and_b32_e32 v1, 63, v1
	v_add_u32_e32 v3, v2, v3
	s_add_i32 s1, s10, -1
	v_lshl_add_u64 v[94:95], s[2:3], 0, v[4:5]
	v_or_b32_e32 v4, s15, v1
	v_ashrrev_i32_e32 v3, 3, v3
	v_min_i32_e32 v4, s1, v4
	v_lshlrev_b32_e32 v3, 2, v3
	v_add_u32_e32 v73, s15, v59
	v_mad_u64_u32 v[96:97], s[16:17], v4, s11, v[0:1]
	v_lshl_or_b32 v0, v1, 4, v88
	v_mul_lo_u32 v92, v2, s4
	v_add3_u32 v17, v3, v88, s19
	v_lshlrev_b32_e32 v23, 4, v2
	v_cvt_f64_i32_e32 v[2:3], s1
	v_add_u32_e32 v164, 0xaa40, v0
	v_cvt_f64_u32_e32 v[0:1], v73
	v_min_f64 v[0:1], v[0:1], v[2:3]
	v_cvt_i32_f64_e32 v0, v[0:1]
	v_mul_lo_u32 v166, s11, v0
	v_or_b32_e32 v0, v85, v6
	v_mov_b32_e32 v4, 0x8200
	v_lshl_add_u32 v168, v0, 2, v4
	v_add_u32_e32 v0, 8, v73
	v_cvt_f64_u32_e32 v[0:1], v0
	v_min_f64 v[0:1], v[0:1], v[2:3]
	v_cvt_i32_f64_e32 v0, v[0:1]
	v_lshlrev_b32_e32 v170, 5, v7
	v_mul_lo_u32 v169, s11, v0
	v_or_b32_e32 v0, v170, v6
	v_lshl_add_u32 v171, v0, 2, v4
	v_add_u32_e32 v0, 16, v73
	v_cvt_f64_u32_e32 v[0:1], v0
	v_min_f64 v[0:1], v[0:1], v[2:3]
	v_cvt_i32_f64_e32 v0, v[0:1]
	v_lshlrev_b32_e32 v173, 5, v8
	v_mul_lo_u32 v172, s11, v0
	v_or_b32_e32 v0, v173, v6
	;; [unrolled: 8-line block ×6, first 2 shown]
	v_lshl_add_u32 v186, v0, 2, v4
	v_add_u32_e32 v0, 56, v73
	v_cvt_f64_u32_e32 v[0:1], v0
	v_min_f64 v[0:1], v[0:1], v[2:3]
	v_cvt_i32_f64_e32 v0, v[0:1]
	v_lshlrev_b32_e32 v188, 5, v13
	v_lshrrev_b32_e32 v16, 5, v55
	v_mul_lo_u32 v187, s11, v0
	v_or_b32_e32 v0, v188, v6
	v_lshl_add_u32 v189, v0, 2, v4
	v_lshlrev_b32_e32 v0, 2, v16
	v_add3_u32 v190, v0, v25, s18
	v_add_u32_e32 v0, 32, v55
	v_lshrrev_b32_e32 v191, 3, v0
	v_and_b32_e32 v1, 60, v191
	v_add3_u32 v192, v25, v1, s18
	v_add_u32_e32 v1, 64, v55
	v_lshrrev_b32_e32 v2, 3, v1
	v_and_b32_e32 v2, 60, v2
	v_add3_u32 v193, v25, v2, s18
	v_add_u32_e32 v2, 0x60, v55
	v_lshrrev_b32_e32 v3, 3, v2
	v_lshrrev_b32_e32 v165, 3, v55
	v_and_b32_e32 v3, 60, v3
	v_add3_u32 v194, v25, v3, s18
	v_lshlrev_b32_e32 v3, 2, v165
	v_lshlrev_b32_e32 v4, 4, v55
	v_add3_u32 v195, v4, v3, s19
	v_lshlrev_b32_e32 v3, 2, v191
	v_lshlrev_b32_e32 v0, 4, v0
	v_add3_u32 v197, v3, v0, s19
	v_mov_b32_e32 v0, 0x2080
	v_mad_u32_u24 v198, v55, s0, v0
	v_lshrrev_b32_e32 v0, 1, v1
	v_and_b32_e32 v0, 0xfc, v0
	v_lshlrev_b32_e32 v1, 4, v1
	v_add3_u32 v199, v1, v0, s19
	v_mov_b32_e32 v0, 0x4100
	v_mad_u32_u24 v200, v55, s0, v0
	v_lshrrev_b32_e32 v0, 1, v2
	v_and_b32_e32 v0, 0xfc, v0
	v_lshlrev_b32_e32 v1, 4, v2
	v_add3_u32 v201, v1, v0, s19
	v_mov_b32_e32 v0, 0x6180
	s_movk_i32 s5, 0xd2
	s_mov_b32 s9, 0
	v_lshlrev_b32_e32 v18, 2, v6
	v_mov_b32_e32 v21, v19
	v_mov_b32_e32 v89, v19
	v_mul_u32_u24_e32 v196, 0x104, v55
	v_mad_u32_u24 v202, v55, s0, v0
	s_mov_b32 s11, 0xf0f0f0f
	s_mov_b32 s16, 0x30303030
	s_movk_i32 s17, 0x3f00
	s_movk_i32 s18, 0xe000
	v_add_u32_e32 v203, v14, v15
	v_add_u32_e32 v204, v17, v23
	v_mov_b32_e32 v205, 8
	v_mov_b32_e32 v167, v19
	;; [unrolled: 1-line block ×33, first 2 shown]
.LBB156_5:                              ; =>This Loop Header: Depth=1
                                        ;     Child Loop BB156_6 Depth 2
                                        ;     Child Loop BB156_8 Depth 2
	s_mul_i32 s0, s9, 0xd2
	s_mul_hi_u32 s1, s9, 0xd2
	s_add_u32 s0, s7, s0
	s_addc_u32 s1, s8, s1
	v_mov_b64_e32 v[0:1], s[0:1]
	v_mad_u64_u32 v[2:3], s[20:21], v16, s5, v[0:1]
	v_mad_i64_i32 v[4:5], s[20:21], v22, s5, v[2:3]
	v_lshl_add_u64 v[6:7], v[4:5], 0, v[18:19]
	v_lshl_add_u64 v[4:5], v[4:5], 0, v[20:21]
	v_mad_i64_i32 v[8:9], s[20:21], v26, s5, v[2:3]
	global_load_dword v12, v[6:7], off
	v_lshl_add_u64 v[10:11], v[8:9], 0, v[18:19]
	v_lshl_add_u64 v[8:9], v[8:9], 0, v[20:21]
	v_mad_i64_i32 v[6:7], s[20:21], v30, s5, v[2:3]
	global_load_dword v13, v[4:5], off offset:128
	global_load_dword v14, v[10:11], off
	v_lshl_add_u64 v[4:5], v[6:7], 0, v[18:19]
	global_load_dword v15, v[8:9], off offset:128
	global_load_dword v98, v[4:5], off
	v_lshl_add_u64 v[4:5], v[6:7], 0, v[20:21]
	global_load_dword v99, v[4:5], off offset:128
	v_mad_i64_i32 v[4:5], s[20:21], v34, s5, v[2:3]
	v_lshl_add_u64 v[8:9], v[4:5], 0, v[18:19]
	v_lshl_add_u64 v[4:5], v[4:5], 0, v[20:21]
	global_load_dword v8, v[8:9], off
	s_nop 0
	global_load_dword v9, v[4:5], off offset:128
	v_mad_i64_i32 v[6:7], s[20:21], v38, s5, v[2:3]
	v_lshl_add_u64 v[10:11], v[6:7], 0, v[18:19]
	s_lshl_b32 s19, s9, 3
	v_mad_i64_i32 v[0:1], s[20:21], v86, s5, v[0:1]
	v_add_u32_e32 v206, s19, v96
	s_waitcnt vmcnt(7)
	v_and_b32_e32 v4, 0xf0f0f0f, v12
	v_lshrrev_b32_e32 v5, 4, v12
	s_waitcnt vmcnt(6)
	v_ashrrev_i32_e32 v12, v75, v13
	v_lshlrev_b32_e32 v101, 4, v12
	s_waitcnt vmcnt(4)
	v_ashrrev_i32_e32 v15, v75, v15
	v_and_b32_e32 v12, 0x30303030, v12
	v_and_b32_e32 v13, 0xf0f0f0f, v14
	v_lshrrev_b32_e32 v14, 4, v14
	v_lshlrev_b32_e32 v102, 4, v15
	v_and_b32_e32 v15, 0x30303030, v15
	v_and_or_b32 v4, v101, s16, v4
	v_and_or_b32 v5, v5, s11, v12
	v_and_or_b32 v12, v102, s16, v13
	v_and_or_b32 v13, v14, s11, v15
	v_and_b32_e32 v14, 0x3f00, v4
	v_lshlrev_b16_e32 v15, 8, v4
	v_and_b32_sdwa v101, v4, s17 dst_sel:DWORD dst_unused:UNUSED_PAD src0_sel:WORD_1 src1_sel:DWORD
	v_lshlrev_b16_sdwa v4, v205, v4 dst_sel:DWORD dst_unused:UNUSED_PAD src0_sel:DWORD src1_sel:WORD_1
	v_and_b32_e32 v102, 0x3f00, v5
	v_lshlrev_b16_e32 v103, 8, v5
	v_and_b32_sdwa v104, v5, s17 dst_sel:DWORD dst_unused:UNUSED_PAD src0_sel:WORD_1 src1_sel:DWORD
	v_lshlrev_b16_sdwa v5, v205, v5 dst_sel:DWORD dst_unused:UNUSED_PAD src0_sel:DWORD src1_sel:WORD_1
	;; [unrolled: 4-line block ×4, first 2 shown]
	v_add_u16_e32 v15, 0xe000, v15
	v_add_u16_e32 v4, 0xe000, v4
	;; [unrolled: 1-line block ×8, first 2 shown]
	v_or_b32_sdwa v14, v14, v15 dst_sel:DWORD dst_unused:UNUSED_PAD src0_sel:DWORD src1_sel:BYTE_1
	v_or_b32_sdwa v4, v101, v4 dst_sel:DWORD dst_unused:UNUSED_PAD src0_sel:DWORD src1_sel:BYTE_1
	;; [unrolled: 1-line block ×8, first 2 shown]
	v_add_u16_e32 v14, 0xe000, v14
	v_add_u16_sdwa v4, v4, s18 dst_sel:WORD_1 dst_unused:UNUSED_PAD src0_sel:DWORD src1_sel:DWORD
	v_add_u16_e32 v15, 0xe000, v15
	v_add_u16_sdwa v5, v5, s18 dst_sel:WORD_1 dst_unused:UNUSED_PAD src0_sel:DWORD src1_sel:DWORD
	;; [unrolled: 2-line block ×4, first 2 shown]
	v_or_b32_e32 v4, v14, v4
	v_or_b32_e32 v5, v15, v5
	v_or_b32_e32 v12, v101, v12
	v_or_b32_e32 v13, v102, v13
	ds_write2_b32 v24, v4, v5 offset1:16
	ds_write2_b32 v28, v12, v13 offset1:16
	v_lshl_add_u64 v[4:5], v[6:7], 0, v[20:21]
	global_load_dword v10, v[10:11], off
	s_waitcnt vmcnt(4)
	v_and_b32_e32 v100, 0xf0f0f0f, v98
	global_load_dword v11, v[4:5], off offset:128
	s_waitcnt vmcnt(4)
	v_ashrrev_i32_e32 v5, v75, v99
	v_lshlrev_b32_e32 v6, 4, v5
	v_and_or_b32 v6, v6, s16, v100
	v_lshlrev_b16_e32 v12, 8, v6
	v_and_b32_e32 v7, 0x3f00, v6
	v_add_u16_e32 v12, 0xe000, v12
	v_or_b32_sdwa v7, v7, v12 dst_sel:DWORD dst_unused:UNUSED_PAD src0_sel:DWORD src1_sel:BYTE_1
	v_and_b32_sdwa v12, v6, s17 dst_sel:DWORD dst_unused:UNUSED_PAD src0_sel:WORD_1 src1_sel:DWORD
	v_lshlrev_b16_sdwa v6, v205, v6 dst_sel:DWORD dst_unused:UNUSED_PAD src0_sel:DWORD src1_sel:WORD_1
	v_add_u16_e32 v6, 0xe000, v6
	v_lshrrev_b32_e32 v4, 4, v98
	v_and_b32_e32 v5, 0x30303030, v5
	v_or_b32_sdwa v6, v12, v6 dst_sel:DWORD dst_unused:UNUSED_PAD src0_sel:DWORD src1_sel:BYTE_1
	v_add_u16_e32 v7, 0xe000, v7
	v_add_u16_sdwa v6, v6, s18 dst_sel:WORD_1 dst_unused:UNUSED_PAD src0_sel:DWORD src1_sel:DWORD
	v_and_or_b32 v4, v4, s11, v5
	v_or_b32_e32 v12, v7, v6
	v_lshlrev_b16_e32 v6, 8, v4
	v_and_b32_e32 v5, 0x3f00, v4
	v_add_u16_e32 v6, 0xe000, v6
	v_or_b32_sdwa v5, v5, v6 dst_sel:DWORD dst_unused:UNUSED_PAD src0_sel:DWORD src1_sel:BYTE_1
	v_add_u16_e32 v13, 0xe000, v5
	v_and_b32_sdwa v14, v4, s17 dst_sel:DWORD dst_unused:UNUSED_PAD src0_sel:WORD_1 src1_sel:DWORD
	v_lshlrev_b16_sdwa v15, v205, v4 dst_sel:DWORD dst_unused:UNUSED_PAD src0_sel:DWORD src1_sel:WORD_1
	v_mad_i64_i32 v[4:5], s[20:21], v42, s5, v[2:3]
	v_lshl_add_u64 v[6:7], v[4:5], 0, v[18:19]
	v_lshl_add_u64 v[4:5], v[4:5], 0, v[20:21]
	global_load_dword v98, v[6:7], off
	global_load_dword v99, v[4:5], off offset:128
	v_add_u16_e32 v4, 0xe000, v15
	v_or_b32_sdwa v4, v14, v4 dst_sel:DWORD dst_unused:UNUSED_PAD src0_sel:DWORD src1_sel:BYTE_1
	v_add_u16_sdwa v4, v4, s18 dst_sel:WORD_1 dst_unused:UNUSED_PAD src0_sel:DWORD src1_sel:DWORD
	s_waitcnt vmcnt(4)
	v_ashrrev_i32_e32 v6, v75, v9
	v_or_b32_e32 v4, v13, v4
	ds_write2_b32 v32, v12, v4 offset1:16
	v_and_b32_e32 v4, 0xf0f0f0f, v8
	v_lshlrev_b32_e32 v7, 4, v6
	v_and_or_b32 v4, v7, s16, v4
	v_lshrrev_b32_e32 v5, 4, v8
	v_lshlrev_b16_e32 v8, 8, v4
	v_and_b32_e32 v7, 0x3f00, v4
	v_add_u16_e32 v8, 0xe000, v8
	v_or_b32_sdwa v7, v7, v8 dst_sel:DWORD dst_unused:UNUSED_PAD src0_sel:DWORD src1_sel:BYTE_1
	v_and_b32_sdwa v8, v4, s17 dst_sel:DWORD dst_unused:UNUSED_PAD src0_sel:WORD_1 src1_sel:DWORD
	v_lshlrev_b16_sdwa v4, v205, v4 dst_sel:DWORD dst_unused:UNUSED_PAD src0_sel:DWORD src1_sel:WORD_1
	v_add_u16_e32 v4, 0xe000, v4
	v_or_b32_sdwa v4, v8, v4 dst_sel:DWORD dst_unused:UNUSED_PAD src0_sel:DWORD src1_sel:BYTE_1
	v_and_b32_e32 v6, 0x30303030, v6
	v_add_u16_e32 v7, 0xe000, v7
	v_add_u16_sdwa v4, v4, s18 dst_sel:WORD_1 dst_unused:UNUSED_PAD src0_sel:DWORD src1_sel:DWORD
	v_and_or_b32 v9, v5, s11, v6
	v_or_b32_e32 v8, v7, v4
	v_mad_i64_i32 v[4:5], s[20:21], v46, s5, v[2:3]
	v_lshl_add_u64 v[6:7], v[4:5], 0, v[18:19]
	global_load_dword v13, v[6:7], off
	v_lshlrev_b16_e32 v6, 8, v9
	v_and_b32_e32 v12, 0x3f00, v9
	v_add_u16_e32 v6, 0xe000, v6
	v_lshl_add_u64 v[4:5], v[4:5], 0, v[20:21]
	v_or_b32_sdwa v6, v12, v6 dst_sel:DWORD dst_unused:UNUSED_PAD src0_sel:DWORD src1_sel:BYTE_1
	global_load_dword v12, v[4:5], off offset:128
	v_and_b32_sdwa v7, v9, s17 dst_sel:DWORD dst_unused:UNUSED_PAD src0_sel:WORD_1 src1_sel:DWORD
	v_lshlrev_b16_sdwa v9, v205, v9 dst_sel:DWORD dst_unused:UNUSED_PAD src0_sel:DWORD src1_sel:WORD_1
	v_add_u16_e32 v4, 0xe000, v9
	v_or_b32_sdwa v4, v7, v4 dst_sel:DWORD dst_unused:UNUSED_PAD src0_sel:DWORD src1_sel:BYTE_1
	v_add_u16_e32 v6, 0xe000, v6
	v_add_u16_sdwa v4, v4, s18 dst_sel:WORD_1 dst_unused:UNUSED_PAD src0_sel:DWORD src1_sel:DWORD
	s_nop 0
	v_or_b32_e32 v4, v6, v4
	ds_write2_b32 v36, v8, v4 offset1:16
	v_mad_i64_i32 v[4:5], s[20:21], v50, s5, v[2:3]
	v_lshl_add_u64 v[6:7], v[4:5], 0, v[18:19]
	v_lshl_add_u64 v[4:5], v[4:5], 0, v[20:21]
	global_load_dword v8, v[6:7], off
	global_load_dword v9, v[4:5], off offset:128
	s_waitcnt vmcnt(7)
	v_and_b32_e32 v4, 0xf0f0f0f, v10
	v_lshrrev_b32_e32 v5, 4, v10
	s_waitcnt vmcnt(6)
	v_ashrrev_i32_e32 v6, v75, v11
	v_lshlrev_b32_e32 v7, 4, v6
	v_and_or_b32 v4, v7, s16, v4
	v_lshlrev_b16_e32 v10, 8, v4
	v_and_b32_e32 v7, 0x3f00, v4
	v_add_u16_e32 v10, 0xe000, v10
	v_or_b32_sdwa v7, v7, v10 dst_sel:DWORD dst_unused:UNUSED_PAD src0_sel:DWORD src1_sel:BYTE_1
	v_and_b32_sdwa v10, v4, s17 dst_sel:DWORD dst_unused:UNUSED_PAD src0_sel:WORD_1 src1_sel:DWORD
	v_lshlrev_b16_sdwa v4, v205, v4 dst_sel:DWORD dst_unused:UNUSED_PAD src0_sel:DWORD src1_sel:WORD_1
	v_add_u16_e32 v4, 0xe000, v4
	v_and_b32_e32 v6, 0x30303030, v6
	v_or_b32_sdwa v4, v10, v4 dst_sel:DWORD dst_unused:UNUSED_PAD src0_sel:DWORD src1_sel:BYTE_1
	v_add_u16_e32 v7, 0xe000, v7
	v_add_u16_sdwa v4, v4, s18 dst_sel:WORD_1 dst_unused:UNUSED_PAD src0_sel:DWORD src1_sel:DWORD
	v_and_or_b32 v5, v5, s11, v6
	v_or_b32_e32 v4, v7, v4
	v_lshlrev_b16_e32 v7, 8, v5
	v_and_b32_e32 v6, 0x3f00, v5
	v_add_u16_e32 v7, 0xe000, v7
	v_or_b32_sdwa v6, v6, v7 dst_sel:DWORD dst_unused:UNUSED_PAD src0_sel:DWORD src1_sel:BYTE_1
	v_and_b32_sdwa v7, v5, s17 dst_sel:DWORD dst_unused:UNUSED_PAD src0_sel:WORD_1 src1_sel:DWORD
	v_lshlrev_b16_sdwa v5, v205, v5 dst_sel:DWORD dst_unused:UNUSED_PAD src0_sel:DWORD src1_sel:WORD_1
	v_add_u16_e32 v5, 0xe000, v5
	v_or_b32_sdwa v5, v7, v5 dst_sel:DWORD dst_unused:UNUSED_PAD src0_sel:DWORD src1_sel:BYTE_1
	v_add_u16_e32 v6, 0xe000, v6
	v_add_u16_sdwa v5, v5, s18 dst_sel:WORD_1 dst_unused:UNUSED_PAD src0_sel:DWORD src1_sel:DWORD
	s_nop 0
	v_or_b32_e32 v5, v6, v5
	ds_write2_b32 v40, v4, v5 offset1:16
	s_waitcnt vmcnt(5)
	v_and_b32_e32 v4, 0xf0f0f0f, v98
	s_waitcnt vmcnt(4)
	v_ashrrev_i32_e32 v6, v75, v99
	v_lshlrev_b32_e32 v7, 4, v6
	v_and_or_b32 v4, v7, s16, v4
	v_lshlrev_b16_e32 v10, 8, v4
	v_and_b32_e32 v7, 0x3f00, v4
	v_add_u16_e32 v10, 0xe000, v10
	v_or_b32_sdwa v7, v7, v10 dst_sel:DWORD dst_unused:UNUSED_PAD src0_sel:DWORD src1_sel:BYTE_1
	v_and_b32_sdwa v10, v4, s17 dst_sel:DWORD dst_unused:UNUSED_PAD src0_sel:WORD_1 src1_sel:DWORD
	v_lshlrev_b16_sdwa v4, v205, v4 dst_sel:DWORD dst_unused:UNUSED_PAD src0_sel:DWORD src1_sel:WORD_1
	v_add_u16_e32 v4, 0xe000, v4
	v_lshrrev_b32_e32 v5, 4, v98
	v_and_b32_e32 v6, 0x30303030, v6
	v_or_b32_sdwa v4, v10, v4 dst_sel:DWORD dst_unused:UNUSED_PAD src0_sel:DWORD src1_sel:BYTE_1
	v_add_u16_e32 v7, 0xe000, v7
	v_add_u16_sdwa v4, v4, s18 dst_sel:WORD_1 dst_unused:UNUSED_PAD src0_sel:DWORD src1_sel:DWORD
	v_and_or_b32 v5, v5, s11, v6
	v_or_b32_e32 v4, v7, v4
	v_lshlrev_b16_e32 v7, 8, v5
	v_and_b32_e32 v6, 0x3f00, v5
	v_add_u16_e32 v7, 0xe000, v7
	v_or_b32_sdwa v6, v6, v7 dst_sel:DWORD dst_unused:UNUSED_PAD src0_sel:DWORD src1_sel:BYTE_1
	v_and_b32_sdwa v7, v5, s17 dst_sel:DWORD dst_unused:UNUSED_PAD src0_sel:WORD_1 src1_sel:DWORD
	v_lshlrev_b16_sdwa v5, v205, v5 dst_sel:DWORD dst_unused:UNUSED_PAD src0_sel:DWORD src1_sel:WORD_1
	v_add_u16_e32 v5, 0xe000, v5
	v_or_b32_sdwa v5, v7, v5 dst_sel:DWORD dst_unused:UNUSED_PAD src0_sel:DWORD src1_sel:BYTE_1
	v_add_u16_e32 v6, 0xe000, v6
	v_add_u16_sdwa v5, v5, s18 dst_sel:WORD_1 dst_unused:UNUSED_PAD src0_sel:DWORD src1_sel:DWORD
	s_waitcnt vmcnt(3)
	v_and_b32_e32 v10, 0xf0f0f0f, v13
	v_or_b32_e32 v5, v6, v5
	ds_write2_b32 v44, v4, v5 offset1:16
	v_mad_i64_i32 v[4:5], s[20:21], v54, s5, v[2:3]
	v_lshl_add_u64 v[6:7], v[4:5], 0, v[18:19]
	v_lshl_add_u64 v[4:5], v[4:5], 0, v[20:21]
	global_load_dword v11, v[6:7], off
	global_load_dword v14, v[4:5], off offset:128
	s_waitcnt vmcnt(4)
	v_ashrrev_i32_e32 v5, v75, v12
	v_lshlrev_b32_e32 v6, 4, v5
	v_and_or_b32 v6, v6, s16, v10
	v_lshlrev_b16_e32 v10, 8, v6
	v_and_b32_e32 v7, 0x3f00, v6
	v_add_u16_e32 v10, 0xe000, v10
	v_or_b32_sdwa v7, v7, v10 dst_sel:DWORD dst_unused:UNUSED_PAD src0_sel:DWORD src1_sel:BYTE_1
	v_and_b32_sdwa v10, v6, s17 dst_sel:DWORD dst_unused:UNUSED_PAD src0_sel:WORD_1 src1_sel:DWORD
	v_lshlrev_b16_sdwa v6, v205, v6 dst_sel:DWORD dst_unused:UNUSED_PAD src0_sel:DWORD src1_sel:WORD_1
	v_add_u16_e32 v6, 0xe000, v6
	v_lshrrev_b32_e32 v4, 4, v13
	v_and_b32_e32 v5, 0x30303030, v5
	v_or_b32_sdwa v6, v10, v6 dst_sel:DWORD dst_unused:UNUSED_PAD src0_sel:DWORD src1_sel:BYTE_1
	v_add_u16_e32 v7, 0xe000, v7
	v_add_u16_sdwa v6, v6, s18 dst_sel:WORD_1 dst_unused:UNUSED_PAD src0_sel:DWORD src1_sel:DWORD
	v_and_or_b32 v4, v4, s11, v5
	v_or_b32_e32 v10, v7, v6
	v_lshlrev_b16_e32 v6, 8, v4
	v_and_b32_e32 v5, 0x3f00, v4
	v_add_u16_e32 v6, 0xe000, v6
	v_or_b32_sdwa v5, v5, v6 dst_sel:DWORD dst_unused:UNUSED_PAD src0_sel:DWORD src1_sel:BYTE_1
	v_add_u16_e32 v12, 0xe000, v5
	v_and_b32_sdwa v13, v4, s17 dst_sel:DWORD dst_unused:UNUSED_PAD src0_sel:WORD_1 src1_sel:DWORD
	v_lshlrev_b16_sdwa v15, v205, v4 dst_sel:DWORD dst_unused:UNUSED_PAD src0_sel:DWORD src1_sel:WORD_1
	v_mad_i64_i32 v[4:5], s[20:21], v58, s5, v[2:3]
	v_lshl_add_u64 v[6:7], v[4:5], 0, v[18:19]
	v_lshl_add_u64 v[4:5], v[4:5], 0, v[20:21]
	global_load_dword v98, v[6:7], off
	global_load_dword v99, v[4:5], off offset:128
	v_add_u16_e32 v4, 0xe000, v15
	v_or_b32_sdwa v4, v13, v4 dst_sel:DWORD dst_unused:UNUSED_PAD src0_sel:DWORD src1_sel:BYTE_1
	v_add_u16_sdwa v4, v4, s18 dst_sel:WORD_1 dst_unused:UNUSED_PAD src0_sel:DWORD src1_sel:DWORD
	s_waitcnt vmcnt(4)
	v_ashrrev_i32_e32 v6, v75, v9
	v_or_b32_e32 v4, v12, v4
	ds_write2_b32 v48, v10, v4 offset1:16
	v_and_b32_e32 v4, 0xf0f0f0f, v8
	v_lshlrev_b32_e32 v7, 4, v6
	v_and_or_b32 v4, v7, s16, v4
	v_lshrrev_b32_e32 v5, 4, v8
	v_lshlrev_b16_e32 v8, 8, v4
	v_and_b32_e32 v7, 0x3f00, v4
	v_add_u16_e32 v8, 0xe000, v8
	v_or_b32_sdwa v7, v7, v8 dst_sel:DWORD dst_unused:UNUSED_PAD src0_sel:DWORD src1_sel:BYTE_1
	v_and_b32_sdwa v8, v4, s17 dst_sel:DWORD dst_unused:UNUSED_PAD src0_sel:WORD_1 src1_sel:DWORD
	v_lshlrev_b16_sdwa v4, v205, v4 dst_sel:DWORD dst_unused:UNUSED_PAD src0_sel:DWORD src1_sel:WORD_1
	v_add_u16_e32 v4, 0xe000, v4
	v_or_b32_sdwa v4, v8, v4 dst_sel:DWORD dst_unused:UNUSED_PAD src0_sel:DWORD src1_sel:BYTE_1
	v_and_b32_e32 v6, 0x30303030, v6
	v_add_u16_e32 v7, 0xe000, v7
	v_add_u16_sdwa v4, v4, s18 dst_sel:WORD_1 dst_unused:UNUSED_PAD src0_sel:DWORD src1_sel:DWORD
	v_and_or_b32 v9, v5, s11, v6
	v_or_b32_e32 v8, v7, v4
	v_mad_i64_i32 v[4:5], s[20:21], v62, s5, v[2:3]
	v_lshl_add_u64 v[6:7], v[4:5], 0, v[18:19]
	global_load_dword v12, v[6:7], off
	v_lshlrev_b16_e32 v6, 8, v9
	v_and_b32_e32 v10, 0x3f00, v9
	v_add_u16_e32 v6, 0xe000, v6
	v_lshl_add_u64 v[4:5], v[4:5], 0, v[20:21]
	v_or_b32_sdwa v6, v10, v6 dst_sel:DWORD dst_unused:UNUSED_PAD src0_sel:DWORD src1_sel:BYTE_1
	global_load_dword v10, v[4:5], off offset:128
	v_and_b32_sdwa v7, v9, s17 dst_sel:DWORD dst_unused:UNUSED_PAD src0_sel:WORD_1 src1_sel:DWORD
	v_lshlrev_b16_sdwa v9, v205, v9 dst_sel:DWORD dst_unused:UNUSED_PAD src0_sel:DWORD src1_sel:WORD_1
	v_add_u16_e32 v4, 0xe000, v9
	v_or_b32_sdwa v4, v7, v4 dst_sel:DWORD dst_unused:UNUSED_PAD src0_sel:DWORD src1_sel:BYTE_1
	v_add_u16_e32 v6, 0xe000, v6
	v_add_u16_sdwa v4, v4, s18 dst_sel:WORD_1 dst_unused:UNUSED_PAD src0_sel:DWORD src1_sel:DWORD
	s_nop 0
	v_or_b32_e32 v4, v6, v4
	ds_write2_b32 v52, v8, v4 offset1:16
	v_mad_i64_i32 v[4:5], s[20:21], v66, s5, v[2:3]
	v_lshl_add_u64 v[6:7], v[4:5], 0, v[18:19]
	v_lshl_add_u64 v[4:5], v[4:5], 0, v[20:21]
	global_load_dword v8, v[6:7], off
	global_load_dword v9, v[4:5], off offset:128
	s_waitcnt vmcnt(7)
	v_and_b32_e32 v4, 0xf0f0f0f, v11
	s_waitcnt vmcnt(6)
	v_ashrrev_i32_e32 v6, v75, v14
	v_lshlrev_b32_e32 v7, 4, v6
	v_and_or_b32 v4, v7, s16, v4
	v_lshrrev_b32_e32 v5, 4, v11
	v_lshlrev_b16_e32 v11, 8, v4
	v_and_b32_e32 v7, 0x3f00, v4
	v_add_u16_e32 v11, 0xe000, v11
	v_or_b32_sdwa v7, v7, v11 dst_sel:DWORD dst_unused:UNUSED_PAD src0_sel:DWORD src1_sel:BYTE_1
	v_and_b32_sdwa v11, v4, s17 dst_sel:DWORD dst_unused:UNUSED_PAD src0_sel:WORD_1 src1_sel:DWORD
	v_lshlrev_b16_sdwa v4, v205, v4 dst_sel:DWORD dst_unused:UNUSED_PAD src0_sel:DWORD src1_sel:WORD_1
	v_add_u16_e32 v4, 0xe000, v4
	v_and_b32_e32 v6, 0x30303030, v6
	v_or_b32_sdwa v4, v11, v4 dst_sel:DWORD dst_unused:UNUSED_PAD src0_sel:DWORD src1_sel:BYTE_1
	v_add_u16_e32 v7, 0xe000, v7
	v_add_u16_sdwa v4, v4, s18 dst_sel:WORD_1 dst_unused:UNUSED_PAD src0_sel:DWORD src1_sel:DWORD
	v_and_or_b32 v5, v5, s11, v6
	v_or_b32_e32 v4, v7, v4
	v_lshlrev_b16_e32 v7, 8, v5
	v_and_b32_e32 v6, 0x3f00, v5
	v_add_u16_e32 v7, 0xe000, v7
	v_or_b32_sdwa v6, v6, v7 dst_sel:DWORD dst_unused:UNUSED_PAD src0_sel:DWORD src1_sel:BYTE_1
	v_and_b32_sdwa v7, v5, s17 dst_sel:DWORD dst_unused:UNUSED_PAD src0_sel:WORD_1 src1_sel:DWORD
	v_lshlrev_b16_sdwa v5, v205, v5 dst_sel:DWORD dst_unused:UNUSED_PAD src0_sel:DWORD src1_sel:WORD_1
	v_add_u16_e32 v5, 0xe000, v5
	v_or_b32_sdwa v5, v7, v5 dst_sel:DWORD dst_unused:UNUSED_PAD src0_sel:DWORD src1_sel:BYTE_1
	v_add_u16_e32 v6, 0xe000, v6
	v_add_u16_sdwa v5, v5, s18 dst_sel:WORD_1 dst_unused:UNUSED_PAD src0_sel:DWORD src1_sel:DWORD
	s_nop 0
	v_or_b32_e32 v5, v6, v5
	ds_write2_b32 v56, v4, v5 offset1:16
	s_waitcnt vmcnt(4)
	v_ashrrev_i32_e32 v6, v75, v99
	v_and_b32_e32 v4, 0xf0f0f0f, v98
	v_lshlrev_b32_e32 v7, 4, v6
	v_and_or_b32 v4, v7, s16, v4
	v_lshlrev_b16_e32 v11, 8, v4
	v_and_b32_e32 v7, 0x3f00, v4
	v_add_u16_e32 v11, 0xe000, v11
	v_or_b32_sdwa v7, v7, v11 dst_sel:DWORD dst_unused:UNUSED_PAD src0_sel:DWORD src1_sel:BYTE_1
	v_and_b32_sdwa v11, v4, s17 dst_sel:DWORD dst_unused:UNUSED_PAD src0_sel:WORD_1 src1_sel:DWORD
	v_lshlrev_b16_sdwa v4, v205, v4 dst_sel:DWORD dst_unused:UNUSED_PAD src0_sel:DWORD src1_sel:WORD_1
	v_add_u16_e32 v4, 0xe000, v4
	v_lshrrev_b32_e32 v5, 4, v98
	v_and_b32_e32 v6, 0x30303030, v6
	v_or_b32_sdwa v4, v11, v4 dst_sel:DWORD dst_unused:UNUSED_PAD src0_sel:DWORD src1_sel:BYTE_1
	v_add_u16_e32 v7, 0xe000, v7
	v_add_u16_sdwa v4, v4, s18 dst_sel:WORD_1 dst_unused:UNUSED_PAD src0_sel:DWORD src1_sel:DWORD
	v_and_or_b32 v5, v5, s11, v6
	v_or_b32_e32 v4, v7, v4
	v_lshlrev_b16_e32 v7, 8, v5
	v_and_b32_e32 v6, 0x3f00, v5
	v_add_u16_e32 v7, 0xe000, v7
	v_or_b32_sdwa v6, v6, v7 dst_sel:DWORD dst_unused:UNUSED_PAD src0_sel:DWORD src1_sel:BYTE_1
	v_and_b32_sdwa v7, v5, s17 dst_sel:DWORD dst_unused:UNUSED_PAD src0_sel:WORD_1 src1_sel:DWORD
	v_lshlrev_b16_sdwa v5, v205, v5 dst_sel:DWORD dst_unused:UNUSED_PAD src0_sel:DWORD src1_sel:WORD_1
	v_add_u16_e32 v5, 0xe000, v5
	v_or_b32_sdwa v5, v7, v5 dst_sel:DWORD dst_unused:UNUSED_PAD src0_sel:DWORD src1_sel:BYTE_1
	v_add_u16_e32 v6, 0xe000, v6
	v_add_u16_sdwa v5, v5, s18 dst_sel:WORD_1 dst_unused:UNUSED_PAD src0_sel:DWORD src1_sel:DWORD
	s_waitcnt vmcnt(3)
	v_and_b32_e32 v11, 0xf0f0f0f, v12
	v_or_b32_e32 v5, v6, v5
	ds_write2_b32 v60, v4, v5 offset1:16
	v_mad_i64_i32 v[4:5], s[20:21], v70, s5, v[2:3]
	v_lshl_add_u64 v[6:7], v[4:5], 0, v[18:19]
	v_lshl_add_u64 v[4:5], v[4:5], 0, v[20:21]
	global_load_dword v13, v[6:7], off
	global_load_dword v14, v[4:5], off offset:128
	s_waitcnt vmcnt(4)
	v_ashrrev_i32_e32 v5, v75, v10
	v_lshlrev_b32_e32 v6, 4, v5
	v_and_or_b32 v6, v6, s16, v11
	v_lshlrev_b16_e32 v10, 8, v6
	v_and_b32_e32 v7, 0x3f00, v6
	v_add_u16_e32 v10, 0xe000, v10
	v_or_b32_sdwa v7, v7, v10 dst_sel:DWORD dst_unused:UNUSED_PAD src0_sel:DWORD src1_sel:BYTE_1
	v_and_b32_sdwa v10, v6, s17 dst_sel:DWORD dst_unused:UNUSED_PAD src0_sel:WORD_1 src1_sel:DWORD
	v_lshlrev_b16_sdwa v6, v205, v6 dst_sel:DWORD dst_unused:UNUSED_PAD src0_sel:DWORD src1_sel:WORD_1
	v_add_u16_e32 v6, 0xe000, v6
	v_lshrrev_b32_e32 v4, 4, v12
	v_and_b32_e32 v5, 0x30303030, v5
	v_or_b32_sdwa v6, v10, v6 dst_sel:DWORD dst_unused:UNUSED_PAD src0_sel:DWORD src1_sel:BYTE_1
	v_add_u16_e32 v7, 0xe000, v7
	v_add_u16_sdwa v6, v6, s18 dst_sel:WORD_1 dst_unused:UNUSED_PAD src0_sel:DWORD src1_sel:DWORD
	v_and_or_b32 v4, v4, s11, v5
	v_or_b32_e32 v10, v7, v6
	v_lshlrev_b16_e32 v6, 8, v4
	v_and_b32_e32 v5, 0x3f00, v4
	v_add_u16_e32 v6, 0xe000, v6
	v_or_b32_sdwa v5, v5, v6 dst_sel:DWORD dst_unused:UNUSED_PAD src0_sel:DWORD src1_sel:BYTE_1
	v_add_u16_e32 v11, 0xe000, v5
	v_and_b32_sdwa v12, v4, s17 dst_sel:DWORD dst_unused:UNUSED_PAD src0_sel:WORD_1 src1_sel:DWORD
	v_lshlrev_b16_sdwa v15, v205, v4 dst_sel:DWORD dst_unused:UNUSED_PAD src0_sel:DWORD src1_sel:WORD_1
	v_mad_i64_i32 v[4:5], s[20:21], v74, s5, v[2:3]
	v_lshl_add_u64 v[6:7], v[4:5], 0, v[18:19]
	v_lshl_add_u64 v[4:5], v[4:5], 0, v[20:21]
	global_load_dword v98, v[6:7], off
	global_load_dword v99, v[4:5], off offset:128
	v_add_u16_e32 v4, 0xe000, v15
	v_or_b32_sdwa v4, v12, v4 dst_sel:DWORD dst_unused:UNUSED_PAD src0_sel:DWORD src1_sel:BYTE_1
	v_add_u16_sdwa v4, v4, s18 dst_sel:WORD_1 dst_unused:UNUSED_PAD src0_sel:DWORD src1_sel:DWORD
	s_waitcnt vmcnt(4)
	v_ashrrev_i32_e32 v6, v75, v9
	v_or_b32_e32 v4, v11, v4
	ds_write2_b32 v64, v10, v4 offset1:16
	v_and_b32_e32 v4, 0xf0f0f0f, v8
	v_lshlrev_b32_e32 v7, 4, v6
	v_and_or_b32 v4, v7, s16, v4
	v_lshrrev_b32_e32 v5, 4, v8
	v_lshlrev_b16_e32 v8, 8, v4
	v_and_b32_e32 v7, 0x3f00, v4
	v_add_u16_e32 v8, 0xe000, v8
	v_or_b32_sdwa v7, v7, v8 dst_sel:DWORD dst_unused:UNUSED_PAD src0_sel:DWORD src1_sel:BYTE_1
	v_and_b32_sdwa v8, v4, s17 dst_sel:DWORD dst_unused:UNUSED_PAD src0_sel:WORD_1 src1_sel:DWORD
	v_lshlrev_b16_sdwa v4, v205, v4 dst_sel:DWORD dst_unused:UNUSED_PAD src0_sel:DWORD src1_sel:WORD_1
	v_add_u16_e32 v4, 0xe000, v4
	v_and_b32_e32 v6, 0x30303030, v6
	v_or_b32_sdwa v4, v8, v4 dst_sel:DWORD dst_unused:UNUSED_PAD src0_sel:DWORD src1_sel:BYTE_1
	v_add_u16_e32 v7, 0xe000, v7
	v_add_u16_sdwa v4, v4, s18 dst_sel:WORD_1 dst_unused:UNUSED_PAD src0_sel:DWORD src1_sel:DWORD
	v_and_or_b32 v5, v5, s11, v6
	v_or_b32_e32 v4, v7, v4
	v_lshlrev_b16_e32 v7, 8, v5
	v_and_b32_e32 v6, 0x3f00, v5
	v_add_u16_e32 v7, 0xe000, v7
	v_or_b32_sdwa v6, v6, v7 dst_sel:DWORD dst_unused:UNUSED_PAD src0_sel:DWORD src1_sel:BYTE_1
	v_and_b32_sdwa v7, v5, s17 dst_sel:DWORD dst_unused:UNUSED_PAD src0_sel:WORD_1 src1_sel:DWORD
	v_lshlrev_b16_sdwa v5, v205, v5 dst_sel:DWORD dst_unused:UNUSED_PAD src0_sel:DWORD src1_sel:WORD_1
	v_add_u16_e32 v5, 0xe000, v5
	v_or_b32_sdwa v5, v7, v5 dst_sel:DWORD dst_unused:UNUSED_PAD src0_sel:DWORD src1_sel:BYTE_1
	v_add_u16_e32 v6, 0xe000, v6
	v_add_u16_sdwa v5, v5, s18 dst_sel:WORD_1 dst_unused:UNUSED_PAD src0_sel:DWORD src1_sel:DWORD
	s_nop 0
	v_or_b32_e32 v5, v6, v5
	ds_write2_b32 v68, v4, v5 offset1:16
	v_mad_i64_i32 v[4:5], s[20:21], v78, s5, v[2:3]
	v_lshl_add_u64 v[6:7], v[4:5], 0, v[18:19]
	v_lshl_add_u64 v[4:5], v[4:5], 0, v[20:21]
	v_mad_i64_i32 v[2:3], s[20:21], v82, s5, v[2:3]
	v_lshl_add_u64 v[8:9], v[2:3], 0, v[18:19]
	v_lshl_add_u64 v[2:3], v[2:3], 0, v[20:21]
	global_load_dword v100, v[6:7], off
	global_load_dword v101, v[4:5], off offset:128
	global_load_dword v102, v[8:9], off
	global_load_dword v103, v[2:3], off offset:128
	s_mov_b32 s21, 0
	s_waitcnt vmcnt(7)
	v_and_b32_e32 v2, 0xf0f0f0f, v13
	s_waitcnt vmcnt(6)
	v_ashrrev_i32_e32 v4, v75, v14
	v_lshlrev_b32_e32 v5, 4, v4
	v_and_or_b32 v2, v5, s16, v2
	v_lshlrev_b16_e32 v6, 8, v2
	v_and_b32_e32 v5, 0x3f00, v2
	v_add_u16_e32 v6, 0xe000, v6
	v_or_b32_sdwa v5, v5, v6 dst_sel:DWORD dst_unused:UNUSED_PAD src0_sel:DWORD src1_sel:BYTE_1
	v_and_b32_sdwa v6, v2, s17 dst_sel:DWORD dst_unused:UNUSED_PAD src0_sel:WORD_1 src1_sel:DWORD
	v_lshlrev_b16_sdwa v2, v205, v2 dst_sel:DWORD dst_unused:UNUSED_PAD src0_sel:DWORD src1_sel:WORD_1
	v_add_u16_e32 v2, 0xe000, v2
	v_lshrrev_b32_e32 v3, 4, v13
	v_and_b32_e32 v4, 0x30303030, v4
	v_or_b32_sdwa v2, v6, v2 dst_sel:DWORD dst_unused:UNUSED_PAD src0_sel:DWORD src1_sel:BYTE_1
	v_add_u16_e32 v5, 0xe000, v5
	v_add_u16_sdwa v2, v2, s18 dst_sel:WORD_1 dst_unused:UNUSED_PAD src0_sel:DWORD src1_sel:DWORD
	v_and_or_b32 v3, v3, s11, v4
	v_or_b32_e32 v2, v5, v2
	v_lshlrev_b16_e32 v5, 8, v3
	v_and_b32_e32 v4, 0x3f00, v3
	v_add_u16_e32 v5, 0xe000, v5
	v_or_b32_sdwa v4, v4, v5 dst_sel:DWORD dst_unused:UNUSED_PAD src0_sel:DWORD src1_sel:BYTE_1
	v_and_b32_sdwa v5, v3, s17 dst_sel:DWORD dst_unused:UNUSED_PAD src0_sel:WORD_1 src1_sel:DWORD
	v_lshlrev_b16_sdwa v3, v205, v3 dst_sel:DWORD dst_unused:UNUSED_PAD src0_sel:DWORD src1_sel:WORD_1
	v_add_u16_e32 v3, 0xe000, v3
	v_or_b32_sdwa v3, v5, v3 dst_sel:DWORD dst_unused:UNUSED_PAD src0_sel:DWORD src1_sel:BYTE_1
	v_add_u16_e32 v4, 0xe000, v4
	v_add_u16_sdwa v3, v3, s18 dst_sel:WORD_1 dst_unused:UNUSED_PAD src0_sel:DWORD src1_sel:DWORD
	v_add_u32_e32 v14, s19, v165
	v_or_b32_e32 v3, v4, v3
	ds_write2_b32 v72, v2, v3 offset1:16
	s_waitcnt vmcnt(4)
	v_ashrrev_i32_e32 v4, v75, v99
	v_and_b32_e32 v2, 0xf0f0f0f, v98
	v_lshlrev_b32_e32 v5, 4, v4
	v_and_or_b32 v2, v5, s16, v2
	v_lshlrev_b16_e32 v6, 8, v2
	v_and_b32_e32 v5, 0x3f00, v2
	v_add_u16_e32 v6, 0xe000, v6
	v_or_b32_sdwa v5, v5, v6 dst_sel:DWORD dst_unused:UNUSED_PAD src0_sel:DWORD src1_sel:BYTE_1
	v_and_b32_sdwa v6, v2, s17 dst_sel:DWORD dst_unused:UNUSED_PAD src0_sel:WORD_1 src1_sel:DWORD
	v_lshlrev_b16_sdwa v2, v205, v2 dst_sel:DWORD dst_unused:UNUSED_PAD src0_sel:DWORD src1_sel:WORD_1
	v_lshrrev_b32_e32 v3, 4, v98
	v_and_b32_e32 v4, 0x30303030, v4
	v_add_u16_e32 v2, 0xe000, v2
	v_or_b32_sdwa v2, v6, v2 dst_sel:DWORD dst_unused:UNUSED_PAD src0_sel:DWORD src1_sel:BYTE_1
	v_and_or_b32 v105, v3, s11, v4
	v_add_u16_e32 v5, 0xe000, v5
	v_add_u16_sdwa v2, v2, s18 dst_sel:WORD_1 dst_unused:UNUSED_PAD src0_sel:DWORD src1_sel:DWORD
	v_lshlrev_b16_e32 v3, 8, v105
	v_or_b32_e32 v104, v5, v2
	v_and_b32_e32 v2, 0x3f00, v105
	v_add_u16_e32 v3, 0xe000, v3
	v_or_b32_sdwa v2, v2, v3 dst_sel:DWORD dst_unused:UNUSED_PAD src0_sel:DWORD src1_sel:BYTE_1
	v_add_u16_e32 v106, 0xe000, v2
	v_lshl_add_u64 v[2:3], s[0:1], 0, v[88:89]
	v_mad_i64_i32 v[4:5], s[0:1], v90, s5, v[2:3]
	v_mad_i64_i32 v[2:3], s[0:1], v92, s5, v[2:3]
	global_load_ushort v107, v[0:1], off offset:208
	global_load_dword v108, v[4:5], off offset:192
	global_load_dword v109, v[2:3], off offset:192
	v_add_u32_e32 v0, v14, v166
	v_add_u32_e32 v2, v14, v169
	;; [unrolled: 1-line block ×5, first 2 shown]
	v_mad_i64_i32 v[0:1], s[0:1], v0, 36, v[94:95]
	v_mad_i64_i32 v[2:3], s[0:1], v2, 36, v[94:95]
	;; [unrolled: 1-line block ×5, first 2 shown]
	v_add_u32_e32 v10, v14, v181
	v_add_u32_e32 v12, v14, v184
	;; [unrolled: 1-line block ×3, first 2 shown]
	v_mad_i64_i32 v[10:11], s[0:1], v10, 36, v[94:95]
	v_mad_i64_i32 v[12:13], s[0:1], v12, 36, v[94:95]
	;; [unrolled: 1-line block ×3, first 2 shown]
	v_mad_u64_u32 v[98:99], s[0:1], v206, 36, s[2:3]
	global_load_dword v0, v[0:1], off offset:4
	s_nop 0
	global_load_dword v1, v[2:3], off offset:4
	s_nop 0
	global_load_dword v2, v[4:5], off offset:4
	global_load_dword v3, v[6:7], off offset:4
	s_nop 0
	global_load_dword v4, v[8:9], off offset:4
	global_load_dword v5, v[98:99], off
	global_load_dword v6, v[10:11], off offset:4
	global_load_dword v7, v[12:13], off offset:4
	s_nop 0
	global_load_dword v8, v[14:15], off offset:4
	v_lshlrev_b16_sdwa v10, v205, v105 dst_sel:DWORD dst_unused:UNUSED_PAD src0_sel:DWORD src1_sel:WORD_1
	v_and_b32_sdwa v9, v105, s17 dst_sel:DWORD dst_unused:UNUSED_PAD src0_sel:WORD_1 src1_sel:DWORD
	v_add_u16_e32 v10, 0xe000, v10
	v_or_b32_sdwa v9, v9, v10 dst_sel:DWORD dst_unused:UNUSED_PAD src0_sel:DWORD src1_sel:BYTE_1
	v_add_u16_sdwa v9, v9, s18 dst_sel:WORD_1 dst_unused:UNUSED_PAD src0_sel:DWORD src1_sel:DWORD
	s_waitcnt vmcnt(14)
	v_ashrrev_i32_e32 v11, v75, v101
	v_or_b32_e32 v9, v106, v9
	ds_write2_b32 v76, v104, v9 offset1:16
	v_and_b32_e32 v9, 0xf0f0f0f, v100
	v_lshlrev_b32_e32 v12, 4, v11
	v_and_or_b32 v9, v12, s16, v9
	v_lshlrev_b16_e32 v13, 8, v9
	v_and_b32_e32 v12, 0x3f00, v9
	v_add_u16_e32 v13, 0xe000, v13
	v_or_b32_sdwa v12, v12, v13 dst_sel:DWORD dst_unused:UNUSED_PAD src0_sel:DWORD src1_sel:BYTE_1
	v_and_b32_sdwa v13, v9, s17 dst_sel:DWORD dst_unused:UNUSED_PAD src0_sel:WORD_1 src1_sel:DWORD
	v_lshlrev_b16_sdwa v9, v205, v9 dst_sel:DWORD dst_unused:UNUSED_PAD src0_sel:DWORD src1_sel:WORD_1
	v_add_u16_e32 v9, 0xe000, v9
	v_lshrrev_b32_e32 v10, 4, v100
	v_and_b32_e32 v11, 0x30303030, v11
	v_or_b32_sdwa v9, v13, v9 dst_sel:DWORD dst_unused:UNUSED_PAD src0_sel:DWORD src1_sel:BYTE_1
	v_add_u16_e32 v12, 0xe000, v12
	v_add_u16_sdwa v9, v9, s18 dst_sel:WORD_1 dst_unused:UNUSED_PAD src0_sel:DWORD src1_sel:DWORD
	v_and_or_b32 v10, v10, s11, v11
	v_or_b32_e32 v9, v12, v9
	v_lshlrev_b16_e32 v12, 8, v10
	v_and_b32_e32 v11, 0x3f00, v10
	v_add_u16_e32 v12, 0xe000, v12
	v_or_b32_sdwa v11, v11, v12 dst_sel:DWORD dst_unused:UNUSED_PAD src0_sel:DWORD src1_sel:BYTE_1
	v_and_b32_sdwa v12, v10, s17 dst_sel:DWORD dst_unused:UNUSED_PAD src0_sel:WORD_1 src1_sel:DWORD
	v_lshlrev_b16_sdwa v10, v205, v10 dst_sel:DWORD dst_unused:UNUSED_PAD src0_sel:DWORD src1_sel:WORD_1
	v_add_u16_e32 v10, 0xe000, v10
	v_or_b32_sdwa v10, v12, v10 dst_sel:DWORD dst_unused:UNUSED_PAD src0_sel:DWORD src1_sel:BYTE_1
	v_add_u16_e32 v11, 0xe000, v11
	v_add_u16_sdwa v10, v10, s18 dst_sel:WORD_1 dst_unused:UNUSED_PAD src0_sel:DWORD src1_sel:DWORD
	s_mov_b64 s[0:1], -1
	v_or_b32_e32 v10, v11, v10
	s_waitcnt vmcnt(12)
	v_ashrrev_i32_e32 v11, v75, v103
	ds_write2_b32 v80, v9, v10 offset1:16
	v_and_b32_e32 v9, 0xf0f0f0f, v102
	v_lshlrev_b32_e32 v12, 4, v11
	v_and_or_b32 v9, v12, s16, v9
	v_lshlrev_b16_e32 v13, 8, v9
	v_and_b32_e32 v12, 0x3f00, v9
	v_add_u16_e32 v13, 0xe000, v13
	v_or_b32_sdwa v12, v12, v13 dst_sel:DWORD dst_unused:UNUSED_PAD src0_sel:DWORD src1_sel:BYTE_1
	v_and_b32_sdwa v13, v9, s17 dst_sel:DWORD dst_unused:UNUSED_PAD src0_sel:WORD_1 src1_sel:DWORD
	v_lshlrev_b16_sdwa v9, v205, v9 dst_sel:DWORD dst_unused:UNUSED_PAD src0_sel:DWORD src1_sel:WORD_1
	v_add_u16_e32 v9, 0xe000, v9
	v_lshrrev_b32_e32 v10, 4, v102
	v_and_b32_e32 v11, 0x30303030, v11
	v_or_b32_sdwa v9, v13, v9 dst_sel:DWORD dst_unused:UNUSED_PAD src0_sel:DWORD src1_sel:BYTE_1
	v_add_u16_e32 v12, 0xe000, v12
	v_add_u16_sdwa v9, v9, s18 dst_sel:WORD_1 dst_unused:UNUSED_PAD src0_sel:DWORD src1_sel:DWORD
	v_and_or_b32 v10, v10, s11, v11
	v_or_b32_e32 v9, v12, v9
	v_lshlrev_b16_e32 v12, 8, v10
	v_and_b32_e32 v11, 0x3f00, v10
	v_add_u16_e32 v12, 0xe000, v12
	v_or_b32_sdwa v11, v11, v12 dst_sel:DWORD dst_unused:UNUSED_PAD src0_sel:DWORD src1_sel:BYTE_1
	v_and_b32_sdwa v12, v10, s17 dst_sel:DWORD dst_unused:UNUSED_PAD src0_sel:WORD_1 src1_sel:DWORD
	v_lshlrev_b16_sdwa v10, v205, v10 dst_sel:DWORD dst_unused:UNUSED_PAD src0_sel:DWORD src1_sel:WORD_1
	v_add_u16_e32 v10, 0xe000, v10
	v_or_b32_sdwa v10, v12, v10 dst_sel:DWORD dst_unused:UNUSED_PAD src0_sel:DWORD src1_sel:BYTE_1
	s_waitcnt vmcnt(11)
	v_cvt_f32_f16_e32 v12, v107
	v_add_u16_e32 v11, 0xe000, v11
	v_add_u16_sdwa v10, v10, s18 dst_sel:WORD_1 dst_unused:UNUSED_PAD src0_sel:DWORD src1_sel:DWORD
	s_nop 0
	v_or_b32_e32 v10, v11, v10
	ds_write2_b32 v84, v9, v10 offset1:16
	ds_write_b32 v91, v12
	s_waitcnt vmcnt(10)
	ds_write_b32 v203, v108
	s_waitcnt vmcnt(9)
	;; [unrolled: 2-line block ×8, first 2 shown]
	v_cvt_f32_f16_e32 v0, v5
	s_waitcnt vmcnt(2)
	ds_write_b32 v183, v6
	s_waitcnt vmcnt(1)
	ds_write_b32 v186, v7
	;; [unrolled: 2-line block ×3, first 2 shown]
	ds_write_b32 v164, v0
	s_waitcnt lgkmcnt(0)
	s_barrier
	ds_read_b32 v207, v190
	ds_read_b32 v208, v192 offset:128
	ds_read_b32 v209, v193 offset:256
	;; [unrolled: 1-line block ×3, first 2 shown]
.LBB156_6:                              ;   Parent Loop BB156_5 Depth=1
                                        ; =>  This Inner Loop Header: Depth=2
	s_lshl_b32 s20, s21, 1
	v_or_b32_e32 v0, s20, v85
	v_lshlrev_b32_e32 v12, 2, v0
	s_lshr_b32 s22, s21, 1
	s_lshl_b32 s21, s21, 3
	v_lshrrev_b32_e32 v98, 1, v0
	ds_read_b128 v[0:3], v12 offset:33280
	ds_read_b128 v[4:7], v12 offset:33296
	ds_read_b128 v[8:11], v12 offset:33312
	ds_read_b128 v[12:15], v12 offset:33328
	ds_read_b64 v[162:163], v98 offset:43584
	v_add_u32_e32 v106, s22, v195
	v_add_u32_e32 v107, s21, v196
	ds_read2_b32 v[102:103], v107 offset0:6 offset1:7
	ds_read2_b32 v[104:105], v107 offset0:4 offset1:5
	;; [unrolled: 1-line block ×3, first 2 shown]
	ds_read2_b32 v[100:101], v107 offset1:1
	ds_read_b32 v108, v106
	ds_read2_b32 v[158:159], v107 offset0:14 offset1:15
	ds_read2_b32 v[160:161], v107 offset0:12 offset1:13
	v_mov_b32_e32 v106, 0
	ds_read2_b32 v[114:115], v107 offset0:10 offset1:11
	ds_read2_b32 v[116:117], v107 offset0:8 offset1:9
	s_waitcnt lgkmcnt(7)
	v_dot4c_i32_i8_e32 v106, v104, v4
	v_mov_b32_e32 v107, 0
	v_dot4c_i32_i8_e32 v106, v105, v5
	s_waitcnt lgkmcnt(5)
	v_dot4c_i32_i8_e32 v107, v100, v0
	v_dot4c_i32_i8_e32 v106, v102, v6
	;; [unrolled: 1-line block ×4, first 2 shown]
	s_waitcnt lgkmcnt(4)
	v_bfe_i32 v211, v108, 8, 8
	v_dot4c_i32_i8_e32 v107, v98, v2
	v_dot4c_i32_i8_e32 v107, v99, v3
	v_mul_lo_u32 v106, v106, v211
	v_bfe_i32 v212, v108, 0, 8
	v_mov_b32_e32 v109, 0
	v_mad_u64_u32 v[106:107], s[24:25], v107, v212, v[106:107]
	s_waitcnt lgkmcnt(2)
	v_dot4c_i32_i8_e32 v109, v160, v12
	v_mov_b32_e32 v110, 0
	v_cvt_f32_i32_e32 v106, v106
	v_dot4c_i32_i8_e32 v109, v161, v13
	s_waitcnt lgkmcnt(0)
	v_dot4c_i32_i8_e32 v110, v116, v8
	v_dot4c_i32_i8_e32 v109, v158, v14
	;; [unrolled: 1-line block ×5, first 2 shown]
	v_ashrrev_i32_e32 v214, 24, v108
	v_dot4c_i32_i8_e32 v110, v115, v11
	v_fma_f32 v111, v162, v106, 0
	v_bfe_i32 v213, v108, 16, 8
	v_mul_lo_u32 v106, v109, v214
	v_mad_u64_u32 v[106:107], s[24:25], v110, v213, v[106:107]
	v_cvt_f32_i32_e32 v106, v106
	v_add_u32_e32 v118, s22, v197
	v_add_u32_e32 v122, s21, v198
	v_mov_b32_e32 v123, 0
	v_fmac_f32_e32 v111, v163, v106
	v_fmac_f32_e32 v167, v207, v111
	ds_read2_b32 v[110:111], v122 offset0:6 offset1:7
	ds_read2_b32 v[112:113], v122 offset0:4 offset1:5
	;; [unrolled: 1-line block ×3, first 2 shown]
	ds_read2_b32 v[108:109], v122 offset1:1
	ds_read_b32 v124, v118
	ds_read2_b32 v[118:119], v122 offset0:14 offset1:15
	ds_read2_b32 v[120:121], v122 offset0:12 offset1:13
	;; [unrolled: 1-line block ×4, first 2 shown]
	v_mov_b32_e32 v122, 0
	s_waitcnt lgkmcnt(7)
	v_dot4c_i32_i8_e32 v122, v112, v4
	v_dot4c_i32_i8_e32 v122, v113, v5
	s_waitcnt lgkmcnt(5)
	v_dot4c_i32_i8_e32 v123, v108, v0
	v_dot4c_i32_i8_e32 v122, v110, v6
	;; [unrolled: 1-line block ×4, first 2 shown]
	s_waitcnt lgkmcnt(4)
	v_bfe_i32 v215, v124, 8, 8
	v_dot4c_i32_i8_e32 v123, v106, v2
	v_dot4c_i32_i8_e32 v123, v107, v3
	v_mul_lo_u32 v122, v122, v215
	v_bfe_i32 v216, v124, 0, 8
	v_mov_b32_e32 v125, 0
	v_mad_u64_u32 v[122:123], s[24:25], v123, v216, v[122:123]
	s_waitcnt lgkmcnt(2)
	v_dot4c_i32_i8_e32 v125, v120, v12
	v_mov_b32_e32 v126, 0
	v_cvt_f32_i32_e32 v122, v122
	v_dot4c_i32_i8_e32 v125, v121, v13
	s_waitcnt lgkmcnt(0)
	v_dot4c_i32_i8_e32 v126, v136, v8
	v_dot4c_i32_i8_e32 v125, v118, v14
	;; [unrolled: 1-line block ×5, first 2 shown]
	v_ashrrev_i32_e32 v218, 24, v124
	v_dot4c_i32_i8_e32 v126, v133, v11
	v_fma_f32 v127, v162, v122, 0
	v_bfe_i32 v217, v124, 16, 8
	v_mul_lo_u32 v122, v125, v218
	v_mad_u64_u32 v[122:123], s[24:25], v126, v217, v[122:123]
	v_cvt_f32_i32_e32 v122, v122
	v_add_u32_e32 v130, s22, v199
	v_add_u32_e32 v131, s21, v200
	v_mov_b32_e32 v135, 0
	v_fmac_f32_e32 v127, v163, v122
	v_fmac_f32_e32 v97, v208, v127
	ds_read2_b32 v[126:127], v131 offset0:6 offset1:7
	ds_read2_b32 v[128:129], v131 offset0:4 offset1:5
	;; [unrolled: 1-line block ×3, first 2 shown]
	ds_read2_b32 v[124:125], v131 offset1:1
	ds_read_b32 v134, v130
	ds_read2_b32 v[138:139], v131 offset0:14 offset1:15
	ds_read2_b32 v[140:141], v131 offset0:12 offset1:13
	v_mov_b32_e32 v130, 0
	ds_read2_b32 v[148:149], v131 offset0:10 offset1:11
	ds_read2_b32 v[152:153], v131 offset0:8 offset1:9
	s_waitcnt lgkmcnt(7)
	v_dot4c_i32_i8_e32 v130, v128, v4
	v_mov_b32_e32 v131, 0
	v_dot4c_i32_i8_e32 v130, v129, v5
	s_waitcnt lgkmcnt(5)
	v_dot4c_i32_i8_e32 v131, v124, v0
	v_dot4c_i32_i8_e32 v130, v126, v6
	;; [unrolled: 1-line block ×4, first 2 shown]
	s_waitcnt lgkmcnt(4)
	v_bfe_i32 v219, v134, 8, 8
	v_dot4c_i32_i8_e32 v131, v122, v2
	v_dot4c_i32_i8_e32 v131, v123, v3
	v_mul_lo_u32 v130, v130, v219
	v_bfe_i32 v220, v134, 0, 8
	s_waitcnt lgkmcnt(2)
	v_dot4c_i32_i8_e32 v135, v140, v12
	v_mad_u64_u32 v[130:131], s[24:25], v131, v220, v[130:131]
	v_mov_b32_e32 v142, 0
	v_cvt_f32_i32_e32 v130, v130
	v_dot4c_i32_i8_e32 v135, v141, v13
	s_waitcnt lgkmcnt(0)
	v_dot4c_i32_i8_e32 v142, v152, v8
	v_dot4c_i32_i8_e32 v135, v138, v14
	;; [unrolled: 1-line block ×5, first 2 shown]
	v_ashrrev_i32_e32 v222, 24, v134
	v_dot4c_i32_i8_e32 v142, v149, v11
	v_fma_f32 v143, v162, v130, 0
	v_bfe_i32 v221, v134, 16, 8
	v_mul_lo_u32 v130, v135, v222
	v_mad_u64_u32 v[130:131], s[24:25], v142, v221, v[130:131]
	v_cvt_f32_i32_e32 v130, v130
	v_add_u32_e32 v146, s22, v201
	v_add_u32_e32 v156, s21, v202
	v_mov_b32_e32 v227, 0
	v_fmac_f32_e32 v143, v163, v130
	v_fmac_f32_e32 v93, v209, v143
	ds_read2_b32 v[142:143], v156 offset0:6 offset1:7
	ds_read2_b32 v[144:145], v156 offset0:4 offset1:5
	;; [unrolled: 1-line block ×3, first 2 shown]
	ds_read2_b32 v[134:135], v156 offset1:1
	ds_read_b32 v226, v146
	ds_read2_b32 v[146:147], v156 offset0:14 offset1:15
	ds_read2_b32 v[150:151], v156 offset0:12 offset1:13
	ds_read2_b32 v[154:155], v156 offset0:10 offset1:11
	ds_read2_b32 v[156:157], v156 offset0:8 offset1:9
	v_mov_b32_e32 v228, 0
	s_waitcnt lgkmcnt(4)
	v_bfe_i32 v223, v226, 8, 8
	v_bfe_i32 v224, v226, 0, 8
	s_waitcnt lgkmcnt(2)
	v_dot4c_i32_i8_e32 v227, v150, v12
	v_mov_b32_e32 v12, 0
	s_waitcnt lgkmcnt(0)
	v_dot4c_i32_i8_e32 v12, v156, v8
	v_mov_b32_e32 v8, 0
	v_dot4c_i32_i8_e32 v8, v144, v4
	v_dot4c_i32_i8_e32 v8, v145, v5
	v_mov_b32_e32 v5, 0
	v_dot4c_i32_i8_e32 v5, v134, v0
	v_dot4c_i32_i8_e32 v8, v142, v6
	;; [unrolled: 1-line block ×7, first 2 shown]
	v_mul_lo_u32 v4, v8, v223
	v_dot4c_i32_i8_e32 v227, v146, v14
	v_mad_u64_u32 v[0:1], s[22:23], v5, v224, v[4:5]
	v_cvt_f32_i32_e32 v0, v0
	v_dot4c_i32_i8_e32 v12, v157, v9
	v_dot4c_i32_i8_e32 v227, v147, v15
	;; [unrolled: 1-line block ×3, first 2 shown]
	v_bfe_i32 v225, v226, 16, 8
	v_ashrrev_i32_e32 v226, 24, v226
	v_dot4c_i32_i8_e32 v12, v155, v11
	v_fma_f32 v2, v162, v0, 0
	v_mul_lo_u32 v0, v227, v226
	v_mov_b32_e32 v229, 0
	v_mad_u64_u32 v[0:1], s[22:23], v12, v225, v[0:1]
	v_cvt_f32_i32_e32 v0, v0
	v_mov_b32_e32 v227, 0
	v_mov_b32_e32 v230, 0
	s_and_b64 vcc, exec, s[0:1]
	v_fmac_f32_e32 v2, v163, v0
	v_or_b32_e32 v0, s20, v170
	v_lshlrev_b32_e32 v12, 2, v0
	v_lshrrev_b32_e32 v162, 1, v0
	v_fmac_f32_e32 v87, v210, v2
	ds_read_b128 v[0:3], v12 offset:33280
	ds_read_b128 v[4:7], v12 offset:33296
	;; [unrolled: 1-line block ×4, first 2 shown]
	ds_read_b64 v[162:163], v162 offset:43584
	s_waitcnt lgkmcnt(4)
	v_dot4c_i32_i8_e32 v229, v100, v0
	s_waitcnt lgkmcnt(3)
	v_dot4c_i32_i8_e32 v228, v104, v4
	v_dot4c_i32_i8_e32 v228, v105, v5
	;; [unrolled: 1-line block ×7, first 2 shown]
	s_waitcnt lgkmcnt(1)
	v_dot4c_i32_i8_e32 v227, v160, v12
	v_mul_lo_u32 v228, v228, v211
	v_dot4c_i32_i8_e32 v227, v161, v13
	v_mad_u64_u32 v[228:229], s[22:23], v229, v212, v[228:229]
	v_cvt_f32_i32_e32 v228, v228
	v_dot4c_i32_i8_e32 v230, v116, v8
	v_dot4c_i32_i8_e32 v227, v158, v14
	;; [unrolled: 1-line block ×6, first 2 shown]
	s_waitcnt lgkmcnt(0)
	v_fma_f32 v231, v162, v228, 0
	v_mul_lo_u32 v228, v227, v214
	s_mov_b64 s[0:1], 0
	v_mad_u64_u32 v[228:229], s[22:23], v230, v213, v[228:229]
	v_cvt_f32_i32_e32 v227, v228
	v_mov_b32_e32 v228, 0
	v_dot4c_i32_i8_e32 v228, v112, v4
	v_mov_b32_e32 v229, 0
	v_dot4c_i32_i8_e32 v228, v113, v5
	v_dot4c_i32_i8_e32 v229, v108, v0
	;; [unrolled: 1-line block ×7, first 2 shown]
	v_fmac_f32_e32 v231, v163, v227
	v_mul_lo_u32 v228, v228, v215
	v_mov_b32_e32 v227, 0
	v_mad_u64_u32 v[228:229], s[22:23], v229, v216, v[228:229]
	v_dot4c_i32_i8_e32 v227, v120, v12
	v_mov_b32_e32 v230, 0
	v_cvt_f32_i32_e32 v228, v228
	v_dot4c_i32_i8_e32 v227, v121, v13
	v_dot4c_i32_i8_e32 v230, v136, v8
	;; [unrolled: 1-line block ×6, first 2 shown]
	v_fmac_f32_e32 v83, v207, v231
	v_dot4c_i32_i8_e32 v230, v133, v11
	v_fma_f32 v231, v162, v228, 0
	v_mul_lo_u32 v228, v227, v218
	s_nop 0
	v_mad_u64_u32 v[228:229], s[22:23], v230, v217, v[228:229]
	v_cvt_f32_i32_e32 v227, v228
	v_mov_b32_e32 v228, 0
	v_dot4c_i32_i8_e32 v228, v128, v4
	v_mov_b32_e32 v229, 0
	v_dot4c_i32_i8_e32 v228, v129, v5
	v_dot4c_i32_i8_e32 v229, v124, v0
	;; [unrolled: 1-line block ×7, first 2 shown]
	v_fmac_f32_e32 v231, v163, v227
	v_mul_lo_u32 v228, v228, v219
	v_mov_b32_e32 v227, 0
	v_mad_u64_u32 v[228:229], s[22:23], v229, v220, v[228:229]
	v_dot4c_i32_i8_e32 v227, v140, v12
	v_mov_b32_e32 v230, 0
	v_cvt_f32_i32_e32 v228, v228
	v_dot4c_i32_i8_e32 v227, v141, v13
	v_dot4c_i32_i8_e32 v230, v152, v8
	;; [unrolled: 1-line block ×6, first 2 shown]
	v_fmac_f32_e32 v81, v208, v231
	v_dot4c_i32_i8_e32 v230, v149, v11
	v_fma_f32 v231, v162, v228, 0
	v_mul_lo_u32 v228, v227, v222
	s_nop 0
	v_mad_u64_u32 v[228:229], s[22:23], v230, v221, v[228:229]
	v_cvt_f32_i32_e32 v227, v228
	v_mov_b32_e32 v228, 0
	v_mov_b32_e32 v229, 0
	;; [unrolled: 1-line block ×3, first 2 shown]
	v_fmac_f32_e32 v231, v163, v227
	v_mov_b32_e32 v227, 0
	v_dot4c_i32_i8_e32 v227, v150, v12
	v_mov_b32_e32 v12, 0
	v_dot4c_i32_i8_e32 v12, v156, v8
	;; [unrolled: 2-line block ×3, first 2 shown]
	v_dot4c_i32_i8_e32 v8, v145, v5
	v_mov_b32_e32 v5, 0
	v_dot4c_i32_i8_e32 v5, v134, v0
	v_dot4c_i32_i8_e32 v8, v142, v6
	;; [unrolled: 1-line block ×7, first 2 shown]
	v_mul_lo_u32 v4, v8, v223
	v_dot4c_i32_i8_e32 v227, v146, v14
	v_mad_u64_u32 v[0:1], s[22:23], v5, v224, v[4:5]
	v_cvt_f32_i32_e32 v0, v0
	v_dot4c_i32_i8_e32 v12, v157, v9
	v_dot4c_i32_i8_e32 v227, v147, v15
	;; [unrolled: 1-line block ×4, first 2 shown]
	v_fma_f32 v2, v162, v0, 0
	v_mul_lo_u32 v0, v227, v226
	v_mov_b32_e32 v227, 0
	v_mad_u64_u32 v[0:1], s[22:23], v12, v225, v[0:1]
	v_cvt_f32_i32_e32 v0, v0
	v_fmac_f32_e32 v79, v209, v231
	v_fmac_f32_e32 v2, v163, v0
	v_or_b32_e32 v0, s20, v173
	v_lshlrev_b32_e32 v12, 2, v0
	v_lshrrev_b32_e32 v162, 1, v0
	v_fmac_f32_e32 v77, v210, v2
	ds_read_b128 v[0:3], v12 offset:33280
	ds_read_b128 v[4:7], v12 offset:33296
	;; [unrolled: 1-line block ×4, first 2 shown]
	ds_read_b64 v[162:163], v162 offset:43584
	s_waitcnt lgkmcnt(4)
	v_dot4c_i32_i8_e32 v229, v100, v0
	s_waitcnt lgkmcnt(3)
	v_dot4c_i32_i8_e32 v228, v104, v4
	v_dot4c_i32_i8_e32 v228, v105, v5
	;; [unrolled: 1-line block ×7, first 2 shown]
	s_waitcnt lgkmcnt(1)
	v_dot4c_i32_i8_e32 v227, v160, v12
	v_mul_lo_u32 v228, v228, v211
	v_dot4c_i32_i8_e32 v227, v161, v13
	v_mad_u64_u32 v[228:229], s[22:23], v229, v212, v[228:229]
	v_cvt_f32_i32_e32 v228, v228
	v_dot4c_i32_i8_e32 v230, v116, v8
	v_dot4c_i32_i8_e32 v227, v158, v14
	;; [unrolled: 1-line block ×6, first 2 shown]
	s_waitcnt lgkmcnt(0)
	v_fma_f32 v231, v162, v228, 0
	v_mul_lo_u32 v228, v227, v214
	v_mad_u64_u32 v[228:229], s[22:23], v230, v213, v[228:229]
	v_cvt_f32_i32_e32 v227, v228
	v_mov_b32_e32 v228, 0
	v_dot4c_i32_i8_e32 v228, v112, v4
	v_mov_b32_e32 v229, 0
	v_dot4c_i32_i8_e32 v228, v113, v5
	v_dot4c_i32_i8_e32 v229, v108, v0
	;; [unrolled: 1-line block ×7, first 2 shown]
	v_fmac_f32_e32 v231, v163, v227
	v_mul_lo_u32 v228, v228, v215
	v_mov_b32_e32 v227, 0
	v_mad_u64_u32 v[228:229], s[22:23], v229, v216, v[228:229]
	v_dot4c_i32_i8_e32 v227, v120, v12
	v_mov_b32_e32 v230, 0
	v_cvt_f32_i32_e32 v228, v228
	v_dot4c_i32_i8_e32 v227, v121, v13
	v_dot4c_i32_i8_e32 v230, v136, v8
	;; [unrolled: 1-line block ×6, first 2 shown]
	v_fmac_f32_e32 v71, v207, v231
	v_dot4c_i32_i8_e32 v230, v133, v11
	v_fma_f32 v231, v162, v228, 0
	v_mul_lo_u32 v228, v227, v218
	s_nop 0
	v_mad_u64_u32 v[228:229], s[22:23], v230, v217, v[228:229]
	v_cvt_f32_i32_e32 v227, v228
	v_mov_b32_e32 v228, 0
	v_dot4c_i32_i8_e32 v228, v128, v4
	v_mov_b32_e32 v229, 0
	v_dot4c_i32_i8_e32 v228, v129, v5
	v_dot4c_i32_i8_e32 v229, v124, v0
	;; [unrolled: 1-line block ×7, first 2 shown]
	v_fmac_f32_e32 v231, v163, v227
	v_mul_lo_u32 v228, v228, v219
	v_mov_b32_e32 v227, 0
	v_mad_u64_u32 v[228:229], s[22:23], v229, v220, v[228:229]
	v_dot4c_i32_i8_e32 v227, v140, v12
	v_mov_b32_e32 v230, 0
	v_cvt_f32_i32_e32 v228, v228
	v_dot4c_i32_i8_e32 v227, v141, v13
	v_dot4c_i32_i8_e32 v230, v152, v8
	;; [unrolled: 1-line block ×6, first 2 shown]
	v_fmac_f32_e32 v69, v208, v231
	v_dot4c_i32_i8_e32 v230, v149, v11
	v_fma_f32 v231, v162, v228, 0
	v_mul_lo_u32 v228, v227, v222
	s_nop 0
	v_mad_u64_u32 v[228:229], s[22:23], v230, v221, v[228:229]
	v_cvt_f32_i32_e32 v227, v228
	v_mov_b32_e32 v228, 0
	v_mov_b32_e32 v229, 0
	;; [unrolled: 1-line block ×3, first 2 shown]
	v_fmac_f32_e32 v231, v163, v227
	v_mov_b32_e32 v227, 0
	v_dot4c_i32_i8_e32 v227, v150, v12
	v_mov_b32_e32 v12, 0
	v_dot4c_i32_i8_e32 v12, v156, v8
	;; [unrolled: 2-line block ×3, first 2 shown]
	v_dot4c_i32_i8_e32 v8, v145, v5
	v_mov_b32_e32 v5, 0
	v_dot4c_i32_i8_e32 v5, v134, v0
	v_dot4c_i32_i8_e32 v8, v142, v6
	;; [unrolled: 1-line block ×7, first 2 shown]
	v_mul_lo_u32 v4, v8, v223
	v_dot4c_i32_i8_e32 v227, v146, v14
	v_mad_u64_u32 v[0:1], s[22:23], v5, v224, v[4:5]
	v_cvt_f32_i32_e32 v0, v0
	v_dot4c_i32_i8_e32 v12, v157, v9
	v_dot4c_i32_i8_e32 v227, v147, v15
	;; [unrolled: 1-line block ×4, first 2 shown]
	v_fma_f32 v2, v162, v0, 0
	v_mul_lo_u32 v0, v227, v226
	v_mov_b32_e32 v227, 0
	v_mad_u64_u32 v[0:1], s[22:23], v12, v225, v[0:1]
	v_cvt_f32_i32_e32 v0, v0
	v_fmac_f32_e32 v67, v209, v231
	v_fmac_f32_e32 v2, v163, v0
	v_or_b32_e32 v0, s20, v176
	v_lshlrev_b32_e32 v12, 2, v0
	v_lshrrev_b32_e32 v162, 1, v0
	v_fmac_f32_e32 v65, v210, v2
	ds_read_b128 v[0:3], v12 offset:33280
	ds_read_b128 v[4:7], v12 offset:33296
	;; [unrolled: 1-line block ×4, first 2 shown]
	ds_read_b64 v[162:163], v162 offset:43584
	s_waitcnt lgkmcnt(4)
	v_dot4c_i32_i8_e32 v229, v100, v0
	s_waitcnt lgkmcnt(3)
	v_dot4c_i32_i8_e32 v228, v104, v4
	v_dot4c_i32_i8_e32 v228, v105, v5
	;; [unrolled: 1-line block ×7, first 2 shown]
	s_waitcnt lgkmcnt(1)
	v_dot4c_i32_i8_e32 v227, v160, v12
	v_mul_lo_u32 v228, v228, v211
	v_dot4c_i32_i8_e32 v227, v161, v13
	v_mad_u64_u32 v[228:229], s[22:23], v229, v212, v[228:229]
	v_cvt_f32_i32_e32 v228, v228
	v_dot4c_i32_i8_e32 v230, v116, v8
	v_dot4c_i32_i8_e32 v227, v158, v14
	v_dot4c_i32_i8_e32 v230, v117, v9
	v_dot4c_i32_i8_e32 v227, v159, v15
	v_dot4c_i32_i8_e32 v230, v114, v10
	v_dot4c_i32_i8_e32 v230, v115, v11
	s_waitcnt lgkmcnt(0)
	v_fma_f32 v231, v162, v228, 0
	v_mul_lo_u32 v228, v227, v214
	v_mad_u64_u32 v[228:229], s[22:23], v230, v213, v[228:229]
	v_cvt_f32_i32_e32 v227, v228
	v_mov_b32_e32 v228, 0
	v_dot4c_i32_i8_e32 v228, v112, v4
	v_mov_b32_e32 v229, 0
	v_dot4c_i32_i8_e32 v228, v113, v5
	v_dot4c_i32_i8_e32 v229, v108, v0
	;; [unrolled: 1-line block ×7, first 2 shown]
	v_fmac_f32_e32 v231, v163, v227
	v_mul_lo_u32 v228, v228, v215
	v_mov_b32_e32 v227, 0
	v_mad_u64_u32 v[228:229], s[22:23], v229, v216, v[228:229]
	v_dot4c_i32_i8_e32 v227, v120, v12
	v_mov_b32_e32 v230, 0
	v_cvt_f32_i32_e32 v228, v228
	v_dot4c_i32_i8_e32 v227, v121, v13
	v_dot4c_i32_i8_e32 v230, v136, v8
	;; [unrolled: 1-line block ×6, first 2 shown]
	v_fmac_f32_e32 v63, v207, v231
	v_dot4c_i32_i8_e32 v230, v133, v11
	v_fma_f32 v231, v162, v228, 0
	v_mul_lo_u32 v228, v227, v218
	s_nop 0
	v_mad_u64_u32 v[228:229], s[22:23], v230, v217, v[228:229]
	v_cvt_f32_i32_e32 v227, v228
	v_mov_b32_e32 v228, 0
	v_dot4c_i32_i8_e32 v228, v128, v4
	v_mov_b32_e32 v229, 0
	v_dot4c_i32_i8_e32 v228, v129, v5
	v_dot4c_i32_i8_e32 v229, v124, v0
	v_dot4c_i32_i8_e32 v228, v126, v6
	v_dot4c_i32_i8_e32 v229, v125, v1
	v_dot4c_i32_i8_e32 v228, v127, v7
	v_dot4c_i32_i8_e32 v229, v122, v2
	v_dot4c_i32_i8_e32 v229, v123, v3
	v_fmac_f32_e32 v231, v163, v227
	v_mul_lo_u32 v228, v228, v219
	v_mov_b32_e32 v227, 0
	v_mad_u64_u32 v[228:229], s[22:23], v229, v220, v[228:229]
	v_dot4c_i32_i8_e32 v227, v140, v12
	v_mov_b32_e32 v230, 0
	v_cvt_f32_i32_e32 v228, v228
	v_dot4c_i32_i8_e32 v227, v141, v13
	v_dot4c_i32_i8_e32 v230, v152, v8
	;; [unrolled: 1-line block ×6, first 2 shown]
	v_fmac_f32_e32 v61, v208, v231
	v_dot4c_i32_i8_e32 v230, v149, v11
	v_fma_f32 v231, v162, v228, 0
	v_mul_lo_u32 v228, v227, v222
	s_nop 0
	v_mad_u64_u32 v[228:229], s[22:23], v230, v221, v[228:229]
	v_cvt_f32_i32_e32 v227, v228
	v_mov_b32_e32 v228, 0
	v_mov_b32_e32 v229, 0
	;; [unrolled: 1-line block ×3, first 2 shown]
	v_fmac_f32_e32 v231, v163, v227
	v_mov_b32_e32 v227, 0
	v_dot4c_i32_i8_e32 v227, v150, v12
	v_mov_b32_e32 v12, 0
	v_dot4c_i32_i8_e32 v12, v156, v8
	;; [unrolled: 2-line block ×3, first 2 shown]
	v_dot4c_i32_i8_e32 v8, v145, v5
	v_mov_b32_e32 v5, 0
	v_dot4c_i32_i8_e32 v5, v134, v0
	v_dot4c_i32_i8_e32 v8, v142, v6
	;; [unrolled: 1-line block ×7, first 2 shown]
	v_mul_lo_u32 v4, v8, v223
	v_dot4c_i32_i8_e32 v227, v146, v14
	v_mad_u64_u32 v[0:1], s[22:23], v5, v224, v[4:5]
	v_cvt_f32_i32_e32 v0, v0
	v_dot4c_i32_i8_e32 v12, v157, v9
	v_dot4c_i32_i8_e32 v227, v147, v15
	;; [unrolled: 1-line block ×4, first 2 shown]
	v_fma_f32 v2, v162, v0, 0
	v_mul_lo_u32 v0, v227, v226
	v_mov_b32_e32 v227, 0
	v_mad_u64_u32 v[0:1], s[22:23], v12, v225, v[0:1]
	v_cvt_f32_i32_e32 v0, v0
	v_fmac_f32_e32 v57, v209, v231
	v_fmac_f32_e32 v2, v163, v0
	v_or_b32_e32 v0, s20, v179
	v_lshlrev_b32_e32 v12, 2, v0
	v_lshrrev_b32_e32 v162, 1, v0
	v_fmac_f32_e32 v53, v210, v2
	ds_read_b128 v[0:3], v12 offset:33280
	ds_read_b128 v[4:7], v12 offset:33296
	;; [unrolled: 1-line block ×4, first 2 shown]
	ds_read_b64 v[162:163], v162 offset:43584
	s_waitcnt lgkmcnt(4)
	v_dot4c_i32_i8_e32 v229, v100, v0
	s_waitcnt lgkmcnt(3)
	v_dot4c_i32_i8_e32 v228, v104, v4
	v_dot4c_i32_i8_e32 v228, v105, v5
	;; [unrolled: 1-line block ×7, first 2 shown]
	s_waitcnt lgkmcnt(1)
	v_dot4c_i32_i8_e32 v227, v160, v12
	v_mul_lo_u32 v228, v228, v211
	v_dot4c_i32_i8_e32 v227, v161, v13
	v_mad_u64_u32 v[228:229], s[22:23], v229, v212, v[228:229]
	v_cvt_f32_i32_e32 v228, v228
	v_dot4c_i32_i8_e32 v230, v116, v8
	v_dot4c_i32_i8_e32 v227, v158, v14
	;; [unrolled: 1-line block ×6, first 2 shown]
	s_waitcnt lgkmcnt(0)
	v_fma_f32 v231, v162, v228, 0
	v_mul_lo_u32 v228, v227, v214
	v_mad_u64_u32 v[228:229], s[22:23], v230, v213, v[228:229]
	v_cvt_f32_i32_e32 v227, v228
	v_mov_b32_e32 v228, 0
	v_dot4c_i32_i8_e32 v228, v112, v4
	v_mov_b32_e32 v229, 0
	v_dot4c_i32_i8_e32 v228, v113, v5
	v_dot4c_i32_i8_e32 v229, v108, v0
	;; [unrolled: 1-line block ×7, first 2 shown]
	v_fmac_f32_e32 v231, v163, v227
	v_mul_lo_u32 v228, v228, v215
	v_mov_b32_e32 v227, 0
	v_mad_u64_u32 v[228:229], s[22:23], v229, v216, v[228:229]
	v_dot4c_i32_i8_e32 v227, v120, v12
	v_mov_b32_e32 v230, 0
	v_cvt_f32_i32_e32 v228, v228
	v_dot4c_i32_i8_e32 v227, v121, v13
	v_dot4c_i32_i8_e32 v230, v136, v8
	;; [unrolled: 1-line block ×6, first 2 shown]
	v_fmac_f32_e32 v51, v207, v231
	v_dot4c_i32_i8_e32 v230, v133, v11
	v_fma_f32 v231, v162, v228, 0
	v_mul_lo_u32 v228, v227, v218
	s_nop 0
	v_mad_u64_u32 v[228:229], s[22:23], v230, v217, v[228:229]
	v_cvt_f32_i32_e32 v227, v228
	v_mov_b32_e32 v228, 0
	v_dot4c_i32_i8_e32 v228, v128, v4
	v_mov_b32_e32 v229, 0
	v_dot4c_i32_i8_e32 v228, v129, v5
	v_dot4c_i32_i8_e32 v229, v124, v0
	;; [unrolled: 1-line block ×7, first 2 shown]
	v_fmac_f32_e32 v231, v163, v227
	v_mul_lo_u32 v228, v228, v219
	v_mov_b32_e32 v227, 0
	v_mad_u64_u32 v[228:229], s[22:23], v229, v220, v[228:229]
	v_dot4c_i32_i8_e32 v227, v140, v12
	v_mov_b32_e32 v230, 0
	v_cvt_f32_i32_e32 v228, v228
	v_dot4c_i32_i8_e32 v227, v141, v13
	v_dot4c_i32_i8_e32 v230, v152, v8
	;; [unrolled: 1-line block ×6, first 2 shown]
	v_fmac_f32_e32 v49, v208, v231
	v_dot4c_i32_i8_e32 v230, v149, v11
	v_fma_f32 v231, v162, v228, 0
	v_mul_lo_u32 v228, v227, v222
	s_nop 0
	v_mad_u64_u32 v[228:229], s[22:23], v230, v221, v[228:229]
	v_cvt_f32_i32_e32 v227, v228
	v_mov_b32_e32 v228, 0
	v_mov_b32_e32 v229, 0
	;; [unrolled: 1-line block ×3, first 2 shown]
	v_fmac_f32_e32 v231, v163, v227
	v_mov_b32_e32 v227, 0
	v_dot4c_i32_i8_e32 v227, v150, v12
	v_mov_b32_e32 v12, 0
	v_dot4c_i32_i8_e32 v12, v156, v8
	;; [unrolled: 2-line block ×3, first 2 shown]
	v_dot4c_i32_i8_e32 v8, v145, v5
	v_mov_b32_e32 v5, 0
	v_dot4c_i32_i8_e32 v5, v134, v0
	v_dot4c_i32_i8_e32 v8, v142, v6
	;; [unrolled: 1-line block ×7, first 2 shown]
	v_mul_lo_u32 v4, v8, v223
	v_dot4c_i32_i8_e32 v227, v146, v14
	v_mad_u64_u32 v[0:1], s[22:23], v5, v224, v[4:5]
	v_cvt_f32_i32_e32 v0, v0
	v_dot4c_i32_i8_e32 v12, v157, v9
	v_dot4c_i32_i8_e32 v227, v147, v15
	;; [unrolled: 1-line block ×4, first 2 shown]
	v_fma_f32 v2, v162, v0, 0
	v_mul_lo_u32 v0, v227, v226
	v_mov_b32_e32 v227, 0
	v_mad_u64_u32 v[0:1], s[22:23], v12, v225, v[0:1]
	v_cvt_f32_i32_e32 v0, v0
	v_fmac_f32_e32 v47, v209, v231
	v_fmac_f32_e32 v2, v163, v0
	v_or_b32_e32 v0, s20, v182
	v_lshlrev_b32_e32 v12, 2, v0
	v_lshrrev_b32_e32 v162, 1, v0
	v_fmac_f32_e32 v45, v210, v2
	ds_read_b128 v[0:3], v12 offset:33280
	ds_read_b128 v[4:7], v12 offset:33296
	;; [unrolled: 1-line block ×4, first 2 shown]
	ds_read_b64 v[162:163], v162 offset:43584
	s_waitcnt lgkmcnt(4)
	v_dot4c_i32_i8_e32 v229, v100, v0
	s_waitcnt lgkmcnt(3)
	v_dot4c_i32_i8_e32 v228, v104, v4
	v_dot4c_i32_i8_e32 v228, v105, v5
	v_dot4c_i32_i8_e32 v228, v102, v6
	v_dot4c_i32_i8_e32 v229, v101, v1
	v_dot4c_i32_i8_e32 v228, v103, v7
	v_dot4c_i32_i8_e32 v229, v98, v2
	v_dot4c_i32_i8_e32 v229, v99, v3
	s_waitcnt lgkmcnt(1)
	v_dot4c_i32_i8_e32 v227, v160, v12
	v_mul_lo_u32 v228, v228, v211
	v_dot4c_i32_i8_e32 v227, v161, v13
	v_mad_u64_u32 v[228:229], s[22:23], v229, v212, v[228:229]
	v_cvt_f32_i32_e32 v228, v228
	v_dot4c_i32_i8_e32 v230, v116, v8
	v_dot4c_i32_i8_e32 v227, v158, v14
	;; [unrolled: 1-line block ×6, first 2 shown]
	s_waitcnt lgkmcnt(0)
	v_fma_f32 v231, v162, v228, 0
	v_mul_lo_u32 v228, v227, v214
	v_mad_u64_u32 v[228:229], s[22:23], v230, v213, v[228:229]
	v_cvt_f32_i32_e32 v227, v228
	v_mov_b32_e32 v228, 0
	v_dot4c_i32_i8_e32 v228, v112, v4
	v_mov_b32_e32 v229, 0
	v_dot4c_i32_i8_e32 v228, v113, v5
	v_dot4c_i32_i8_e32 v229, v108, v0
	;; [unrolled: 1-line block ×7, first 2 shown]
	v_fmac_f32_e32 v231, v163, v227
	v_mul_lo_u32 v228, v228, v215
	v_mov_b32_e32 v227, 0
	v_mad_u64_u32 v[228:229], s[22:23], v229, v216, v[228:229]
	v_dot4c_i32_i8_e32 v227, v120, v12
	v_mov_b32_e32 v230, 0
	v_cvt_f32_i32_e32 v228, v228
	v_dot4c_i32_i8_e32 v227, v121, v13
	v_dot4c_i32_i8_e32 v230, v136, v8
	;; [unrolled: 1-line block ×6, first 2 shown]
	v_fmac_f32_e32 v43, v207, v231
	v_dot4c_i32_i8_e32 v230, v133, v11
	v_fma_f32 v231, v162, v228, 0
	v_mul_lo_u32 v228, v227, v218
	s_nop 0
	v_mad_u64_u32 v[228:229], s[22:23], v230, v217, v[228:229]
	v_cvt_f32_i32_e32 v227, v228
	v_mov_b32_e32 v228, 0
	v_dot4c_i32_i8_e32 v228, v128, v4
	v_mov_b32_e32 v229, 0
	v_dot4c_i32_i8_e32 v228, v129, v5
	v_dot4c_i32_i8_e32 v229, v124, v0
	;; [unrolled: 1-line block ×7, first 2 shown]
	v_fmac_f32_e32 v231, v163, v227
	v_mul_lo_u32 v228, v228, v219
	v_mov_b32_e32 v227, 0
	v_mad_u64_u32 v[228:229], s[22:23], v229, v220, v[228:229]
	v_dot4c_i32_i8_e32 v227, v140, v12
	v_mov_b32_e32 v230, 0
	v_cvt_f32_i32_e32 v228, v228
	v_dot4c_i32_i8_e32 v227, v141, v13
	v_dot4c_i32_i8_e32 v230, v152, v8
	;; [unrolled: 1-line block ×6, first 2 shown]
	v_fmac_f32_e32 v41, v208, v231
	v_dot4c_i32_i8_e32 v230, v149, v11
	v_fma_f32 v231, v162, v228, 0
	v_mul_lo_u32 v228, v227, v222
	s_nop 0
	v_mad_u64_u32 v[228:229], s[22:23], v230, v221, v[228:229]
	v_cvt_f32_i32_e32 v227, v228
	v_mov_b32_e32 v228, 0
	v_mov_b32_e32 v229, 0
	;; [unrolled: 1-line block ×3, first 2 shown]
	v_fmac_f32_e32 v231, v163, v227
	v_mov_b32_e32 v227, 0
	v_dot4c_i32_i8_e32 v227, v150, v12
	v_mov_b32_e32 v12, 0
	v_dot4c_i32_i8_e32 v12, v156, v8
	;; [unrolled: 2-line block ×3, first 2 shown]
	v_dot4c_i32_i8_e32 v8, v145, v5
	v_mov_b32_e32 v5, 0
	v_dot4c_i32_i8_e32 v5, v134, v0
	v_dot4c_i32_i8_e32 v8, v142, v6
	v_dot4c_i32_i8_e32 v5, v135, v1
	v_dot4c_i32_i8_e32 v8, v143, v7
	v_dot4c_i32_i8_e32 v5, v130, v2
	v_dot4c_i32_i8_e32 v5, v131, v3
	v_dot4c_i32_i8_e32 v227, v151, v13
	v_mul_lo_u32 v4, v8, v223
	v_dot4c_i32_i8_e32 v227, v146, v14
	v_mad_u64_u32 v[0:1], s[22:23], v5, v224, v[4:5]
	v_cvt_f32_i32_e32 v0, v0
	v_dot4c_i32_i8_e32 v12, v157, v9
	v_dot4c_i32_i8_e32 v227, v147, v15
	v_dot4c_i32_i8_e32 v12, v154, v10
	v_dot4c_i32_i8_e32 v12, v155, v11
	v_fma_f32 v2, v162, v0, 0
	v_mul_lo_u32 v0, v227, v226
	v_mov_b32_e32 v227, 0
	v_mad_u64_u32 v[0:1], s[22:23], v12, v225, v[0:1]
	v_cvt_f32_i32_e32 v0, v0
	v_fmac_f32_e32 v39, v209, v231
	v_fmac_f32_e32 v2, v163, v0
	v_or_b32_e32 v0, s20, v185
	v_lshlrev_b32_e32 v12, 2, v0
	v_lshrrev_b32_e32 v162, 1, v0
	v_fmac_f32_e32 v37, v210, v2
	ds_read_b128 v[0:3], v12 offset:33280
	ds_read_b128 v[4:7], v12 offset:33296
	;; [unrolled: 1-line block ×4, first 2 shown]
	ds_read_b64 v[162:163], v162 offset:43584
	s_waitcnt lgkmcnt(4)
	v_dot4c_i32_i8_e32 v229, v100, v0
	s_waitcnt lgkmcnt(3)
	v_dot4c_i32_i8_e32 v228, v104, v4
	v_dot4c_i32_i8_e32 v228, v105, v5
	;; [unrolled: 1-line block ×7, first 2 shown]
	s_waitcnt lgkmcnt(1)
	v_dot4c_i32_i8_e32 v227, v160, v12
	v_mul_lo_u32 v228, v228, v211
	v_dot4c_i32_i8_e32 v227, v161, v13
	v_mad_u64_u32 v[228:229], s[22:23], v229, v212, v[228:229]
	v_cvt_f32_i32_e32 v228, v228
	v_dot4c_i32_i8_e32 v230, v116, v8
	v_dot4c_i32_i8_e32 v227, v158, v14
	;; [unrolled: 1-line block ×6, first 2 shown]
	s_waitcnt lgkmcnt(0)
	v_fma_f32 v231, v162, v228, 0
	v_mul_lo_u32 v228, v227, v214
	v_mad_u64_u32 v[228:229], s[22:23], v230, v213, v[228:229]
	v_cvt_f32_i32_e32 v227, v228
	v_mov_b32_e32 v228, 0
	v_dot4c_i32_i8_e32 v228, v112, v4
	v_mov_b32_e32 v229, 0
	v_dot4c_i32_i8_e32 v228, v113, v5
	v_dot4c_i32_i8_e32 v229, v108, v0
	;; [unrolled: 1-line block ×7, first 2 shown]
	v_fmac_f32_e32 v231, v163, v227
	v_mul_lo_u32 v228, v228, v215
	v_mov_b32_e32 v227, 0
	v_mad_u64_u32 v[228:229], s[22:23], v229, v216, v[228:229]
	v_dot4c_i32_i8_e32 v227, v120, v12
	v_mov_b32_e32 v230, 0
	v_cvt_f32_i32_e32 v228, v228
	v_dot4c_i32_i8_e32 v227, v121, v13
	v_dot4c_i32_i8_e32 v230, v136, v8
	;; [unrolled: 1-line block ×6, first 2 shown]
	v_fmac_f32_e32 v35, v207, v231
	v_dot4c_i32_i8_e32 v230, v133, v11
	v_fma_f32 v231, v162, v228, 0
	v_mul_lo_u32 v228, v227, v218
	s_nop 0
	v_mad_u64_u32 v[228:229], s[22:23], v230, v217, v[228:229]
	v_cvt_f32_i32_e32 v227, v228
	v_mov_b32_e32 v228, 0
	v_dot4c_i32_i8_e32 v228, v128, v4
	v_mov_b32_e32 v229, 0
	v_dot4c_i32_i8_e32 v228, v129, v5
	v_dot4c_i32_i8_e32 v229, v124, v0
	;; [unrolled: 1-line block ×7, first 2 shown]
	v_fmac_f32_e32 v231, v163, v227
	v_mul_lo_u32 v228, v228, v219
	v_mov_b32_e32 v227, 0
	v_mad_u64_u32 v[228:229], s[22:23], v229, v220, v[228:229]
	v_dot4c_i32_i8_e32 v227, v140, v12
	v_mov_b32_e32 v230, 0
	v_cvt_f32_i32_e32 v228, v228
	v_dot4c_i32_i8_e32 v227, v141, v13
	v_dot4c_i32_i8_e32 v230, v152, v8
	;; [unrolled: 1-line block ×6, first 2 shown]
	v_fmac_f32_e32 v33, v208, v231
	v_dot4c_i32_i8_e32 v230, v149, v11
	v_fma_f32 v231, v162, v228, 0
	v_mul_lo_u32 v228, v227, v222
	s_nop 0
	v_mad_u64_u32 v[228:229], s[22:23], v230, v221, v[228:229]
	v_cvt_f32_i32_e32 v227, v228
	v_fmac_f32_e32 v231, v163, v227
	v_mov_b32_e32 v227, 0
	v_dot4c_i32_i8_e32 v227, v150, v12
	v_mov_b32_e32 v12, 0
	v_dot4c_i32_i8_e32 v12, v156, v8
	v_mov_b32_e32 v8, 0
	v_dot4c_i32_i8_e32 v8, v144, v4
	v_dot4c_i32_i8_e32 v8, v145, v5
	v_mov_b32_e32 v5, 0
	v_dot4c_i32_i8_e32 v5, v134, v0
	v_dot4c_i32_i8_e32 v8, v142, v6
	;; [unrolled: 1-line block ×7, first 2 shown]
	v_mul_lo_u32 v4, v8, v223
	v_dot4c_i32_i8_e32 v227, v146, v14
	v_mad_u64_u32 v[0:1], s[22:23], v5, v224, v[4:5]
	v_cvt_f32_i32_e32 v0, v0
	v_dot4c_i32_i8_e32 v12, v157, v9
	v_dot4c_i32_i8_e32 v227, v147, v15
	;; [unrolled: 1-line block ×4, first 2 shown]
	v_fma_f32 v2, v162, v0, 0
	v_mul_lo_u32 v0, v227, v226
	v_mov_b32_e32 v227, 0
	v_mad_u64_u32 v[0:1], s[22:23], v12, v225, v[0:1]
	v_cvt_f32_i32_e32 v0, v0
	v_fmac_f32_e32 v31, v209, v231
	v_fmac_f32_e32 v2, v163, v0
	v_or_b32_e32 v0, s20, v188
	v_lshlrev_b32_e32 v12, 2, v0
	v_lshrrev_b32_e32 v162, 1, v0
	v_fmac_f32_e32 v29, v210, v2
	ds_read_b128 v[0:3], v12 offset:33280
	ds_read_b128 v[4:7], v12 offset:33296
	;; [unrolled: 1-line block ×4, first 2 shown]
	ds_read_b64 v[162:163], v162 offset:43584
	s_waitcnt lgkmcnt(1)
	v_dot4c_i32_i8_e32 v227, v160, v12
	v_dot4c_i32_i8_e32 v227, v161, v13
	;; [unrolled: 1-line block ×3, first 2 shown]
	v_mov_b32_e32 v158, 0
	v_dot4c_i32_i8_e32 v158, v116, v8
	v_dot4c_i32_i8_e32 v158, v117, v9
	;; [unrolled: 1-line block ×3, first 2 shown]
	v_mov_b32_e32 v114, 0
	v_dot4c_i32_i8_e32 v114, v104, v4
	v_dot4c_i32_i8_e32 v114, v105, v5
	;; [unrolled: 1-line block ×4, first 2 shown]
	v_mov_b32_e32 v103, 0
	v_dot4c_i32_i8_e32 v103, v100, v0
	v_dot4c_i32_i8_e32 v103, v101, v1
	;; [unrolled: 1-line block ×3, first 2 shown]
	v_mul_lo_u32 v102, v114, v211
	v_dot4c_i32_i8_e32 v103, v99, v3
	v_dot4c_i32_i8_e32 v227, v159, v15
	v_dot4c_i32_i8_e32 v158, v115, v11
	v_mov_b32_e32 v101, 0
	v_mad_u64_u32 v[98:99], s[20:21], v103, v212, v[102:103]
	v_cvt_f32_i32_e32 v98, v98
	v_dot4c_i32_i8_e32 v101, v136, v8
	v_dot4c_i32_i8_e32 v101, v137, v9
	;; [unrolled: 1-line block ×3, first 2 shown]
	s_waitcnt lgkmcnt(0)
	v_fma_f32 v100, v162, v98, 0
	v_mul_lo_u32 v98, v227, v214
	v_mad_u64_u32 v[98:99], s[20:21], v158, v213, v[98:99]
	v_cvt_f32_i32_e32 v98, v98
	v_mov_b32_e32 v99, 0
	v_dot4c_i32_i8_e32 v99, v108, v0
	v_dot4c_i32_i8_e32 v99, v109, v1
	v_fmac_f32_e32 v100, v163, v98
	v_mov_b32_e32 v98, 0
	v_dot4c_i32_i8_e32 v98, v112, v4
	v_dot4c_i32_i8_e32 v98, v113, v5
	;; [unrolled: 1-line block ×6, first 2 shown]
	v_fmac_f32_e32 v27, v207, v100
	v_mul_lo_u32 v98, v98, v215
	v_mov_b32_e32 v100, 0
	v_mad_u64_u32 v[98:99], s[20:21], v99, v216, v[98:99]
	v_dot4c_i32_i8_e32 v100, v120, v12
	v_cvt_f32_i32_e32 v98, v98
	v_dot4c_i32_i8_e32 v100, v121, v13
	v_dot4c_i32_i8_e32 v100, v118, v14
	;; [unrolled: 1-line block ×4, first 2 shown]
	v_fma_f32 v102, v162, v98, 0
	s_nop 0
	v_mul_lo_u32 v98, v100, v218
	v_mad_u64_u32 v[98:99], s[20:21], v101, v217, v[98:99]
	v_cvt_f32_i32_e32 v98, v98
	v_mov_b32_e32 v99, 0
	v_dot4c_i32_i8_e32 v99, v124, v0
	v_dot4c_i32_i8_e32 v99, v125, v1
	v_fmac_f32_e32 v102, v163, v98
	v_mov_b32_e32 v98, 0
	v_dot4c_i32_i8_e32 v98, v128, v4
	v_dot4c_i32_i8_e32 v98, v129, v5
	;; [unrolled: 1-line block ×6, first 2 shown]
	v_mov_b32_e32 v100, 0
	v_mul_lo_u32 v98, v98, v219
	v_dot4c_i32_i8_e32 v100, v140, v12
	v_mad_u64_u32 v[98:99], s[20:21], v99, v220, v[98:99]
	v_mov_b32_e32 v101, 0
	v_cvt_f32_i32_e32 v98, v98
	v_dot4c_i32_i8_e32 v100, v141, v13
	v_dot4c_i32_i8_e32 v101, v152, v8
	;; [unrolled: 1-line block ×6, first 2 shown]
	v_fmac_f32_e32 v25, v208, v102
	v_dot4c_i32_i8_e32 v101, v149, v11
	v_fma_f32 v102, v162, v98, 0
	v_mul_lo_u32 v98, v100, v222
	s_nop 0
	v_mad_u64_u32 v[98:99], s[20:21], v101, v221, v[98:99]
	v_cvt_f32_i32_e32 v98, v98
	v_fmac_f32_e32 v102, v163, v98
	v_mov_b32_e32 v98, 0
	v_dot4c_i32_i8_e32 v98, v150, v12
	v_mov_b32_e32 v12, 0
	v_dot4c_i32_i8_e32 v12, v156, v8
	v_mov_b32_e32 v8, 0
	v_dot4c_i32_i8_e32 v8, v144, v4
	v_dot4c_i32_i8_e32 v8, v145, v5
	v_mov_b32_e32 v5, 0
	v_dot4c_i32_i8_e32 v5, v134, v0
	v_dot4c_i32_i8_e32 v8, v142, v6
	;; [unrolled: 1-line block ×7, first 2 shown]
	v_mul_lo_u32 v4, v8, v223
	v_dot4c_i32_i8_e32 v98, v146, v14
	v_mad_u64_u32 v[0:1], s[20:21], v5, v224, v[4:5]
	v_cvt_f32_i32_e32 v0, v0
	v_dot4c_i32_i8_e32 v12, v157, v9
	v_dot4c_i32_i8_e32 v98, v147, v15
	;; [unrolled: 1-line block ×4, first 2 shown]
	v_fma_f32 v2, v162, v0, 0
	v_mul_lo_u32 v0, v98, v226
	v_fmac_f32_e32 v23, v209, v102
	v_mad_u64_u32 v[0:1], s[20:21], v12, v225, v[0:1]
	v_cvt_f32_i32_e32 v0, v0
	s_mov_b32 s21, 8
	v_fmac_f32_e32 v2, v163, v0
	v_fmac_f32_e32 v17, v210, v2
	s_cbranch_vccnz .LBB156_6
; %bb.7:                                ;   in Loop: Header=BB156_5 Depth=1
	v_add_u32_e32 v14, s19, v191
	v_add_u32_e32 v0, v14, v166
	;; [unrolled: 1-line block ×6, first 2 shown]
	v_mad_i64_i32 v[0:1], s[0:1], v0, 36, v[94:95]
	v_mad_i64_i32 v[2:3], s[0:1], v2, 36, v[94:95]
	;; [unrolled: 1-line block ×4, first 2 shown]
	v_add_u32_e32 v8, v14, v178
	v_add_u32_e32 v10, v14, v181
	;; [unrolled: 1-line block ×4, first 2 shown]
	v_mad_u64_u32 v[98:99], s[0:1], v98, 36, s[2:3]
	s_barrier
	v_mad_i64_i32 v[8:9], s[0:1], v8, 36, v[94:95]
	v_mad_i64_i32 v[10:11], s[0:1], v10, 36, v[94:95]
	;; [unrolled: 1-line block ×4, first 2 shown]
	global_load_dword v98, v[98:99], off
	s_nop 0
	global_load_dword v0, v[0:1], off offset:4
	s_nop 0
	global_load_dword v1, v[2:3], off offset:4
	;; [unrolled: 2-line block ×3, first 2 shown]
	global_load_dword v3, v[6:7], off offset:4
	s_nop 0
	global_load_dword v4, v[8:9], off offset:4
	global_load_dword v5, v[10:11], off offset:4
	;; [unrolled: 1-line block ×4, first 2 shown]
	s_mov_b32 s0, 16
	s_waitcnt vmcnt(8)
	v_cvt_f32_f16_e32 v8, v98
	s_waitcnt vmcnt(7)
	ds_write_b32 v168, v0
	s_waitcnt vmcnt(6)
	ds_write_b32 v171, v1
	;; [unrolled: 2-line block ×8, first 2 shown]
	ds_write_b32 v164, v8
	s_waitcnt lgkmcnt(0)
	s_barrier
	ds_read_b32 v206, v190
	ds_read_b32 v207, v192 offset:128
	ds_read_b32 v208, v193 offset:256
	;; [unrolled: 1-line block ×3, first 2 shown]
.LBB156_8:                              ;   Parent Loop BB156_5 Depth=1
                                        ; =>  This Inner Loop Header: Depth=2
	s_lshl_b32 s1, s0, 1
	s_and_b32 s1, s1, 16
	v_or_b32_e32 v0, s1, v85
	v_lshlrev_b32_e32 v12, 2, v0
	s_lshr_b32 s19, s0, 1
	s_lshl_b32 s20, s0, 3
	v_lshrrev_b32_e32 v98, 1, v0
	ds_read_b128 v[0:3], v12 offset:33280
	ds_read_b128 v[4:7], v12 offset:33296
	;; [unrolled: 1-line block ×4, first 2 shown]
	ds_read_b64 v[162:163], v98 offset:43584
	v_add_u32_e32 v106, s19, v195
	v_add_u32_e32 v107, s20, v196
	ds_read2_b32 v[102:103], v107 offset0:6 offset1:7
	ds_read2_b32 v[104:105], v107 offset0:4 offset1:5
	;; [unrolled: 1-line block ×3, first 2 shown]
	ds_read2_b32 v[100:101], v107 offset1:1
	ds_read_b32 v108, v106
	ds_read2_b32 v[158:159], v107 offset0:14 offset1:15
	ds_read2_b32 v[160:161], v107 offset0:12 offset1:13
	v_mov_b32_e32 v106, 0
	ds_read2_b32 v[114:115], v107 offset0:10 offset1:11
	ds_read2_b32 v[116:117], v107 offset0:8 offset1:9
	s_waitcnt lgkmcnt(7)
	v_dot4c_i32_i8_e32 v106, v104, v4
	v_mov_b32_e32 v107, 0
	v_dot4c_i32_i8_e32 v106, v105, v5
	s_waitcnt lgkmcnt(5)
	v_dot4c_i32_i8_e32 v107, v100, v0
	v_dot4c_i32_i8_e32 v106, v102, v6
	;; [unrolled: 1-line block ×4, first 2 shown]
	s_waitcnt lgkmcnt(4)
	v_bfe_i32 v210, v108, 8, 8
	v_dot4c_i32_i8_e32 v107, v98, v2
	v_dot4c_i32_i8_e32 v107, v99, v3
	v_mul_lo_u32 v106, v106, v210
	v_bfe_i32 v211, v108, 0, 8
	v_mov_b32_e32 v109, 0
	v_mad_u64_u32 v[106:107], s[22:23], v107, v211, v[106:107]
	s_waitcnt lgkmcnt(2)
	v_dot4c_i32_i8_e32 v109, v160, v12
	v_mov_b32_e32 v110, 0
	v_cvt_f32_i32_e32 v106, v106
	v_dot4c_i32_i8_e32 v109, v161, v13
	s_waitcnt lgkmcnt(0)
	v_dot4c_i32_i8_e32 v110, v116, v8
	v_dot4c_i32_i8_e32 v109, v158, v14
	;; [unrolled: 1-line block ×5, first 2 shown]
	v_ashrrev_i32_e32 v213, 24, v108
	v_dot4c_i32_i8_e32 v110, v115, v11
	v_fma_f32 v111, v162, v106, 0
	v_bfe_i32 v212, v108, 16, 8
	v_mul_lo_u32 v106, v109, v213
	v_mad_u64_u32 v[106:107], s[22:23], v110, v212, v[106:107]
	v_cvt_f32_i32_e32 v106, v106
	v_add_u32_e32 v118, s19, v197
	v_add_u32_e32 v122, s20, v198
	v_mov_b32_e32 v123, 0
	v_fmac_f32_e32 v111, v163, v106
	v_fmac_f32_e32 v167, v206, v111
	ds_read2_b32 v[110:111], v122 offset0:6 offset1:7
	ds_read2_b32 v[112:113], v122 offset0:4 offset1:5
	;; [unrolled: 1-line block ×3, first 2 shown]
	ds_read2_b32 v[108:109], v122 offset1:1
	ds_read_b32 v124, v118
	ds_read2_b32 v[118:119], v122 offset0:14 offset1:15
	ds_read2_b32 v[120:121], v122 offset0:12 offset1:13
	;; [unrolled: 1-line block ×4, first 2 shown]
	v_mov_b32_e32 v122, 0
	s_waitcnt lgkmcnt(7)
	v_dot4c_i32_i8_e32 v122, v112, v4
	v_dot4c_i32_i8_e32 v122, v113, v5
	s_waitcnt lgkmcnt(5)
	v_dot4c_i32_i8_e32 v123, v108, v0
	v_dot4c_i32_i8_e32 v122, v110, v6
	;; [unrolled: 1-line block ×4, first 2 shown]
	s_waitcnt lgkmcnt(4)
	v_bfe_i32 v214, v124, 8, 8
	v_dot4c_i32_i8_e32 v123, v106, v2
	v_dot4c_i32_i8_e32 v123, v107, v3
	v_mul_lo_u32 v122, v122, v214
	v_bfe_i32 v215, v124, 0, 8
	v_mov_b32_e32 v125, 0
	v_mad_u64_u32 v[122:123], s[22:23], v123, v215, v[122:123]
	s_waitcnt lgkmcnt(2)
	v_dot4c_i32_i8_e32 v125, v120, v12
	v_mov_b32_e32 v126, 0
	v_cvt_f32_i32_e32 v122, v122
	v_dot4c_i32_i8_e32 v125, v121, v13
	s_waitcnt lgkmcnt(0)
	v_dot4c_i32_i8_e32 v126, v136, v8
	v_dot4c_i32_i8_e32 v125, v118, v14
	;; [unrolled: 1-line block ×5, first 2 shown]
	v_ashrrev_i32_e32 v217, 24, v124
	v_dot4c_i32_i8_e32 v126, v133, v11
	v_fma_f32 v127, v162, v122, 0
	v_bfe_i32 v216, v124, 16, 8
	v_mul_lo_u32 v122, v125, v217
	v_mad_u64_u32 v[122:123], s[22:23], v126, v216, v[122:123]
	v_cvt_f32_i32_e32 v122, v122
	v_add_u32_e32 v130, s19, v199
	v_add_u32_e32 v131, s20, v200
	v_mov_b32_e32 v135, 0
	v_fmac_f32_e32 v127, v163, v122
	v_fmac_f32_e32 v97, v207, v127
	ds_read2_b32 v[126:127], v131 offset0:6 offset1:7
	ds_read2_b32 v[128:129], v131 offset0:4 offset1:5
	;; [unrolled: 1-line block ×3, first 2 shown]
	ds_read2_b32 v[124:125], v131 offset1:1
	ds_read_b32 v134, v130
	ds_read2_b32 v[138:139], v131 offset0:14 offset1:15
	ds_read2_b32 v[140:141], v131 offset0:12 offset1:13
	v_mov_b32_e32 v130, 0
	ds_read2_b32 v[148:149], v131 offset0:10 offset1:11
	ds_read2_b32 v[152:153], v131 offset0:8 offset1:9
	s_waitcnt lgkmcnt(7)
	v_dot4c_i32_i8_e32 v130, v128, v4
	v_mov_b32_e32 v131, 0
	v_dot4c_i32_i8_e32 v130, v129, v5
	s_waitcnt lgkmcnt(5)
	v_dot4c_i32_i8_e32 v131, v124, v0
	v_dot4c_i32_i8_e32 v130, v126, v6
	;; [unrolled: 1-line block ×4, first 2 shown]
	s_waitcnt lgkmcnt(4)
	v_bfe_i32 v218, v134, 8, 8
	v_dot4c_i32_i8_e32 v131, v122, v2
	v_dot4c_i32_i8_e32 v131, v123, v3
	v_mul_lo_u32 v130, v130, v218
	v_bfe_i32 v219, v134, 0, 8
	s_waitcnt lgkmcnt(2)
	v_dot4c_i32_i8_e32 v135, v140, v12
	v_mad_u64_u32 v[130:131], s[22:23], v131, v219, v[130:131]
	v_mov_b32_e32 v142, 0
	v_cvt_f32_i32_e32 v130, v130
	v_dot4c_i32_i8_e32 v135, v141, v13
	s_waitcnt lgkmcnt(0)
	v_dot4c_i32_i8_e32 v142, v152, v8
	v_dot4c_i32_i8_e32 v135, v138, v14
	;; [unrolled: 1-line block ×5, first 2 shown]
	v_ashrrev_i32_e32 v221, 24, v134
	v_dot4c_i32_i8_e32 v142, v149, v11
	v_fma_f32 v143, v162, v130, 0
	v_bfe_i32 v220, v134, 16, 8
	v_mul_lo_u32 v130, v135, v221
	v_mad_u64_u32 v[130:131], s[22:23], v142, v220, v[130:131]
	v_cvt_f32_i32_e32 v130, v130
	v_add_u32_e32 v146, s19, v201
	v_add_u32_e32 v156, s20, v202
	v_mov_b32_e32 v226, 0
	v_fmac_f32_e32 v143, v163, v130
	v_fmac_f32_e32 v93, v208, v143
	ds_read2_b32 v[142:143], v156 offset0:6 offset1:7
	ds_read2_b32 v[144:145], v156 offset0:4 offset1:5
	;; [unrolled: 1-line block ×3, first 2 shown]
	ds_read2_b32 v[134:135], v156 offset1:1
	ds_read_b32 v225, v146
	ds_read2_b32 v[146:147], v156 offset0:14 offset1:15
	ds_read2_b32 v[150:151], v156 offset0:12 offset1:13
	;; [unrolled: 1-line block ×4, first 2 shown]
	v_mov_b32_e32 v227, 0
	s_waitcnt lgkmcnt(4)
	v_bfe_i32 v222, v225, 8, 8
	v_bfe_i32 v223, v225, 0, 8
	s_waitcnt lgkmcnt(2)
	v_dot4c_i32_i8_e32 v226, v150, v12
	v_mov_b32_e32 v12, 0
	s_waitcnt lgkmcnt(0)
	v_dot4c_i32_i8_e32 v12, v156, v8
	v_mov_b32_e32 v8, 0
	v_dot4c_i32_i8_e32 v8, v144, v4
	v_dot4c_i32_i8_e32 v8, v145, v5
	v_mov_b32_e32 v5, 0
	v_dot4c_i32_i8_e32 v5, v134, v0
	v_dot4c_i32_i8_e32 v8, v142, v6
	;; [unrolled: 1-line block ×7, first 2 shown]
	v_mul_lo_u32 v4, v8, v222
	v_dot4c_i32_i8_e32 v226, v146, v14
	v_mad_u64_u32 v[0:1], s[20:21], v5, v223, v[4:5]
	v_cvt_f32_i32_e32 v0, v0
	v_dot4c_i32_i8_e32 v12, v157, v9
	v_dot4c_i32_i8_e32 v226, v147, v15
	;; [unrolled: 1-line block ×3, first 2 shown]
	v_bfe_i32 v224, v225, 16, 8
	v_ashrrev_i32_e32 v225, 24, v225
	v_dot4c_i32_i8_e32 v12, v155, v11
	v_fma_f32 v2, v162, v0, 0
	v_mul_lo_u32 v0, v226, v225
	v_mov_b32_e32 v226, 0
	v_mad_u64_u32 v[0:1], s[20:21], v12, v224, v[0:1]
	v_cvt_f32_i32_e32 v0, v0
	v_mov_b32_e32 v228, 0
	v_mov_b32_e32 v229, 0
	v_fmac_f32_e32 v2, v163, v0
	v_or_b32_e32 v0, s1, v170
	v_lshlrev_b32_e32 v12, 2, v0
	v_lshrrev_b32_e32 v162, 1, v0
	v_fmac_f32_e32 v87, v209, v2
	ds_read_b128 v[0:3], v12 offset:33280
	ds_read_b128 v[4:7], v12 offset:33296
	;; [unrolled: 1-line block ×4, first 2 shown]
	ds_read_b64 v[162:163], v162 offset:43584
	s_waitcnt lgkmcnt(4)
	v_dot4c_i32_i8_e32 v227, v100, v0
	s_waitcnt lgkmcnt(3)
	v_dot4c_i32_i8_e32 v226, v104, v4
	v_dot4c_i32_i8_e32 v226, v105, v5
	;; [unrolled: 1-line block ×7, first 2 shown]
	s_waitcnt lgkmcnt(1)
	v_dot4c_i32_i8_e32 v228, v160, v12
	v_mul_lo_u32 v226, v226, v210
	v_dot4c_i32_i8_e32 v228, v161, v13
	v_mad_u64_u32 v[226:227], s[20:21], v227, v211, v[226:227]
	v_cvt_f32_i32_e32 v226, v226
	v_dot4c_i32_i8_e32 v229, v116, v8
	v_dot4c_i32_i8_e32 v228, v158, v14
	;; [unrolled: 1-line block ×6, first 2 shown]
	s_waitcnt lgkmcnt(0)
	v_fma_f32 v230, v162, v226, 0
	v_mul_lo_u32 v226, v228, v213
	v_mov_b32_e32 v228, 0
	v_mad_u64_u32 v[226:227], s[20:21], v229, v212, v[226:227]
	v_cvt_f32_i32_e32 v226, v226
	v_mov_b32_e32 v227, 0
	v_dot4c_i32_i8_e32 v227, v108, v0
	v_dot4c_i32_i8_e32 v227, v109, v1
	v_fmac_f32_e32 v230, v163, v226
	v_mov_b32_e32 v226, 0
	v_dot4c_i32_i8_e32 v226, v112, v4
	v_dot4c_i32_i8_e32 v226, v113, v5
	v_dot4c_i32_i8_e32 v226, v110, v6
	v_dot4c_i32_i8_e32 v226, v111, v7
	v_dot4c_i32_i8_e32 v227, v106, v2
	v_dot4c_i32_i8_e32 v227, v107, v3
	v_dot4c_i32_i8_e32 v228, v120, v12
	v_mul_lo_u32 v226, v226, v214
	v_mov_b32_e32 v229, 0
	v_mad_u64_u32 v[226:227], s[20:21], v227, v215, v[226:227]
	v_cvt_f32_i32_e32 v226, v226
	v_dot4c_i32_i8_e32 v228, v121, v13
	v_dot4c_i32_i8_e32 v229, v136, v8
	;; [unrolled: 1-line block ×6, first 2 shown]
	v_fmac_f32_e32 v83, v206, v230
	v_dot4c_i32_i8_e32 v229, v133, v11
	v_fma_f32 v230, v162, v226, 0
	v_mul_lo_u32 v226, v228, v217
	v_mov_b32_e32 v228, 0
	v_mad_u64_u32 v[226:227], s[20:21], v229, v216, v[226:227]
	v_cvt_f32_i32_e32 v226, v226
	v_mov_b32_e32 v227, 0
	v_dot4c_i32_i8_e32 v227, v124, v0
	v_dot4c_i32_i8_e32 v227, v125, v1
	v_fmac_f32_e32 v230, v163, v226
	v_mov_b32_e32 v226, 0
	v_dot4c_i32_i8_e32 v226, v128, v4
	v_dot4c_i32_i8_e32 v226, v129, v5
	v_dot4c_i32_i8_e32 v226, v126, v6
	v_dot4c_i32_i8_e32 v226, v127, v7
	v_dot4c_i32_i8_e32 v227, v122, v2
	v_dot4c_i32_i8_e32 v227, v123, v3
	v_dot4c_i32_i8_e32 v228, v140, v12
	v_mul_lo_u32 v226, v226, v218
	v_mov_b32_e32 v229, 0
	v_mad_u64_u32 v[226:227], s[20:21], v227, v219, v[226:227]
	v_cvt_f32_i32_e32 v226, v226
	v_dot4c_i32_i8_e32 v228, v141, v13
	v_dot4c_i32_i8_e32 v229, v152, v8
	;; [unrolled: 1-line block ×6, first 2 shown]
	v_fmac_f32_e32 v81, v207, v230
	v_dot4c_i32_i8_e32 v229, v149, v11
	v_fma_f32 v230, v162, v226, 0
	v_mul_lo_u32 v226, v228, v221
	v_mov_b32_e32 v228, 0
	v_mad_u64_u32 v[226:227], s[20:21], v229, v220, v[226:227]
	v_cvt_f32_i32_e32 v226, v226
	v_mov_b32_e32 v227, 0
	v_mov_b32_e32 v229, 0
	v_fmac_f32_e32 v230, v163, v226
	v_mov_b32_e32 v226, 0
	v_dot4c_i32_i8_e32 v226, v150, v12
	v_mov_b32_e32 v12, 0
	v_dot4c_i32_i8_e32 v12, v156, v8
	;; [unrolled: 2-line block ×3, first 2 shown]
	v_dot4c_i32_i8_e32 v8, v145, v5
	v_mov_b32_e32 v5, 0
	v_dot4c_i32_i8_e32 v5, v134, v0
	v_dot4c_i32_i8_e32 v8, v142, v6
	;; [unrolled: 1-line block ×7, first 2 shown]
	v_mul_lo_u32 v4, v8, v222
	v_dot4c_i32_i8_e32 v226, v146, v14
	v_mad_u64_u32 v[0:1], s[20:21], v5, v223, v[4:5]
	v_cvt_f32_i32_e32 v0, v0
	v_dot4c_i32_i8_e32 v12, v157, v9
	v_dot4c_i32_i8_e32 v226, v147, v15
	;; [unrolled: 1-line block ×4, first 2 shown]
	v_fma_f32 v2, v162, v0, 0
	v_mul_lo_u32 v0, v226, v225
	v_mov_b32_e32 v226, 0
	v_mad_u64_u32 v[0:1], s[20:21], v12, v224, v[0:1]
	v_cvt_f32_i32_e32 v0, v0
	v_fmac_f32_e32 v79, v208, v230
	v_fmac_f32_e32 v2, v163, v0
	v_or_b32_e32 v0, s1, v173
	v_lshlrev_b32_e32 v12, 2, v0
	v_lshrrev_b32_e32 v162, 1, v0
	v_fmac_f32_e32 v77, v209, v2
	ds_read_b128 v[0:3], v12 offset:33280
	ds_read_b128 v[4:7], v12 offset:33296
	;; [unrolled: 1-line block ×4, first 2 shown]
	ds_read_b64 v[162:163], v162 offset:43584
	s_waitcnt lgkmcnt(4)
	v_dot4c_i32_i8_e32 v227, v100, v0
	s_waitcnt lgkmcnt(3)
	v_dot4c_i32_i8_e32 v226, v104, v4
	v_dot4c_i32_i8_e32 v226, v105, v5
	;; [unrolled: 1-line block ×7, first 2 shown]
	s_waitcnt lgkmcnt(1)
	v_dot4c_i32_i8_e32 v228, v160, v12
	v_mul_lo_u32 v226, v226, v210
	v_dot4c_i32_i8_e32 v228, v161, v13
	v_mad_u64_u32 v[226:227], s[20:21], v227, v211, v[226:227]
	v_cvt_f32_i32_e32 v226, v226
	v_dot4c_i32_i8_e32 v229, v116, v8
	v_dot4c_i32_i8_e32 v228, v158, v14
	;; [unrolled: 1-line block ×6, first 2 shown]
	s_waitcnt lgkmcnt(0)
	v_fma_f32 v230, v162, v226, 0
	v_mul_lo_u32 v226, v228, v213
	v_mov_b32_e32 v228, 0
	v_mad_u64_u32 v[226:227], s[20:21], v229, v212, v[226:227]
	v_cvt_f32_i32_e32 v226, v226
	v_mov_b32_e32 v227, 0
	v_dot4c_i32_i8_e32 v227, v108, v0
	v_dot4c_i32_i8_e32 v227, v109, v1
	v_fmac_f32_e32 v230, v163, v226
	v_mov_b32_e32 v226, 0
	v_dot4c_i32_i8_e32 v226, v112, v4
	v_dot4c_i32_i8_e32 v226, v113, v5
	v_dot4c_i32_i8_e32 v226, v110, v6
	v_dot4c_i32_i8_e32 v226, v111, v7
	v_dot4c_i32_i8_e32 v227, v106, v2
	v_dot4c_i32_i8_e32 v227, v107, v3
	v_dot4c_i32_i8_e32 v228, v120, v12
	v_mul_lo_u32 v226, v226, v214
	v_mov_b32_e32 v229, 0
	v_mad_u64_u32 v[226:227], s[20:21], v227, v215, v[226:227]
	v_cvt_f32_i32_e32 v226, v226
	v_dot4c_i32_i8_e32 v228, v121, v13
	v_dot4c_i32_i8_e32 v229, v136, v8
	;; [unrolled: 1-line block ×6, first 2 shown]
	v_fmac_f32_e32 v71, v206, v230
	v_dot4c_i32_i8_e32 v229, v133, v11
	v_fma_f32 v230, v162, v226, 0
	v_mul_lo_u32 v226, v228, v217
	v_mov_b32_e32 v228, 0
	v_mad_u64_u32 v[226:227], s[20:21], v229, v216, v[226:227]
	v_cvt_f32_i32_e32 v226, v226
	v_mov_b32_e32 v227, 0
	v_dot4c_i32_i8_e32 v227, v124, v0
	v_dot4c_i32_i8_e32 v227, v125, v1
	v_fmac_f32_e32 v230, v163, v226
	v_mov_b32_e32 v226, 0
	v_dot4c_i32_i8_e32 v226, v128, v4
	v_dot4c_i32_i8_e32 v226, v129, v5
	;; [unrolled: 1-line block ×7, first 2 shown]
	v_mul_lo_u32 v226, v226, v218
	v_mov_b32_e32 v229, 0
	v_mad_u64_u32 v[226:227], s[20:21], v227, v219, v[226:227]
	v_cvt_f32_i32_e32 v226, v226
	v_dot4c_i32_i8_e32 v228, v141, v13
	v_dot4c_i32_i8_e32 v229, v152, v8
	;; [unrolled: 1-line block ×6, first 2 shown]
	v_fmac_f32_e32 v69, v207, v230
	v_dot4c_i32_i8_e32 v229, v149, v11
	v_fma_f32 v230, v162, v226, 0
	v_mul_lo_u32 v226, v228, v221
	v_mov_b32_e32 v228, 0
	v_mad_u64_u32 v[226:227], s[20:21], v229, v220, v[226:227]
	v_cvt_f32_i32_e32 v226, v226
	v_mov_b32_e32 v227, 0
	v_mov_b32_e32 v229, 0
	v_fmac_f32_e32 v230, v163, v226
	v_mov_b32_e32 v226, 0
	v_dot4c_i32_i8_e32 v226, v150, v12
	v_mov_b32_e32 v12, 0
	v_dot4c_i32_i8_e32 v12, v156, v8
	;; [unrolled: 2-line block ×3, first 2 shown]
	v_dot4c_i32_i8_e32 v8, v145, v5
	v_mov_b32_e32 v5, 0
	v_dot4c_i32_i8_e32 v5, v134, v0
	v_dot4c_i32_i8_e32 v8, v142, v6
	;; [unrolled: 1-line block ×7, first 2 shown]
	v_mul_lo_u32 v4, v8, v222
	v_dot4c_i32_i8_e32 v226, v146, v14
	v_mad_u64_u32 v[0:1], s[20:21], v5, v223, v[4:5]
	v_cvt_f32_i32_e32 v0, v0
	v_dot4c_i32_i8_e32 v12, v157, v9
	v_dot4c_i32_i8_e32 v226, v147, v15
	;; [unrolled: 1-line block ×4, first 2 shown]
	v_fma_f32 v2, v162, v0, 0
	v_mul_lo_u32 v0, v226, v225
	v_mov_b32_e32 v226, 0
	v_mad_u64_u32 v[0:1], s[20:21], v12, v224, v[0:1]
	v_cvt_f32_i32_e32 v0, v0
	v_fmac_f32_e32 v67, v208, v230
	v_fmac_f32_e32 v2, v163, v0
	v_or_b32_e32 v0, s1, v176
	v_lshlrev_b32_e32 v12, 2, v0
	v_lshrrev_b32_e32 v162, 1, v0
	v_fmac_f32_e32 v65, v209, v2
	ds_read_b128 v[0:3], v12 offset:33280
	ds_read_b128 v[4:7], v12 offset:33296
	ds_read_b128 v[8:11], v12 offset:33312
	ds_read_b128 v[12:15], v12 offset:33328
	ds_read_b64 v[162:163], v162 offset:43584
	s_waitcnt lgkmcnt(4)
	v_dot4c_i32_i8_e32 v227, v100, v0
	s_waitcnt lgkmcnt(3)
	v_dot4c_i32_i8_e32 v226, v104, v4
	v_dot4c_i32_i8_e32 v226, v105, v5
	;; [unrolled: 1-line block ×7, first 2 shown]
	s_waitcnt lgkmcnt(1)
	v_dot4c_i32_i8_e32 v228, v160, v12
	v_mul_lo_u32 v226, v226, v210
	v_dot4c_i32_i8_e32 v228, v161, v13
	v_mad_u64_u32 v[226:227], s[20:21], v227, v211, v[226:227]
	v_cvt_f32_i32_e32 v226, v226
	v_dot4c_i32_i8_e32 v229, v116, v8
	v_dot4c_i32_i8_e32 v228, v158, v14
	;; [unrolled: 1-line block ×6, first 2 shown]
	s_waitcnt lgkmcnt(0)
	v_fma_f32 v230, v162, v226, 0
	v_mul_lo_u32 v226, v228, v213
	v_mov_b32_e32 v228, 0
	v_mad_u64_u32 v[226:227], s[20:21], v229, v212, v[226:227]
	v_cvt_f32_i32_e32 v226, v226
	v_mov_b32_e32 v227, 0
	v_dot4c_i32_i8_e32 v227, v108, v0
	v_dot4c_i32_i8_e32 v227, v109, v1
	v_fmac_f32_e32 v230, v163, v226
	v_mov_b32_e32 v226, 0
	v_dot4c_i32_i8_e32 v226, v112, v4
	v_dot4c_i32_i8_e32 v226, v113, v5
	;; [unrolled: 1-line block ×7, first 2 shown]
	v_mul_lo_u32 v226, v226, v214
	v_mov_b32_e32 v229, 0
	v_mad_u64_u32 v[226:227], s[20:21], v227, v215, v[226:227]
	v_cvt_f32_i32_e32 v226, v226
	v_dot4c_i32_i8_e32 v228, v121, v13
	v_dot4c_i32_i8_e32 v229, v136, v8
	;; [unrolled: 1-line block ×6, first 2 shown]
	v_fmac_f32_e32 v63, v206, v230
	v_dot4c_i32_i8_e32 v229, v133, v11
	v_fma_f32 v230, v162, v226, 0
	v_mul_lo_u32 v226, v228, v217
	v_mov_b32_e32 v228, 0
	v_mad_u64_u32 v[226:227], s[20:21], v229, v216, v[226:227]
	v_cvt_f32_i32_e32 v226, v226
	v_mov_b32_e32 v227, 0
	v_dot4c_i32_i8_e32 v227, v124, v0
	v_dot4c_i32_i8_e32 v227, v125, v1
	v_fmac_f32_e32 v230, v163, v226
	v_mov_b32_e32 v226, 0
	v_dot4c_i32_i8_e32 v226, v128, v4
	v_dot4c_i32_i8_e32 v226, v129, v5
	;; [unrolled: 1-line block ×7, first 2 shown]
	v_mul_lo_u32 v226, v226, v218
	v_mov_b32_e32 v229, 0
	v_mad_u64_u32 v[226:227], s[20:21], v227, v219, v[226:227]
	v_cvt_f32_i32_e32 v226, v226
	v_dot4c_i32_i8_e32 v228, v141, v13
	v_dot4c_i32_i8_e32 v229, v152, v8
	;; [unrolled: 1-line block ×6, first 2 shown]
	v_fmac_f32_e32 v61, v207, v230
	v_dot4c_i32_i8_e32 v229, v149, v11
	v_fma_f32 v230, v162, v226, 0
	v_mul_lo_u32 v226, v228, v221
	v_mov_b32_e32 v228, 0
	v_mad_u64_u32 v[226:227], s[20:21], v229, v220, v[226:227]
	v_cvt_f32_i32_e32 v226, v226
	v_mov_b32_e32 v227, 0
	v_mov_b32_e32 v229, 0
	v_fmac_f32_e32 v230, v163, v226
	v_mov_b32_e32 v226, 0
	v_dot4c_i32_i8_e32 v226, v150, v12
	v_mov_b32_e32 v12, 0
	v_dot4c_i32_i8_e32 v12, v156, v8
	;; [unrolled: 2-line block ×3, first 2 shown]
	v_dot4c_i32_i8_e32 v8, v145, v5
	v_mov_b32_e32 v5, 0
	v_dot4c_i32_i8_e32 v5, v134, v0
	v_dot4c_i32_i8_e32 v8, v142, v6
	;; [unrolled: 1-line block ×7, first 2 shown]
	v_mul_lo_u32 v4, v8, v222
	v_dot4c_i32_i8_e32 v226, v146, v14
	v_mad_u64_u32 v[0:1], s[20:21], v5, v223, v[4:5]
	v_cvt_f32_i32_e32 v0, v0
	v_dot4c_i32_i8_e32 v12, v157, v9
	v_dot4c_i32_i8_e32 v226, v147, v15
	;; [unrolled: 1-line block ×4, first 2 shown]
	v_fma_f32 v2, v162, v0, 0
	v_mul_lo_u32 v0, v226, v225
	v_mov_b32_e32 v226, 0
	v_mad_u64_u32 v[0:1], s[20:21], v12, v224, v[0:1]
	v_cvt_f32_i32_e32 v0, v0
	v_fmac_f32_e32 v57, v208, v230
	v_fmac_f32_e32 v2, v163, v0
	v_or_b32_e32 v0, s1, v179
	v_lshlrev_b32_e32 v12, 2, v0
	v_lshrrev_b32_e32 v162, 1, v0
	v_fmac_f32_e32 v53, v209, v2
	ds_read_b128 v[0:3], v12 offset:33280
	ds_read_b128 v[4:7], v12 offset:33296
	;; [unrolled: 1-line block ×4, first 2 shown]
	ds_read_b64 v[162:163], v162 offset:43584
	s_waitcnt lgkmcnt(4)
	v_dot4c_i32_i8_e32 v227, v100, v0
	s_waitcnt lgkmcnt(3)
	v_dot4c_i32_i8_e32 v226, v104, v4
	v_dot4c_i32_i8_e32 v226, v105, v5
	;; [unrolled: 1-line block ×7, first 2 shown]
	s_waitcnt lgkmcnt(1)
	v_dot4c_i32_i8_e32 v228, v160, v12
	v_mul_lo_u32 v226, v226, v210
	v_dot4c_i32_i8_e32 v228, v161, v13
	v_mad_u64_u32 v[226:227], s[20:21], v227, v211, v[226:227]
	v_cvt_f32_i32_e32 v226, v226
	v_dot4c_i32_i8_e32 v229, v116, v8
	v_dot4c_i32_i8_e32 v228, v158, v14
	;; [unrolled: 1-line block ×6, first 2 shown]
	s_waitcnt lgkmcnt(0)
	v_fma_f32 v230, v162, v226, 0
	v_mul_lo_u32 v226, v228, v213
	v_mov_b32_e32 v228, 0
	v_mad_u64_u32 v[226:227], s[20:21], v229, v212, v[226:227]
	v_cvt_f32_i32_e32 v226, v226
	v_mov_b32_e32 v227, 0
	v_dot4c_i32_i8_e32 v227, v108, v0
	v_dot4c_i32_i8_e32 v227, v109, v1
	v_fmac_f32_e32 v230, v163, v226
	v_mov_b32_e32 v226, 0
	v_dot4c_i32_i8_e32 v226, v112, v4
	v_dot4c_i32_i8_e32 v226, v113, v5
	;; [unrolled: 1-line block ×7, first 2 shown]
	v_mul_lo_u32 v226, v226, v214
	v_mov_b32_e32 v229, 0
	v_mad_u64_u32 v[226:227], s[20:21], v227, v215, v[226:227]
	v_cvt_f32_i32_e32 v226, v226
	v_dot4c_i32_i8_e32 v228, v121, v13
	v_dot4c_i32_i8_e32 v229, v136, v8
	;; [unrolled: 1-line block ×6, first 2 shown]
	v_fmac_f32_e32 v51, v206, v230
	v_dot4c_i32_i8_e32 v229, v133, v11
	v_fma_f32 v230, v162, v226, 0
	v_mul_lo_u32 v226, v228, v217
	v_mov_b32_e32 v228, 0
	v_mad_u64_u32 v[226:227], s[20:21], v229, v216, v[226:227]
	v_cvt_f32_i32_e32 v226, v226
	v_mov_b32_e32 v227, 0
	v_dot4c_i32_i8_e32 v227, v124, v0
	v_dot4c_i32_i8_e32 v227, v125, v1
	v_fmac_f32_e32 v230, v163, v226
	v_mov_b32_e32 v226, 0
	v_dot4c_i32_i8_e32 v226, v128, v4
	v_dot4c_i32_i8_e32 v226, v129, v5
	;; [unrolled: 1-line block ×7, first 2 shown]
	v_mul_lo_u32 v226, v226, v218
	v_mov_b32_e32 v229, 0
	v_mad_u64_u32 v[226:227], s[20:21], v227, v219, v[226:227]
	v_cvt_f32_i32_e32 v226, v226
	v_dot4c_i32_i8_e32 v228, v141, v13
	v_dot4c_i32_i8_e32 v229, v152, v8
	;; [unrolled: 1-line block ×6, first 2 shown]
	v_fmac_f32_e32 v49, v207, v230
	v_dot4c_i32_i8_e32 v229, v149, v11
	v_fma_f32 v230, v162, v226, 0
	v_mul_lo_u32 v226, v228, v221
	v_mov_b32_e32 v228, 0
	v_mad_u64_u32 v[226:227], s[20:21], v229, v220, v[226:227]
	v_cvt_f32_i32_e32 v226, v226
	v_mov_b32_e32 v227, 0
	v_mov_b32_e32 v229, 0
	v_fmac_f32_e32 v230, v163, v226
	v_mov_b32_e32 v226, 0
	v_dot4c_i32_i8_e32 v226, v150, v12
	v_mov_b32_e32 v12, 0
	v_dot4c_i32_i8_e32 v12, v156, v8
	;; [unrolled: 2-line block ×3, first 2 shown]
	v_dot4c_i32_i8_e32 v8, v145, v5
	v_mov_b32_e32 v5, 0
	v_dot4c_i32_i8_e32 v5, v134, v0
	v_dot4c_i32_i8_e32 v8, v142, v6
	;; [unrolled: 1-line block ×7, first 2 shown]
	v_mul_lo_u32 v4, v8, v222
	v_dot4c_i32_i8_e32 v226, v146, v14
	v_mad_u64_u32 v[0:1], s[20:21], v5, v223, v[4:5]
	v_cvt_f32_i32_e32 v0, v0
	v_dot4c_i32_i8_e32 v12, v157, v9
	v_dot4c_i32_i8_e32 v226, v147, v15
	;; [unrolled: 1-line block ×4, first 2 shown]
	v_fma_f32 v2, v162, v0, 0
	v_mul_lo_u32 v0, v226, v225
	v_mov_b32_e32 v226, 0
	v_mad_u64_u32 v[0:1], s[20:21], v12, v224, v[0:1]
	v_cvt_f32_i32_e32 v0, v0
	v_fmac_f32_e32 v47, v208, v230
	v_fmac_f32_e32 v2, v163, v0
	v_or_b32_e32 v0, s1, v182
	v_lshlrev_b32_e32 v12, 2, v0
	v_lshrrev_b32_e32 v162, 1, v0
	v_fmac_f32_e32 v45, v209, v2
	ds_read_b128 v[0:3], v12 offset:33280
	ds_read_b128 v[4:7], v12 offset:33296
	;; [unrolled: 1-line block ×4, first 2 shown]
	ds_read_b64 v[162:163], v162 offset:43584
	s_waitcnt lgkmcnt(4)
	v_dot4c_i32_i8_e32 v227, v100, v0
	s_waitcnt lgkmcnt(3)
	v_dot4c_i32_i8_e32 v226, v104, v4
	v_dot4c_i32_i8_e32 v226, v105, v5
	;; [unrolled: 1-line block ×7, first 2 shown]
	s_waitcnt lgkmcnt(1)
	v_dot4c_i32_i8_e32 v228, v160, v12
	v_mul_lo_u32 v226, v226, v210
	v_dot4c_i32_i8_e32 v228, v161, v13
	v_mad_u64_u32 v[226:227], s[20:21], v227, v211, v[226:227]
	v_cvt_f32_i32_e32 v226, v226
	v_dot4c_i32_i8_e32 v229, v116, v8
	v_dot4c_i32_i8_e32 v228, v158, v14
	;; [unrolled: 1-line block ×6, first 2 shown]
	s_waitcnt lgkmcnt(0)
	v_fma_f32 v230, v162, v226, 0
	v_mul_lo_u32 v226, v228, v213
	v_mov_b32_e32 v228, 0
	v_mad_u64_u32 v[226:227], s[20:21], v229, v212, v[226:227]
	v_cvt_f32_i32_e32 v226, v226
	v_mov_b32_e32 v227, 0
	v_dot4c_i32_i8_e32 v227, v108, v0
	v_dot4c_i32_i8_e32 v227, v109, v1
	v_fmac_f32_e32 v230, v163, v226
	v_mov_b32_e32 v226, 0
	v_dot4c_i32_i8_e32 v226, v112, v4
	v_dot4c_i32_i8_e32 v226, v113, v5
	v_dot4c_i32_i8_e32 v226, v110, v6
	v_dot4c_i32_i8_e32 v226, v111, v7
	v_dot4c_i32_i8_e32 v227, v106, v2
	v_dot4c_i32_i8_e32 v227, v107, v3
	v_dot4c_i32_i8_e32 v228, v120, v12
	v_mul_lo_u32 v226, v226, v214
	v_mov_b32_e32 v229, 0
	v_mad_u64_u32 v[226:227], s[20:21], v227, v215, v[226:227]
	v_cvt_f32_i32_e32 v226, v226
	v_dot4c_i32_i8_e32 v228, v121, v13
	v_dot4c_i32_i8_e32 v229, v136, v8
	;; [unrolled: 1-line block ×6, first 2 shown]
	v_fmac_f32_e32 v43, v206, v230
	v_dot4c_i32_i8_e32 v229, v133, v11
	v_fma_f32 v230, v162, v226, 0
	v_mul_lo_u32 v226, v228, v217
	v_mov_b32_e32 v228, 0
	v_mad_u64_u32 v[226:227], s[20:21], v229, v216, v[226:227]
	v_cvt_f32_i32_e32 v226, v226
	v_mov_b32_e32 v227, 0
	v_dot4c_i32_i8_e32 v227, v124, v0
	v_dot4c_i32_i8_e32 v227, v125, v1
	v_fmac_f32_e32 v230, v163, v226
	v_mov_b32_e32 v226, 0
	v_dot4c_i32_i8_e32 v226, v128, v4
	v_dot4c_i32_i8_e32 v226, v129, v5
	;; [unrolled: 1-line block ×7, first 2 shown]
	v_mul_lo_u32 v226, v226, v218
	v_mov_b32_e32 v229, 0
	v_mad_u64_u32 v[226:227], s[20:21], v227, v219, v[226:227]
	v_cvt_f32_i32_e32 v226, v226
	v_dot4c_i32_i8_e32 v228, v141, v13
	v_dot4c_i32_i8_e32 v229, v152, v8
	;; [unrolled: 1-line block ×6, first 2 shown]
	v_fmac_f32_e32 v41, v207, v230
	v_dot4c_i32_i8_e32 v229, v149, v11
	v_fma_f32 v230, v162, v226, 0
	v_mul_lo_u32 v226, v228, v221
	v_mov_b32_e32 v228, 0
	v_mad_u64_u32 v[226:227], s[20:21], v229, v220, v[226:227]
	v_cvt_f32_i32_e32 v226, v226
	v_mov_b32_e32 v227, 0
	v_mov_b32_e32 v229, 0
	v_fmac_f32_e32 v230, v163, v226
	v_mov_b32_e32 v226, 0
	v_dot4c_i32_i8_e32 v226, v150, v12
	v_mov_b32_e32 v12, 0
	v_dot4c_i32_i8_e32 v12, v156, v8
	;; [unrolled: 2-line block ×3, first 2 shown]
	v_dot4c_i32_i8_e32 v8, v145, v5
	v_mov_b32_e32 v5, 0
	v_dot4c_i32_i8_e32 v5, v134, v0
	v_dot4c_i32_i8_e32 v8, v142, v6
	v_dot4c_i32_i8_e32 v5, v135, v1
	v_dot4c_i32_i8_e32 v8, v143, v7
	v_dot4c_i32_i8_e32 v5, v130, v2
	v_dot4c_i32_i8_e32 v5, v131, v3
	v_dot4c_i32_i8_e32 v226, v151, v13
	v_mul_lo_u32 v4, v8, v222
	v_dot4c_i32_i8_e32 v226, v146, v14
	v_mad_u64_u32 v[0:1], s[20:21], v5, v223, v[4:5]
	v_cvt_f32_i32_e32 v0, v0
	v_dot4c_i32_i8_e32 v12, v157, v9
	v_dot4c_i32_i8_e32 v226, v147, v15
	;; [unrolled: 1-line block ×4, first 2 shown]
	v_fma_f32 v2, v162, v0, 0
	v_mul_lo_u32 v0, v226, v225
	v_mov_b32_e32 v226, 0
	v_mad_u64_u32 v[0:1], s[20:21], v12, v224, v[0:1]
	v_cvt_f32_i32_e32 v0, v0
	v_fmac_f32_e32 v39, v208, v230
	v_fmac_f32_e32 v2, v163, v0
	v_or_b32_e32 v0, s1, v185
	v_lshlrev_b32_e32 v12, 2, v0
	v_lshrrev_b32_e32 v162, 1, v0
	v_fmac_f32_e32 v37, v209, v2
	ds_read_b128 v[0:3], v12 offset:33280
	ds_read_b128 v[4:7], v12 offset:33296
	;; [unrolled: 1-line block ×4, first 2 shown]
	ds_read_b64 v[162:163], v162 offset:43584
	s_waitcnt lgkmcnt(4)
	v_dot4c_i32_i8_e32 v227, v100, v0
	s_waitcnt lgkmcnt(3)
	v_dot4c_i32_i8_e32 v226, v104, v4
	v_dot4c_i32_i8_e32 v226, v105, v5
	v_dot4c_i32_i8_e32 v226, v102, v6
	v_dot4c_i32_i8_e32 v227, v101, v1
	v_dot4c_i32_i8_e32 v226, v103, v7
	v_dot4c_i32_i8_e32 v227, v98, v2
	v_dot4c_i32_i8_e32 v227, v99, v3
	s_waitcnt lgkmcnt(1)
	v_dot4c_i32_i8_e32 v228, v160, v12
	v_mul_lo_u32 v226, v226, v210
	v_dot4c_i32_i8_e32 v228, v161, v13
	v_mad_u64_u32 v[226:227], s[20:21], v227, v211, v[226:227]
	v_cvt_f32_i32_e32 v226, v226
	v_dot4c_i32_i8_e32 v229, v116, v8
	v_dot4c_i32_i8_e32 v228, v158, v14
	;; [unrolled: 1-line block ×6, first 2 shown]
	s_waitcnt lgkmcnt(0)
	v_fma_f32 v230, v162, v226, 0
	v_mul_lo_u32 v226, v228, v213
	v_mov_b32_e32 v228, 0
	v_mad_u64_u32 v[226:227], s[20:21], v229, v212, v[226:227]
	v_cvt_f32_i32_e32 v226, v226
	v_mov_b32_e32 v227, 0
	v_dot4c_i32_i8_e32 v227, v108, v0
	v_dot4c_i32_i8_e32 v227, v109, v1
	v_fmac_f32_e32 v230, v163, v226
	v_mov_b32_e32 v226, 0
	v_dot4c_i32_i8_e32 v226, v112, v4
	v_dot4c_i32_i8_e32 v226, v113, v5
	;; [unrolled: 1-line block ×7, first 2 shown]
	v_mul_lo_u32 v226, v226, v214
	v_mov_b32_e32 v229, 0
	v_mad_u64_u32 v[226:227], s[20:21], v227, v215, v[226:227]
	v_cvt_f32_i32_e32 v226, v226
	v_dot4c_i32_i8_e32 v228, v121, v13
	v_dot4c_i32_i8_e32 v229, v136, v8
	;; [unrolled: 1-line block ×6, first 2 shown]
	v_fmac_f32_e32 v35, v206, v230
	v_dot4c_i32_i8_e32 v229, v133, v11
	v_fma_f32 v230, v162, v226, 0
	v_mul_lo_u32 v226, v228, v217
	v_mov_b32_e32 v228, 0
	v_mad_u64_u32 v[226:227], s[20:21], v229, v216, v[226:227]
	v_cvt_f32_i32_e32 v226, v226
	v_mov_b32_e32 v227, 0
	v_dot4c_i32_i8_e32 v227, v124, v0
	v_dot4c_i32_i8_e32 v227, v125, v1
	v_fmac_f32_e32 v230, v163, v226
	v_mov_b32_e32 v226, 0
	v_dot4c_i32_i8_e32 v226, v128, v4
	v_dot4c_i32_i8_e32 v226, v129, v5
	;; [unrolled: 1-line block ×7, first 2 shown]
	v_mul_lo_u32 v226, v226, v218
	v_mov_b32_e32 v229, 0
	v_mad_u64_u32 v[226:227], s[20:21], v227, v219, v[226:227]
	v_cvt_f32_i32_e32 v226, v226
	v_dot4c_i32_i8_e32 v228, v141, v13
	v_dot4c_i32_i8_e32 v229, v152, v8
	v_dot4c_i32_i8_e32 v228, v138, v14
	v_dot4c_i32_i8_e32 v229, v153, v9
	v_dot4c_i32_i8_e32 v228, v139, v15
	v_dot4c_i32_i8_e32 v229, v148, v10
	v_fmac_f32_e32 v33, v207, v230
	v_dot4c_i32_i8_e32 v229, v149, v11
	v_fma_f32 v230, v162, v226, 0
	v_mul_lo_u32 v226, v228, v221
	s_nop 0
	v_mad_u64_u32 v[226:227], s[20:21], v229, v220, v[226:227]
	v_cvt_f32_i32_e32 v226, v226
	v_fmac_f32_e32 v230, v163, v226
	v_mov_b32_e32 v226, 0
	v_dot4c_i32_i8_e32 v226, v150, v12
	v_mov_b32_e32 v12, 0
	v_dot4c_i32_i8_e32 v12, v156, v8
	;; [unrolled: 2-line block ×3, first 2 shown]
	v_dot4c_i32_i8_e32 v8, v145, v5
	v_mov_b32_e32 v5, 0
	v_dot4c_i32_i8_e32 v5, v134, v0
	v_dot4c_i32_i8_e32 v8, v142, v6
	v_dot4c_i32_i8_e32 v5, v135, v1
	v_dot4c_i32_i8_e32 v8, v143, v7
	v_dot4c_i32_i8_e32 v5, v130, v2
	v_dot4c_i32_i8_e32 v5, v131, v3
	v_dot4c_i32_i8_e32 v226, v151, v13
	v_mul_lo_u32 v4, v8, v222
	v_dot4c_i32_i8_e32 v226, v146, v14
	v_mad_u64_u32 v[0:1], s[20:21], v5, v223, v[4:5]
	v_cvt_f32_i32_e32 v0, v0
	v_dot4c_i32_i8_e32 v12, v157, v9
	v_dot4c_i32_i8_e32 v226, v147, v15
	;; [unrolled: 1-line block ×4, first 2 shown]
	v_fma_f32 v2, v162, v0, 0
	v_mul_lo_u32 v0, v226, v225
	v_mov_b32_e32 v226, 0
	v_mad_u64_u32 v[0:1], s[20:21], v12, v224, v[0:1]
	v_cvt_f32_i32_e32 v0, v0
	v_fmac_f32_e32 v31, v208, v230
	v_fmac_f32_e32 v2, v163, v0
	v_or_b32_e32 v0, s1, v188
	v_lshlrev_b32_e32 v12, 2, v0
	v_lshrrev_b32_e32 v162, 1, v0
	v_fmac_f32_e32 v29, v209, v2
	ds_read_b128 v[0:3], v12 offset:33280
	ds_read_b128 v[4:7], v12 offset:33296
	;; [unrolled: 1-line block ×4, first 2 shown]
	ds_read_b64 v[162:163], v162 offset:43584
	s_add_i32 s1, s0, 8
	s_cmp_lt_u32 s0, 24
	s_mov_b32 s0, s1
	s_waitcnt lgkmcnt(1)
	v_dot4c_i32_i8_e32 v226, v160, v12
	v_dot4c_i32_i8_e32 v226, v161, v13
	v_dot4c_i32_i8_e32 v226, v158, v14
	v_mov_b32_e32 v158, 0
	v_dot4c_i32_i8_e32 v158, v116, v8
	v_dot4c_i32_i8_e32 v158, v117, v9
	;; [unrolled: 1-line block ×3, first 2 shown]
	v_mov_b32_e32 v114, 0
	v_dot4c_i32_i8_e32 v114, v104, v4
	v_dot4c_i32_i8_e32 v114, v105, v5
	;; [unrolled: 1-line block ×4, first 2 shown]
	v_mov_b32_e32 v103, 0
	v_dot4c_i32_i8_e32 v103, v100, v0
	v_dot4c_i32_i8_e32 v103, v101, v1
	;; [unrolled: 1-line block ×3, first 2 shown]
	v_mul_lo_u32 v102, v114, v210
	v_dot4c_i32_i8_e32 v103, v99, v3
	v_dot4c_i32_i8_e32 v226, v159, v15
	v_dot4c_i32_i8_e32 v158, v115, v11
	v_mov_b32_e32 v101, 0
	v_mad_u64_u32 v[98:99], s[20:21], v103, v211, v[102:103]
	v_cvt_f32_i32_e32 v98, v98
	v_dot4c_i32_i8_e32 v101, v136, v8
	v_dot4c_i32_i8_e32 v101, v137, v9
	;; [unrolled: 1-line block ×3, first 2 shown]
	s_waitcnt lgkmcnt(0)
	v_fma_f32 v100, v162, v98, 0
	v_mul_lo_u32 v98, v226, v213
	v_mad_u64_u32 v[98:99], s[20:21], v158, v212, v[98:99]
	v_cvt_f32_i32_e32 v98, v98
	v_mov_b32_e32 v99, 0
	v_dot4c_i32_i8_e32 v99, v108, v0
	v_dot4c_i32_i8_e32 v99, v109, v1
	v_fmac_f32_e32 v100, v163, v98
	v_mov_b32_e32 v98, 0
	v_dot4c_i32_i8_e32 v98, v112, v4
	v_dot4c_i32_i8_e32 v98, v113, v5
	;; [unrolled: 1-line block ×6, first 2 shown]
	v_fmac_f32_e32 v27, v206, v100
	v_mul_lo_u32 v98, v98, v214
	v_mov_b32_e32 v100, 0
	v_mad_u64_u32 v[98:99], s[20:21], v99, v215, v[98:99]
	v_dot4c_i32_i8_e32 v100, v120, v12
	v_cvt_f32_i32_e32 v98, v98
	v_dot4c_i32_i8_e32 v100, v121, v13
	v_dot4c_i32_i8_e32 v100, v118, v14
	;; [unrolled: 1-line block ×4, first 2 shown]
	v_fma_f32 v102, v162, v98, 0
	s_nop 0
	v_mul_lo_u32 v98, v100, v217
	v_mad_u64_u32 v[98:99], s[20:21], v101, v216, v[98:99]
	v_cvt_f32_i32_e32 v98, v98
	v_mov_b32_e32 v99, 0
	v_dot4c_i32_i8_e32 v99, v124, v0
	v_dot4c_i32_i8_e32 v99, v125, v1
	v_fmac_f32_e32 v102, v163, v98
	v_mov_b32_e32 v98, 0
	v_dot4c_i32_i8_e32 v98, v128, v4
	v_dot4c_i32_i8_e32 v98, v129, v5
	;; [unrolled: 1-line block ×6, first 2 shown]
	v_mov_b32_e32 v100, 0
	v_mul_lo_u32 v98, v98, v218
	v_dot4c_i32_i8_e32 v100, v140, v12
	v_mad_u64_u32 v[98:99], s[20:21], v99, v219, v[98:99]
	v_mov_b32_e32 v101, 0
	v_cvt_f32_i32_e32 v98, v98
	v_dot4c_i32_i8_e32 v100, v141, v13
	v_dot4c_i32_i8_e32 v101, v152, v8
	;; [unrolled: 1-line block ×6, first 2 shown]
	v_fmac_f32_e32 v25, v207, v102
	v_dot4c_i32_i8_e32 v101, v149, v11
	v_fma_f32 v102, v162, v98, 0
	v_mul_lo_u32 v98, v100, v221
	s_nop 0
	v_mad_u64_u32 v[98:99], s[20:21], v101, v220, v[98:99]
	v_cvt_f32_i32_e32 v98, v98
	v_fmac_f32_e32 v102, v163, v98
	v_mov_b32_e32 v98, 0
	v_dot4c_i32_i8_e32 v98, v150, v12
	v_mov_b32_e32 v12, 0
	v_dot4c_i32_i8_e32 v12, v156, v8
	v_mov_b32_e32 v8, 0
	v_dot4c_i32_i8_e32 v8, v144, v4
	v_dot4c_i32_i8_e32 v8, v145, v5
	v_mov_b32_e32 v5, 0
	v_dot4c_i32_i8_e32 v5, v134, v0
	v_dot4c_i32_i8_e32 v8, v142, v6
	;; [unrolled: 1-line block ×7, first 2 shown]
	v_mul_lo_u32 v4, v8, v222
	v_dot4c_i32_i8_e32 v98, v146, v14
	v_mad_u64_u32 v[0:1], s[20:21], v5, v223, v[4:5]
	v_cvt_f32_i32_e32 v0, v0
	v_dot4c_i32_i8_e32 v12, v157, v9
	v_dot4c_i32_i8_e32 v98, v147, v15
	;; [unrolled: 1-line block ×4, first 2 shown]
	v_fma_f32 v2, v162, v0, 0
	v_mul_lo_u32 v0, v98, v225
	v_fmac_f32_e32 v23, v208, v102
	v_mad_u64_u32 v[0:1], s[20:21], v12, v224, v[0:1]
	v_cvt_f32_i32_e32 v0, v0
	v_fmac_f32_e32 v2, v163, v0
	v_fmac_f32_e32 v17, v209, v2
	s_cbranch_scc1 .LBB156_8
; %bb.9:                                ;   in Loop: Header=BB156_5 Depth=1
	s_add_i32 s9, s9, 1
	s_cmp_eq_u32 s9, s4
	s_barrier
	s_cbranch_scc0 .LBB156_5
; %bb.10:
	v_mov_b32_e32 v1, v59
.LBB156_11:
	v_cmp_gt_u32_e32 vcc, s10, v73
	s_and_saveexec_b64 s[0:1], vcc
	s_cbranch_execz .LBB156_62
; %bb.12:
	v_add_u32_e32 v0, s6, v55
	v_mul_lo_u32 v5, v73, s14
	v_cmp_gt_u32_e32 vcc, s14, v0
	s_and_saveexec_b64 s[0:1], vcc
	s_cbranch_execz .LBB156_14
; %bb.13:
	v_cvt_f16_f32_e32 v4, v167
	v_add_u32_e32 v2, v0, v5
	v_mov_b32_e32 v3, 0
	s_waitcnt lgkmcnt(0)
	v_lshl_add_u64 v[2:3], v[2:3], 1, s[12:13]
	global_store_short v[2:3], v4, off
.LBB156_14:
	s_or_b64 exec, exec, s[0:1]
	v_add_u32_e32 v2, 32, v0
	v_cmp_gt_u32_e64 s[0:1], s14, v2
	s_and_saveexec_b64 s[2:3], s[0:1]
	s_cbranch_execz .LBB156_16
; %bb.15:
	v_cvt_f16_f32_e32 v3, v97
	v_add_u32_e32 v6, v2, v5
	v_mov_b32_e32 v7, 0
	s_waitcnt lgkmcnt(0)
	v_lshl_add_u64 v[6:7], v[6:7], 1, s[12:13]
	global_store_short v[6:7], v3, off
.LBB156_16:
	s_or_b64 exec, exec, s[2:3]
	v_add_u32_e32 v3, 64, v0
	v_cmp_gt_u32_e64 s[2:3], s14, v3
	s_and_saveexec_b64 s[4:5], s[2:3]
	;; [unrolled: 13-line block ×3, first 2 shown]
	s_cbranch_execz .LBB156_20
; %bb.19:
	v_cvt_f16_f32_e32 v8, v87
	v_add_u32_e32 v6, v4, v5
	v_mov_b32_e32 v7, 0
	s_waitcnt lgkmcnt(0)
	v_lshl_add_u64 v[6:7], v[6:7], 1, s[12:13]
	global_store_short v[6:7], v8, off
.LBB156_20:
	s_or_b64 exec, exec, s[6:7]
	v_add3_u32 v5, v1, s15, 8
	v_cmp_gt_u32_e64 s[6:7], s10, v5
	s_and_b64 exec, exec, s[6:7]
	s_cbranch_execz .LBB156_62
; %bb.21:
	v_mul_lo_u32 v5, v5, s14
	s_and_saveexec_b64 s[6:7], vcc
	s_cbranch_execnz .LBB156_63
; %bb.22:
	s_or_b64 exec, exec, s[6:7]
	s_and_saveexec_b64 s[6:7], s[0:1]
	s_cbranch_execnz .LBB156_64
.LBB156_23:
	s_or_b64 exec, exec, s[6:7]
	s_and_saveexec_b64 s[6:7], s[2:3]
	s_cbranch_execnz .LBB156_65
.LBB156_24:
	s_or_b64 exec, exec, s[6:7]
	s_and_saveexec_b64 s[6:7], s[4:5]
	s_cbranch_execz .LBB156_26
.LBB156_25:
	v_cvt_f16_f32_e32 v8, v77
	v_add_u32_e32 v6, v5, v4
	v_mov_b32_e32 v7, 0
	s_waitcnt lgkmcnt(0)
	v_lshl_add_u64 v[6:7], v[6:7], 1, s[12:13]
	global_store_short v[6:7], v8, off
.LBB156_26:
	s_or_b64 exec, exec, s[6:7]
	v_add3_u32 v5, v1, s15, 16
	v_cmp_gt_u32_e64 s[6:7], s10, v5
	s_and_b64 exec, exec, s[6:7]
	s_cbranch_execz .LBB156_62
; %bb.27:
	v_mul_lo_u32 v5, v5, s14
	s_and_saveexec_b64 s[6:7], vcc
	s_cbranch_execnz .LBB156_66
; %bb.28:
	s_or_b64 exec, exec, s[6:7]
	s_and_saveexec_b64 s[6:7], s[0:1]
	s_cbranch_execnz .LBB156_67
.LBB156_29:
	s_or_b64 exec, exec, s[6:7]
	s_and_saveexec_b64 s[6:7], s[2:3]
	s_cbranch_execnz .LBB156_68
.LBB156_30:
	s_or_b64 exec, exec, s[6:7]
	s_and_saveexec_b64 s[6:7], s[4:5]
	s_cbranch_execz .LBB156_32
.LBB156_31:
	v_cvt_f16_f32_e32 v8, v65
	v_add_u32_e32 v6, v5, v4
	v_mov_b32_e32 v7, 0
	s_waitcnt lgkmcnt(0)
	v_lshl_add_u64 v[6:7], v[6:7], 1, s[12:13]
	global_store_short v[6:7], v8, off
.LBB156_32:
	s_or_b64 exec, exec, s[6:7]
	v_add3_u32 v5, v1, s15, 24
	v_cmp_gt_u32_e64 s[6:7], s10, v5
	s_and_b64 exec, exec, s[6:7]
	s_cbranch_execz .LBB156_62
; %bb.33:
	v_mul_lo_u32 v5, v5, s14
	s_and_saveexec_b64 s[6:7], vcc
	s_cbranch_execnz .LBB156_69
; %bb.34:
	s_or_b64 exec, exec, s[6:7]
	s_and_saveexec_b64 s[6:7], s[0:1]
	s_cbranch_execnz .LBB156_70
.LBB156_35:
	s_or_b64 exec, exec, s[6:7]
	s_and_saveexec_b64 s[6:7], s[2:3]
	s_cbranch_execnz .LBB156_71
.LBB156_36:
	s_or_b64 exec, exec, s[6:7]
	s_and_saveexec_b64 s[6:7], s[4:5]
	s_cbranch_execz .LBB156_38
.LBB156_37:
	v_cvt_f16_f32_e32 v8, v53
	v_add_u32_e32 v6, v5, v4
	v_mov_b32_e32 v7, 0
	s_waitcnt lgkmcnt(0)
	v_lshl_add_u64 v[6:7], v[6:7], 1, s[12:13]
	global_store_short v[6:7], v8, off
.LBB156_38:
	s_or_b64 exec, exec, s[6:7]
	v_add3_u32 v5, v1, s15, 32
	v_cmp_gt_u32_e64 s[6:7], s10, v5
	s_and_b64 exec, exec, s[6:7]
	s_cbranch_execz .LBB156_62
; %bb.39:
	v_mul_lo_u32 v5, v5, s14
	s_and_saveexec_b64 s[6:7], vcc
	s_cbranch_execnz .LBB156_72
; %bb.40:
	s_or_b64 exec, exec, s[6:7]
	s_and_saveexec_b64 s[6:7], s[0:1]
	s_cbranch_execnz .LBB156_73
.LBB156_41:
	s_or_b64 exec, exec, s[6:7]
	s_and_saveexec_b64 s[6:7], s[2:3]
	s_cbranch_execnz .LBB156_74
.LBB156_42:
	s_or_b64 exec, exec, s[6:7]
	s_and_saveexec_b64 s[6:7], s[4:5]
	s_cbranch_execz .LBB156_44
.LBB156_43:
	v_cvt_f16_f32_e32 v8, v45
	v_add_u32_e32 v6, v5, v4
	v_mov_b32_e32 v7, 0
	s_waitcnt lgkmcnt(0)
	v_lshl_add_u64 v[6:7], v[6:7], 1, s[12:13]
	global_store_short v[6:7], v8, off
.LBB156_44:
	s_or_b64 exec, exec, s[6:7]
	v_add3_u32 v5, v1, s15, 40
	v_cmp_gt_u32_e64 s[6:7], s10, v5
	s_and_b64 exec, exec, s[6:7]
	s_cbranch_execz .LBB156_62
; %bb.45:
	v_mul_lo_u32 v5, v5, s14
	s_and_saveexec_b64 s[6:7], vcc
	s_cbranch_execnz .LBB156_75
; %bb.46:
	s_or_b64 exec, exec, s[6:7]
	s_and_saveexec_b64 s[6:7], s[0:1]
	s_cbranch_execnz .LBB156_76
.LBB156_47:
	s_or_b64 exec, exec, s[6:7]
	s_and_saveexec_b64 s[6:7], s[2:3]
	s_cbranch_execnz .LBB156_77
.LBB156_48:
	s_or_b64 exec, exec, s[6:7]
	s_and_saveexec_b64 s[6:7], s[4:5]
	s_cbranch_execz .LBB156_50
.LBB156_49:
	v_cvt_f16_f32_e32 v8, v37
	v_add_u32_e32 v6, v5, v4
	v_mov_b32_e32 v7, 0
	s_waitcnt lgkmcnt(0)
	v_lshl_add_u64 v[6:7], v[6:7], 1, s[12:13]
	global_store_short v[6:7], v8, off
.LBB156_50:
	s_or_b64 exec, exec, s[6:7]
	v_add3_u32 v5, v1, s15, 48
	v_cmp_gt_u32_e64 s[6:7], s10, v5
	s_and_b64 exec, exec, s[6:7]
	s_cbranch_execz .LBB156_62
; %bb.51:
	v_mul_lo_u32 v5, v5, s14
	s_and_saveexec_b64 s[6:7], vcc
	s_cbranch_execnz .LBB156_78
; %bb.52:
	s_or_b64 exec, exec, s[6:7]
	s_and_saveexec_b64 s[6:7], s[0:1]
	s_cbranch_execnz .LBB156_79
.LBB156_53:
	s_or_b64 exec, exec, s[6:7]
	s_and_saveexec_b64 s[6:7], s[2:3]
	s_cbranch_execnz .LBB156_80
.LBB156_54:
	s_or_b64 exec, exec, s[6:7]
	s_and_saveexec_b64 s[6:7], s[4:5]
	s_cbranch_execz .LBB156_56
.LBB156_55:
	v_cvt_f16_f32_e32 v8, v29
	v_add_u32_e32 v6, v5, v4
	v_mov_b32_e32 v7, 0
	s_waitcnt lgkmcnt(0)
	v_lshl_add_u64 v[6:7], v[6:7], 1, s[12:13]
	global_store_short v[6:7], v8, off
.LBB156_56:
	s_or_b64 exec, exec, s[6:7]
	v_add3_u32 v1, v1, s15, 56
	v_cmp_gt_u32_e64 s[6:7], s10, v1
	s_and_b64 exec, exec, s[6:7]
	s_cbranch_execz .LBB156_62
; %bb.57:
	v_mul_lo_u32 v1, v1, s14
	s_and_saveexec_b64 s[6:7], vcc
	s_cbranch_execnz .LBB156_81
; %bb.58:
	s_or_b64 exec, exec, s[6:7]
	s_and_saveexec_b64 s[6:7], s[0:1]
	s_cbranch_execnz .LBB156_82
.LBB156_59:
	s_or_b64 exec, exec, s[6:7]
	s_and_saveexec_b64 s[0:1], s[2:3]
	s_cbranch_execnz .LBB156_83
.LBB156_60:
	s_or_b64 exec, exec, s[0:1]
	s_and_b64 exec, exec, s[4:5]
	s_cbranch_execz .LBB156_62
.LBB156_61:
	v_cvt_f16_f32_e32 v2, v17
	v_add_u32_e32 v0, v1, v4
	v_mov_b32_e32 v1, 0
	s_waitcnt lgkmcnt(0)
	v_lshl_add_u64 v[0:1], v[0:1], 1, s[12:13]
	global_store_short v[0:1], v2, off
.LBB156_62:
	s_endpgm
.LBB156_63:
	v_cvt_f16_f32_e32 v8, v83
	v_add_u32_e32 v6, v5, v0
	v_mov_b32_e32 v7, 0
	s_waitcnt lgkmcnt(0)
	v_lshl_add_u64 v[6:7], v[6:7], 1, s[12:13]
	global_store_short v[6:7], v8, off
	s_or_b64 exec, exec, s[6:7]
	s_and_saveexec_b64 s[6:7], s[0:1]
	s_cbranch_execz .LBB156_23
.LBB156_64:
	v_cvt_f16_f32_e32 v8, v81
	v_add_u32_e32 v6, v5, v2
	v_mov_b32_e32 v7, 0
	s_waitcnt lgkmcnt(0)
	v_lshl_add_u64 v[6:7], v[6:7], 1, s[12:13]
	global_store_short v[6:7], v8, off
	s_or_b64 exec, exec, s[6:7]
	s_and_saveexec_b64 s[6:7], s[2:3]
	s_cbranch_execz .LBB156_24
.LBB156_65:
	v_cvt_f16_f32_e32 v8, v79
	v_add_u32_e32 v6, v5, v3
	v_mov_b32_e32 v7, 0
	s_waitcnt lgkmcnt(0)
	v_lshl_add_u64 v[6:7], v[6:7], 1, s[12:13]
	global_store_short v[6:7], v8, off
	s_or_b64 exec, exec, s[6:7]
	s_and_saveexec_b64 s[6:7], s[4:5]
	s_cbranch_execnz .LBB156_25
	s_branch .LBB156_26
.LBB156_66:
	v_cvt_f16_f32_e32 v8, v71
	v_add_u32_e32 v6, v5, v0
	v_mov_b32_e32 v7, 0
	s_waitcnt lgkmcnt(0)
	v_lshl_add_u64 v[6:7], v[6:7], 1, s[12:13]
	global_store_short v[6:7], v8, off
	s_or_b64 exec, exec, s[6:7]
	s_and_saveexec_b64 s[6:7], s[0:1]
	s_cbranch_execz .LBB156_29
.LBB156_67:
	v_cvt_f16_f32_e32 v8, v69
	v_add_u32_e32 v6, v5, v2
	v_mov_b32_e32 v7, 0
	s_waitcnt lgkmcnt(0)
	v_lshl_add_u64 v[6:7], v[6:7], 1, s[12:13]
	global_store_short v[6:7], v8, off
	s_or_b64 exec, exec, s[6:7]
	s_and_saveexec_b64 s[6:7], s[2:3]
	s_cbranch_execz .LBB156_30
.LBB156_68:
	v_cvt_f16_f32_e32 v8, v67
	v_add_u32_e32 v6, v5, v3
	v_mov_b32_e32 v7, 0
	s_waitcnt lgkmcnt(0)
	v_lshl_add_u64 v[6:7], v[6:7], 1, s[12:13]
	global_store_short v[6:7], v8, off
	s_or_b64 exec, exec, s[6:7]
	s_and_saveexec_b64 s[6:7], s[4:5]
	s_cbranch_execnz .LBB156_31
	s_branch .LBB156_32
.LBB156_69:
	v_cvt_f16_f32_e32 v8, v63
	v_add_u32_e32 v6, v5, v0
	v_mov_b32_e32 v7, 0
	s_waitcnt lgkmcnt(0)
	v_lshl_add_u64 v[6:7], v[6:7], 1, s[12:13]
	global_store_short v[6:7], v8, off
	s_or_b64 exec, exec, s[6:7]
	s_and_saveexec_b64 s[6:7], s[0:1]
	s_cbranch_execz .LBB156_35
.LBB156_70:
	v_cvt_f16_f32_e32 v8, v61
	v_add_u32_e32 v6, v5, v2
	v_mov_b32_e32 v7, 0
	s_waitcnt lgkmcnt(0)
	v_lshl_add_u64 v[6:7], v[6:7], 1, s[12:13]
	global_store_short v[6:7], v8, off
	s_or_b64 exec, exec, s[6:7]
	s_and_saveexec_b64 s[6:7], s[2:3]
	s_cbranch_execz .LBB156_36
.LBB156_71:
	v_cvt_f16_f32_e32 v8, v57
	v_add_u32_e32 v6, v5, v3
	v_mov_b32_e32 v7, 0
	s_waitcnt lgkmcnt(0)
	v_lshl_add_u64 v[6:7], v[6:7], 1, s[12:13]
	global_store_short v[6:7], v8, off
	s_or_b64 exec, exec, s[6:7]
	s_and_saveexec_b64 s[6:7], s[4:5]
	s_cbranch_execnz .LBB156_37
	s_branch .LBB156_38
.LBB156_72:
	v_cvt_f16_f32_e32 v8, v51
	v_add_u32_e32 v6, v5, v0
	v_mov_b32_e32 v7, 0
	s_waitcnt lgkmcnt(0)
	v_lshl_add_u64 v[6:7], v[6:7], 1, s[12:13]
	global_store_short v[6:7], v8, off
	s_or_b64 exec, exec, s[6:7]
	s_and_saveexec_b64 s[6:7], s[0:1]
	s_cbranch_execz .LBB156_41
.LBB156_73:
	v_cvt_f16_f32_e32 v8, v49
	v_add_u32_e32 v6, v5, v2
	v_mov_b32_e32 v7, 0
	s_waitcnt lgkmcnt(0)
	v_lshl_add_u64 v[6:7], v[6:7], 1, s[12:13]
	global_store_short v[6:7], v8, off
	s_or_b64 exec, exec, s[6:7]
	s_and_saveexec_b64 s[6:7], s[2:3]
	s_cbranch_execz .LBB156_42
.LBB156_74:
	v_cvt_f16_f32_e32 v8, v47
	v_add_u32_e32 v6, v5, v3
	v_mov_b32_e32 v7, 0
	s_waitcnt lgkmcnt(0)
	v_lshl_add_u64 v[6:7], v[6:7], 1, s[12:13]
	global_store_short v[6:7], v8, off
	s_or_b64 exec, exec, s[6:7]
	s_and_saveexec_b64 s[6:7], s[4:5]
	s_cbranch_execnz .LBB156_43
	s_branch .LBB156_44
.LBB156_75:
	v_cvt_f16_f32_e32 v8, v43
	v_add_u32_e32 v6, v5, v0
	v_mov_b32_e32 v7, 0
	s_waitcnt lgkmcnt(0)
	v_lshl_add_u64 v[6:7], v[6:7], 1, s[12:13]
	global_store_short v[6:7], v8, off
	s_or_b64 exec, exec, s[6:7]
	s_and_saveexec_b64 s[6:7], s[0:1]
	s_cbranch_execz .LBB156_47
.LBB156_76:
	v_cvt_f16_f32_e32 v8, v41
	v_add_u32_e32 v6, v5, v2
	v_mov_b32_e32 v7, 0
	s_waitcnt lgkmcnt(0)
	v_lshl_add_u64 v[6:7], v[6:7], 1, s[12:13]
	global_store_short v[6:7], v8, off
	s_or_b64 exec, exec, s[6:7]
	s_and_saveexec_b64 s[6:7], s[2:3]
	s_cbranch_execz .LBB156_48
.LBB156_77:
	v_cvt_f16_f32_e32 v8, v39
	v_add_u32_e32 v6, v5, v3
	v_mov_b32_e32 v7, 0
	s_waitcnt lgkmcnt(0)
	v_lshl_add_u64 v[6:7], v[6:7], 1, s[12:13]
	global_store_short v[6:7], v8, off
	s_or_b64 exec, exec, s[6:7]
	s_and_saveexec_b64 s[6:7], s[4:5]
	s_cbranch_execnz .LBB156_49
	s_branch .LBB156_50
.LBB156_78:
	v_cvt_f16_f32_e32 v8, v35
	v_add_u32_e32 v6, v5, v0
	v_mov_b32_e32 v7, 0
	s_waitcnt lgkmcnt(0)
	v_lshl_add_u64 v[6:7], v[6:7], 1, s[12:13]
	global_store_short v[6:7], v8, off
	s_or_b64 exec, exec, s[6:7]
	s_and_saveexec_b64 s[6:7], s[0:1]
	s_cbranch_execz .LBB156_53
.LBB156_79:
	v_cvt_f16_f32_e32 v8, v33
	v_add_u32_e32 v6, v5, v2
	v_mov_b32_e32 v7, 0
	s_waitcnt lgkmcnt(0)
	v_lshl_add_u64 v[6:7], v[6:7], 1, s[12:13]
	global_store_short v[6:7], v8, off
	s_or_b64 exec, exec, s[6:7]
	s_and_saveexec_b64 s[6:7], s[2:3]
	s_cbranch_execz .LBB156_54
.LBB156_80:
	v_cvt_f16_f32_e32 v8, v31
	v_add_u32_e32 v6, v5, v3
	v_mov_b32_e32 v7, 0
	s_waitcnt lgkmcnt(0)
	v_lshl_add_u64 v[6:7], v[6:7], 1, s[12:13]
	global_store_short v[6:7], v8, off
	s_or_b64 exec, exec, s[6:7]
	s_and_saveexec_b64 s[6:7], s[4:5]
	s_cbranch_execnz .LBB156_55
	s_branch .LBB156_56
.LBB156_81:
	v_cvt_f16_f32_e32 v5, v27
	v_add_u32_e32 v6, v1, v0
	v_mov_b32_e32 v7, 0
	s_waitcnt lgkmcnt(0)
	v_lshl_add_u64 v[6:7], v[6:7], 1, s[12:13]
	global_store_short v[6:7], v5, off
	s_or_b64 exec, exec, s[6:7]
	s_and_saveexec_b64 s[6:7], s[0:1]
	s_cbranch_execz .LBB156_59
.LBB156_82:
	v_cvt_f16_f32_e32 v0, v25
	v_add_u32_e32 v6, v1, v2
	v_mov_b32_e32 v7, 0
	s_waitcnt lgkmcnt(0)
	v_lshl_add_u64 v[6:7], v[6:7], 1, s[12:13]
	global_store_short v[6:7], v0, off
	s_or_b64 exec, exec, s[6:7]
	s_and_saveexec_b64 s[0:1], s[2:3]
	s_cbranch_execz .LBB156_60
.LBB156_83:
	v_cvt_f16_f32_e32 v0, v23
	v_add_u32_e32 v2, v1, v3
	v_mov_b32_e32 v3, 0
	s_waitcnt lgkmcnt(0)
	v_lshl_add_u64 v[2:3], v[2:3], 1, s[12:13]
	global_store_short v[2:3], v0, off
	s_or_b64 exec, exec, s[0:1]
	s_and_b64 exec, exec, s[4:5]
	s_cbranch_execnz .LBB156_61
	s_branch .LBB156_62
	.section	.rodata,"a",@progbits
	.p2align	6, 0x0
	.amdhsa_kernel _ZL12mul_mat_q6_KIN3c104HalfELb1EEvPKvS3_PT_iiiii
		.amdhsa_group_segment_fixed_size 45136
		.amdhsa_private_segment_fixed_size 0
		.amdhsa_kernarg_size 44
		.amdhsa_user_sgpr_count 2
		.amdhsa_user_sgpr_dispatch_ptr 0
		.amdhsa_user_sgpr_queue_ptr 0
		.amdhsa_user_sgpr_kernarg_segment_ptr 1
		.amdhsa_user_sgpr_dispatch_id 0
		.amdhsa_user_sgpr_kernarg_preload_length 0
		.amdhsa_user_sgpr_kernarg_preload_offset 0
		.amdhsa_user_sgpr_private_segment_size 0
		.amdhsa_uses_dynamic_stack 0
		.amdhsa_enable_private_segment 0
		.amdhsa_system_sgpr_workgroup_id_x 1
		.amdhsa_system_sgpr_workgroup_id_y 1
		.amdhsa_system_sgpr_workgroup_id_z 0
		.amdhsa_system_sgpr_workgroup_info 0
		.amdhsa_system_vgpr_workitem_id 1
		.amdhsa_next_free_vgpr 232
		.amdhsa_next_free_sgpr 26
		.amdhsa_accum_offset 232
		.amdhsa_reserve_vcc 1
		.amdhsa_float_round_mode_32 0
		.amdhsa_float_round_mode_16_64 0
		.amdhsa_float_denorm_mode_32 3
		.amdhsa_float_denorm_mode_16_64 3
		.amdhsa_dx10_clamp 1
		.amdhsa_ieee_mode 1
		.amdhsa_fp16_overflow 0
		.amdhsa_tg_split 0
		.amdhsa_exception_fp_ieee_invalid_op 0
		.amdhsa_exception_fp_denorm_src 0
		.amdhsa_exception_fp_ieee_div_zero 0
		.amdhsa_exception_fp_ieee_overflow 0
		.amdhsa_exception_fp_ieee_underflow 0
		.amdhsa_exception_fp_ieee_inexact 0
		.amdhsa_exception_int_div_zero 0
	.end_amdhsa_kernel
	.section	.text._ZL12mul_mat_q6_KIN3c104HalfELb1EEvPKvS3_PT_iiiii,"axG",@progbits,_ZL12mul_mat_q6_KIN3c104HalfELb1EEvPKvS3_PT_iiiii,comdat
.Lfunc_end156:
	.size	_ZL12mul_mat_q6_KIN3c104HalfELb1EEvPKvS3_PT_iiiii, .Lfunc_end156-_ZL12mul_mat_q6_KIN3c104HalfELb1EEvPKvS3_PT_iiiii
                                        ; -- End function
	.section	.AMDGPU.csdata,"",@progbits
; Kernel info:
; codeLenInByte = 19712
; NumSgprs: 32
; NumVgprs: 232
; NumAgprs: 0
; TotalNumVgprs: 232
; ScratchSize: 0
; MemoryBound: 0
; FloatMode: 240
; IeeeMode: 1
; LDSByteSize: 45136 bytes/workgroup (compile time only)
; SGPRBlocks: 3
; VGPRBlocks: 28
; NumSGPRsForWavesPerEU: 32
; NumVGPRsForWavesPerEU: 232
; AccumOffset: 232
; Occupancy: 1
; WaveLimiterHint : 0
; COMPUTE_PGM_RSRC2:SCRATCH_EN: 0
; COMPUTE_PGM_RSRC2:USER_SGPR: 2
; COMPUTE_PGM_RSRC2:TRAP_HANDLER: 0
; COMPUTE_PGM_RSRC2:TGID_X_EN: 1
; COMPUTE_PGM_RSRC2:TGID_Y_EN: 1
; COMPUTE_PGM_RSRC2:TGID_Z_EN: 0
; COMPUTE_PGM_RSRC2:TIDIG_COMP_CNT: 1
; COMPUTE_PGM_RSRC3_GFX90A:ACCUM_OFFSET: 57
; COMPUTE_PGM_RSRC3_GFX90A:TG_SPLIT: 0
	.section	.text._ZL12mul_mat_q4_0IN3c108BFloat16ELb0EEvPKvS3_PT_iiiii,"axG",@progbits,_ZL12mul_mat_q4_0IN3c108BFloat16ELb0EEvPKvS3_PT_iiiii,comdat
	.globl	_ZL12mul_mat_q4_0IN3c108BFloat16ELb0EEvPKvS3_PT_iiiii ; -- Begin function _ZL12mul_mat_q4_0IN3c108BFloat16ELb0EEvPKvS3_PT_iiiii
	.p2align	8
	.type	_ZL12mul_mat_q4_0IN3c108BFloat16ELb0EEvPKvS3_PT_iiiii,@function
_ZL12mul_mat_q4_0IN3c108BFloat16ELb0EEvPKvS3_PT_iiiii: ; @_ZL12mul_mat_q4_0IN3c108BFloat16ELb0EEvPKvS3_PT_iiiii
; %bb.0:
	s_load_dword s15, s[0:1], 0x18
	s_load_dwordx4 s[8:11], s[0:1], 0x20
	s_waitcnt lgkmcnt(0)
	s_lshl_b32 s11, s3, 6
	v_bfe_u32 v43, v0, 10, 10
	s_cmp_gt_i32 s15, 31
	s_cbranch_scc1 .LBB157_2
; %bb.1:
	v_bfe_u32 v1, v0, 10, 10
	s_mov_b32 s4, 0
	v_and_b32_e32 v39, 0x3ff, v0
	v_add_u32_e32 v47, s11, v1
	s_mov_b32 s5, s4
	s_mov_b64 s[6:7], 0
	s_branch .LBB157_3
.LBB157_2:
	s_mov_b64 s[6:7], -1
                                        ; implicit-def: $sgpr4_sgpr5
                                        ; implicit-def: $vgpr1
                                        ; implicit-def: $vgpr39
                                        ; implicit-def: $vgpr47
.LBB157_3:
	s_load_dwordx2 s[12:13], s[0:1], 0x10
	s_lshl_b32 s14, s2, 7
	s_andn2_b64 vcc, exec, s[6:7]
	v_mov_b64_e32 v[8:9], s[4:5]
	v_mov_b64_e32 v[16:17], s[4:5]
	;; [unrolled: 1-line block ×16, first 2 shown]
	s_cbranch_vccnz .LBB157_13
; %bb.4:
	s_ashr_i32 s4, s15, 31
	s_load_dwordx4 s[0:3], s[0:1], 0x0
	s_lshr_b32 s4, s4, 27
	s_ashr_i32 s6, s9, 31
	s_add_i32 s4, s15, s4
	s_lshr_b32 s6, s6, 27
	s_ashr_i32 s5, s4, 5
	s_add_i32 s6, s9, s6
	s_ashr_i32 s9, s6, 5
	s_mul_i32 s6, s5, s14
	s_mul_hi_i32 s7, s6, 18
	s_mul_i32 s6, s6, 18
	s_waitcnt lgkmcnt(0)
	s_add_u32 s6, s0, s6
	s_addc_u32 s7, s1, s7
	v_mul_lo_u32 v42, s5, v43
	s_lshl_b32 s15, s5, 3
	v_add_u32_e32 v46, s15, v42
	v_add_u32_e32 v48, s15, v46
	;; [unrolled: 1-line block ×11, first 2 shown]
	v_and_b32_e32 v39, 0x3ff, v0
	v_add_u32_e32 v68, s15, v66
	v_add_u32_e32 v70, s15, v68
	v_lshrrev_b32_e32 v81, 3, v39
	v_add_u32_e32 v72, s15, v70
	v_and_b32_e32 v76, 7, v39
	v_lshl_add_u32 v0, v43, 2, v81
	v_add_u32_e32 v74, s15, v72
	v_and_b32_e32 v1, 0x7fc, v0
	v_lshlrev_b32_e32 v3, 2, v76
	s_movk_i32 s15, 0x6200
	v_add3_u32 v4, v1, v3, s15
	v_add_u32_e32 v1, 32, v0
	v_mul_lo_u32 v78, s5, v0
	v_lshlrev_b32_e32 v5, 5, v0
	v_and_b32_e32 v6, 0xffc, v1
	v_lshlrev_b32_e32 v7, 5, v1
	v_add_u32_e32 v1, 64, v0
	v_add_u32_e32 v0, 0x60, v0
	v_mov_b32_e32 v41, 0
	v_lshlrev_b32_e32 v2, 2, v39
	s_movk_i32 s1, 0x84
	v_and_b32_e32 v8, 0xffc, v1
	v_lshlrev_b32_e32 v9, 5, v1
	v_and_b32_e32 v1, 0xffc, v0
	v_lshrrev_b32_e32 v38, 2, v39
	v_and_b32_e32 v40, 12, v2
	v_mad_u32_u24 v49, v43, s1, v2
	s_andn2_b32 s4, s4, 31
	v_add3_u32 v6, v6, v3, s15
	v_add3_u32 v8, v8, v3, s15
	;; [unrolled: 1-line block ×3, first 2 shown]
	v_and_b32_e32 v2, 28, v2
	v_mov_b32_e32 v3, v41
	v_add_u32_e32 v80, s4, v78
	v_lshl_add_u64 v[86:87], s[2:3], 0, v[2:3]
	v_lshl_add_u32 v2, v43, 3, v38
	v_add_u32_e32 v82, s4, v80
	v_and_b32_e32 v3, 63, v2
	v_add_u32_e32 v84, s4, v82
	s_add_i32 s4, s8, -1
	v_or_b32_e32 v13, s11, v3
	v_and_b32_e32 v2, 3, v39
	v_min_i32_e32 v13, s4, v13
	v_mad_u64_u32 v[88:89], s[16:17], v13, s9, v[2:3]
	v_lshlrev_b32_e32 v2, 2, v2
	v_add_u32_e32 v47, s11, v43
	v_lshl_or_b32 v2, v3, 4, v2
	v_lshlrev_b32_e32 v11, 5, v0
	v_cvt_f64_i32_e32 v[0:1], s4
	v_add_u32_e32 v83, 0x7280, v2
	v_cvt_f64_u32_e32 v[2:3], v47
	v_min_f64 v[2:3], v[2:3], v[0:1]
	v_cvt_i32_f64_e32 v2, v[2:3]
	v_mul_lo_u32 v85, s9, v2
	v_add_u32_e32 v2, 8, v47
	v_cvt_f64_u32_e32 v[2:3], v2
	v_min_f64 v[2:3], v[2:3], v[0:1]
	v_cvt_i32_f64_e32 v2, v[2:3]
	v_mul_lo_u32 v91, s9, v2
	;; [unrolled: 5-line block ×7, first 2 shown]
	v_add_u32_e32 v2, 56, v47
	v_cvt_f64_u32_e32 v[2:3], v2
	v_min_f64 v[0:1], v[2:3], v[0:1]
	v_and_b32_e32 v12, 31, v39
	v_lshlrev_b32_e32 v13, 7, v43
	v_cvt_i32_f64_e32 v0, v[0:1]
	v_lshl_or_b32 v12, v12, 2, v13
	v_mul_lo_u32 v108, s9, v0
	v_add_u32_e32 v0, 32, v39
	v_add_u32_e32 v1, 64, v39
	;; [unrolled: 1-line block ×3, first 2 shown]
	s_mov_b32 s0, 0
	v_add_u32_e32 v89, 0x4200, v12
	v_add_u32_e32 v93, 0x4600, v12
	;; [unrolled: 1-line block ×8, first 2 shown]
	v_lshlrev_b32_e32 v3, 5, v39
	v_lshrrev_b32_e32 v111, 3, v0
	v_and_b32_e32 v2, 0x1fc, v2
	v_and_b32_e32 v1, 0x1fc, v1
	v_and_b32_e32 v0, 0x1fc, v0
	v_and_b32_e32 v12, 0xfc, v39
	v_add_u32_e32 v2, v3, v2
	v_add_u32_e32 v1, v3, v1
	;; [unrolled: 1-line block ×4, first 2 shown]
	v_mov_b32_e32 v12, 0x7280
	v_mad_u32_u24 v122, v39, s1, 64
	s_mov_b32 s1, s0
	v_add_u32_e32 v51, 0x420, v49
	v_add_u32_e32 v53, 0x840, v49
	;; [unrolled: 1-line block ×15, first 2 shown]
	v_mul_u32_u24_e32 v110, 0x84, v39
	v_add_u32_e32 v112, 0x6e00, v2
	v_add_u32_e32 v113, 0x6a00, v1
	;; [unrolled: 1-line block ×5, first 2 shown]
	v_lshl_add_u32 v117, v43, 4, v12
	v_add_u32_e32 v118, 0x6e10, v2
	v_add_u32_e32 v119, 0x6a10, v1
	;; [unrolled: 1-line block ×4, first 2 shown]
	v_mov_b64_e32 v[44:45], s[0:1]
	v_add_u32_e32 v123, v4, v5
	v_add_u32_e32 v124, v6, v7
	;; [unrolled: 1-line block ×4, first 2 shown]
	s_mov_b32 s4, 0x41000000
	v_mov_b64_e32 v[30:31], s[0:1]
	v_mov_b64_e32 v[22:23], s[0:1]
	;; [unrolled: 1-line block ×15, first 2 shown]
	s_branch .LBB157_6
.LBB157_5:                              ;   in Loop: Header=BB157_6 Depth=1
	s_add_i32 s0, s0, 8
	s_cmp_ge_i32 s0, s5
	s_cbranch_scc1 .LBB157_12
.LBB157_6:                              ; =>This Loop Header: Depth=1
                                        ;     Child Loop BB157_7 Depth 2
                                        ;     Child Loop BB157_10 Depth 2
	s_mul_i32 s9, s0, 18
	s_mul_hi_u32 s1, s0, 18
	s_add_u32 s16, s6, s9
	s_addc_u32 s17, s7, s1
	v_mad_u64_u32 v[0:1], s[18:19], v38, 18, s[16:17]
	v_lshl_add_u64 v[0:1], v[0:1], 0, v[40:41]
	v_lshl_add_u64 v[0:1], v[0:1], 0, 2
	v_mad_u64_u32 v[2:3], s[18:19], v42, 18, v[0:1]
	v_mad_u64_u32 v[4:5], s[18:19], v46, 18, v[0:1]
	;; [unrolled: 1-line block ×8, first 2 shown]
	global_load_dword v90, v[2:3], off
	global_load_dword v92, v[4:5], off
	;; [unrolled: 1-line block ×7, first 2 shown]
                                        ; kill: killed $vgpr132_vgpr133
                                        ; kill: killed $vgpr130_vgpr131
	s_nop 0
	global_load_dword v134, v[134:135], off
	v_mad_u64_u32 v[2:3], s[18:19], v60, 18, v[0:1]
	v_mad_u64_u32 v[4:5], s[18:19], v62, 18, v[0:1]
	;; [unrolled: 1-line block ×8, first 2 shown]
	global_load_dword v135, v[2:3], off
	global_load_dword v139, v[4:5], off
	global_load_dword v140, v[6:7], off
	global_load_dword v141, v[98:99], off
	global_load_dword v142, v[128:129], off
	global_load_dword v143, v[130:131], off
	global_load_dword v144, v[132:133], off
	global_load_dword v145, v[0:1], off
	v_mad_u64_u32 v[0:1], s[16:17], v76, 18, s[16:17]
	v_mad_u64_u32 v[2:3], s[16:17], v78, 18, v[0:1]
	;; [unrolled: 1-line block ×5, first 2 shown]
	v_add_u32_e32 v132, s0, v81
	global_load_ushort v146, v[2:3], off
	global_load_ushort v147, v[4:5], off
	;; [unrolled: 1-line block ×4, first 2 shown]
	v_add_u32_e32 v0, v132, v85
	v_add_u32_e32 v2, v132, v91
	;; [unrolled: 1-line block ×5, first 2 shown]
	v_mad_i64_i32 v[0:1], s[16:17], v0, 36, v[86:87]
	v_mad_i64_i32 v[2:3], s[16:17], v2, 36, v[86:87]
	;; [unrolled: 1-line block ×5, first 2 shown]
	v_add_u32_e32 v128, v132, v104
	v_add_u32_e32 v130, v132, v106
	;; [unrolled: 1-line block ×3, first 2 shown]
	v_mad_i64_i32 v[128:129], s[16:17], v128, 36, v[86:87]
	v_mad_i64_i32 v[130:131], s[16:17], v130, 36, v[86:87]
	;; [unrolled: 1-line block ×3, first 2 shown]
	global_load_dword v150, v[0:1], off offset:4
	s_nop 0
	global_load_dword v2, v[2:3], off offset:4
	s_nop 0
	;; [unrolled: 2-line block ×3, first 2 shown]
	global_load_dword v4, v[6:7], off offset:4
	global_load_dword v5, v[98:99], off offset:4
	s_nop 0
	global_load_dword v6, v[128:129], off offset:4
	global_load_dword v7, v[130:131], off offset:4
	;; [unrolled: 1-line block ×3, first 2 shown]
	v_add_u32_e32 v127, s0, v88
	v_mad_u64_u32 v[0:1], s[16:17], v127, 36, s[2:3]
	global_load_dword v0, v[0:1], off
	s_mov_b32 s1, -4
	v_mov_b32_e32 v128, v117
	v_mov_b32_e32 v129, v116
	;; [unrolled: 1-line block ×4, first 2 shown]
	s_waitcnt vmcnt(28)
	ds_write_b32 v49, v90
	s_waitcnt vmcnt(27)
	ds_write_b32 v51, v92
	;; [unrolled: 2-line block ×16, first 2 shown]
	v_mov_b32_e32 v132, v114
	v_mov_b32_e32 v133, v113
	v_mov_b32_e32 v134, v112
	s_waitcnt vmcnt(12)
	v_cvt_f32_f16_e32 v1, v146
	s_waitcnt vmcnt(11)
	v_cvt_f32_f16_e32 v90, v147
	;; [unrolled: 2-line block ×4, first 2 shown]
	ds_write_b32 v123, v1
	ds_write_b32 v124, v90
	;; [unrolled: 1-line block ×4, first 2 shown]
	s_waitcnt vmcnt(8)
	ds_write_b32 v89, v150
	s_waitcnt vmcnt(7)
	ds_write_b32 v93, v2
	;; [unrolled: 2-line block ×9, first 2 shown]
	s_waitcnt lgkmcnt(0)
	s_barrier
.LBB157_7:                              ;   Parent Loop BB157_6 Depth=1
                                        ; =>  This Inner Loop Header: Depth=2
	ds_read_b128 v[0:3], v129
	ds_read_b128 v[4:7], v129 offset:16
	ds_read2_b32 v[98:99], v128 offset1:32
	ds_read_b32 v90, v131
	ds_read2_b32 v[136:137], v130 offset1:1
	ds_read2_b32 v[144:145], v130 offset0:2 offset1:3
	v_add_u32_e32 v94, 0x1080, v130
	v_add_u32_e32 v96, 0x2100, v130
	v_mov_b32_e32 v172, 0
	s_waitcnt lgkmcnt(1)
	v_lshrrev_b32_e32 v92, 4, v136
	v_and_b32_e32 v135, 0xf0f0f0f, v136
	v_and_b32_e32 v136, 0xf0f0f0f, v92
	v_lshrrev_b32_e32 v92, 4, v137
	v_and_b32_e32 v140, 0xf0f0f0f, v92
	s_waitcnt lgkmcnt(0)
	v_lshrrev_b32_e32 v92, 4, v144
	v_and_b32_e32 v142, 0xf0f0f0f, v92
	v_lshrrev_b32_e32 v92, 4, v145
	v_and_b32_e32 v143, 0xf0f0f0f, v145
	v_and_b32_e32 v145, 0xf0f0f0f, v92
	ds_read_b32 v92, v132
	ds_read2_b32 v[146:147], v94 offset1:1
	v_and_b32_e32 v138, 0xf0f0f0f, v137
	v_and_b32_e32 v141, 0xf0f0f0f, v144
	v_mov_b32_e32 v174, 0
	v_mov_b32_e32 v175, 0
	s_waitcnt lgkmcnt(0)
	v_lshrrev_b32_e32 v94, 4, v146
	v_and_b32_e32 v139, 0xf0f0f0f, v94
	v_lshrrev_b32_e32 v94, 4, v147
	v_and_b32_e32 v137, 0xf0f0f0f, v146
	v_and_b32_e32 v146, 0xf0f0f0f, v94
	v_add_u32_e32 v94, 0x1088, v130
	ds_read2_b32 v[152:153], v94 offset1:1
	v_and_b32_e32 v144, 0xf0f0f0f, v147
	v_dot4c_i32_i8_e32 v172, v135, v0
	v_dot4c_i32_i8_e32 v174, v137, v0
	;; [unrolled: 1-line block ×3, first 2 shown]
	s_waitcnt lgkmcnt(0)
	v_lshrrev_b32_e32 v94, 4, v152
	v_and_b32_e32 v150, 0xf0f0f0f, v94
	v_lshrrev_b32_e32 v94, 4, v153
	v_and_b32_e32 v149, 0xf0f0f0f, v152
	v_and_b32_e32 v152, 0xf0f0f0f, v94
	ds_read_b32 v94, v133
	ds_read2_b32 v[154:155], v96 offset1:1
	v_and_b32_e32 v151, 0xf0f0f0f, v153
	v_dot4c_i32_i8_e32 v174, v139, v4
	v_dot4c_i32_i8_e32 v172, v138, v1
	;; [unrolled: 1-line block ×3, first 2 shown]
	s_waitcnt lgkmcnt(0)
	v_lshrrev_b32_e32 v96, 4, v154
	v_and_b32_e32 v148, 0xf0f0f0f, v96
	v_lshrrev_b32_e32 v96, 4, v155
	v_and_b32_e32 v147, 0xf0f0f0f, v154
	v_and_b32_e32 v154, 0xf0f0f0f, v96
	v_add_u32_e32 v96, 0x2108, v130
	ds_read2_b32 v[160:161], v96 offset1:1
	v_and_b32_e32 v153, 0xf0f0f0f, v155
	v_add_u32_e32 v155, 0x3180, v130
	v_dot4c_i32_i8_e32 v175, v147, v0
	v_dot4c_i32_i8_e32 v175, v148, v4
	s_waitcnt lgkmcnt(0)
	v_lshrrev_b32_e32 v96, 4, v160
	v_and_b32_e32 v158, 0xf0f0f0f, v96
	v_lshrrev_b32_e32 v96, 4, v161
	v_and_b32_e32 v157, 0xf0f0f0f, v160
	v_and_b32_e32 v160, 0xf0f0f0f, v96
	ds_read_b32 v96, v134
	ds_read2_b32 v[162:163], v155 offset1:1
	v_and_b32_e32 v159, 0xf0f0f0f, v161
	v_mov_b32_e32 v161, 0
	v_dot4c_i32_i8_e32 v175, v153, v1
	v_dot4c_i32_i8_e32 v172, v140, v5
	s_waitcnt lgkmcnt(0)
	v_and_b32_e32 v155, 0xf0f0f0f, v162
	v_lshrrev_b32_e32 v156, 4, v162
	v_and_b32_e32 v156, 0xf0f0f0f, v156
	v_dot4c_i32_i8_e32 v161, v155, v0
	v_dot4c_i32_i8_e32 v161, v156, v4
	v_and_b32_e32 v0, 0xf0f0f0f, v163
	v_dot4c_i32_i8_e32 v161, v0, v1
	v_add_u32_e32 v1, 0x3188, v130
	v_lshrrev_b32_e32 v4, 4, v163
	ds_read2_b32 v[162:163], v1 offset1:1
	v_and_b32_e32 v4, 0xf0f0f0f, v4
	v_dot4c_i32_i8_e32 v174, v146, v5
	v_dot4c_i32_i8_e32 v175, v154, v5
	;; [unrolled: 1-line block ×3, first 2 shown]
	s_waitcnt lgkmcnt(0)
	v_and_b32_e32 v1, 0xf0f0f0f, v162
	v_lshrrev_b32_e32 v5, 4, v162
	v_dot4c_i32_i8_e32 v172, v141, v2
	v_dot4c_i32_i8_e32 v174, v149, v2
	v_dot4c_i32_i8_e32 v175, v157, v2
	v_and_b32_e32 v5, 0xf0f0f0f, v5
	v_dot4c_i32_i8_e32 v161, v1, v2
	v_dot4c_i32_i8_e32 v172, v142, v6
	;; [unrolled: 1-line block ×5, first 2 shown]
	v_and_b32_e32 v2, 0xf0f0f0f, v163
	v_lshrrev_b32_e32 v6, 4, v163
	ds_read_b128 v[162:165], v129 offset:1024
	ds_read_b128 v[166:169], v129 offset:1040
	v_dot4c_i32_i8_e32 v172, v143, v3
	v_dot4c_i32_i8_e32 v174, v151, v3
	;; [unrolled: 1-line block ×4, first 2 shown]
	v_mov_b32_e32 v3, 0
	s_waitcnt lgkmcnt(1)
	v_dot4c_i32_i8_e32 v3, v135, v162
	s_waitcnt lgkmcnt(0)
	v_dot4c_i32_i8_e32 v3, v136, v166
	v_dot4c_i32_i8_e32 v3, v138, v163
	;; [unrolled: 1-line block ×8, first 2 shown]
	v_cvt_f32_f16_e32 v171, v99
	v_cvt_f32_f16_e32 v170, v98
	v_cvt_f32_i32_e32 v173, v3
	v_mov_b32_e32 v3, 0
	v_dot4c_i32_i8_e32 v3, v137, v162
	v_dot4c_i32_i8_e32 v3, v139, v166
	v_cvt_f32_f16_sdwa v99, v99 dst_sel:DWORD dst_unused:UNUSED_PAD src0_sel:WORD_1
	v_cvt_f32_f16_sdwa v98, v98 dst_sel:DWORD dst_unused:UNUSED_PAD src0_sel:WORD_1
	v_dot4c_i32_i8_e32 v3, v144, v163
	v_cvt_f32_i32_e32 v172, v172
	v_dot4c_i32_i8_e32 v3, v146, v167
	v_dot4c_i32_i8_e32 v3, v149, v164
	;; [unrolled: 1-line block ×3, first 2 shown]
	v_pk_mul_f32 v[98:99], v[98:99], s[4:5] op_sel_hi:[1,0]
	v_dot4c_i32_i8_e32 v3, v151, v165
	v_pk_fma_f32 v[172:173], v[170:171], v[172:173], v[98:99] neg_lo:[0,0,1] neg_hi:[0,0,1]
	v_dot4c_i32_i8_e32 v3, v152, v169
	v_pk_fma_f32 v[44:45], v[90:91], v[172:173], v[44:45] op_sel_hi:[0,1,1]
	v_dot4c_i32_i8_e32 v174, v152, v7
	v_and_b32_e32 v6, 0xf0f0f0f, v6
	v_cvt_f32_i32_e32 v173, v3
	v_mov_b32_e32 v3, 0
	v_dot4c_i32_i8_e32 v3, v147, v162
	v_dot4c_i32_i8_e32 v3, v148, v166
	;; [unrolled: 1-line block ×3, first 2 shown]
	v_cvt_f32_i32_e32 v172, v174
	v_dot4c_i32_i8_e32 v3, v154, v167
	v_dot4c_i32_i8_e32 v3, v157, v164
	;; [unrolled: 1-line block ×4, first 2 shown]
	v_pk_fma_f32 v[172:173], v[170:171], v[172:173], v[98:99] neg_lo:[0,0,1] neg_hi:[0,0,1]
	v_dot4c_i32_i8_e32 v3, v160, v169
	v_pk_fma_f32 v[36:37], v[92:93], v[172:173], v[36:37] op_sel_hi:[0,1,1]
	v_dot4c_i32_i8_e32 v175, v160, v7
	v_dot4c_i32_i8_e32 v161, v6, v7
	v_cvt_f32_i32_e32 v173, v3
	v_mov_b32_e32 v3, 0
	v_dot4c_i32_i8_e32 v3, v155, v162
	v_dot4c_i32_i8_e32 v3, v156, v166
	;; [unrolled: 1-line block ×8, first 2 shown]
	v_cvt_f32_i32_e32 v172, v175
	v_cvt_f32_i32_e32 v162, v161
	v_mov_b32_e32 v7, 0
	v_cvt_f32_i32_e32 v163, v3
	v_pk_fma_f32 v[172:173], v[170:171], v[172:173], v[98:99] neg_lo:[0,0,1] neg_hi:[0,0,1]
	v_mov_b32_e32 v3, 0
	v_mov_b32_e32 v161, 0
	v_pk_fma_f32 v[98:99], v[170:171], v[162:163], v[98:99] neg_lo:[0,0,1] neg_hi:[0,0,1]
	v_mov_b32_e32 v174, 0
	v_pk_fma_f32 v[32:33], v[96:97], v[98:99], v[32:33] op_sel_hi:[0,1,1]
	ds_read_b128 v[162:165], v129 offset:2048
	ds_read_b128 v[166:169], v129 offset:2064
	ds_read2_b32 v[98:99], v128 offset0:64 offset1:96
	v_pk_fma_f32 v[34:35], v[94:95], v[172:173], v[34:35] op_sel_hi:[0,1,1]
	v_mov_b32_e32 v172, 0
	s_waitcnt lgkmcnt(2)
	v_dot4c_i32_i8_e32 v3, v135, v162
	v_dot4c_i32_i8_e32 v7, v137, v162
	;; [unrolled: 1-line block ×4, first 2 shown]
	s_waitcnt lgkmcnt(1)
	v_dot4c_i32_i8_e32 v3, v136, v166
	v_dot4c_i32_i8_e32 v7, v139, v166
	;; [unrolled: 1-line block ×28, first 2 shown]
	ds_read_b128 v[162:165], v129 offset:3072
	ds_read_b128 v[166:169], v129 offset:3088
	s_waitcnt lgkmcnt(2)
	v_cvt_f32_f16_e32 v171, v99
	v_cvt_f32_f16_e32 v170, v98
	v_cvt_f32_f16_sdwa v99, v99 dst_sel:DWORD dst_unused:UNUSED_PAD src0_sel:WORD_1
	s_waitcnt lgkmcnt(1)
	v_dot4c_i32_i8_e32 v172, v135, v162
	s_waitcnt lgkmcnt(0)
	v_dot4c_i32_i8_e32 v172, v136, v166
	v_dot4c_i32_i8_e32 v172, v138, v163
	;; [unrolled: 1-line block ×7, first 2 shown]
	v_cvt_f32_f16_sdwa v98, v98 dst_sel:DWORD dst_unused:UNUSED_PAD src0_sel:WORD_1
	s_add_i32 s1, s1, 4
	v_add_u32_e32 v134, 4, v134
	v_cvt_f32_i32_e32 v173, v172
	v_cvt_f32_i32_e32 v172, v3
	v_mov_b32_e32 v3, 0
	v_dot4c_i32_i8_e32 v3, v137, v162
	v_dot4c_i32_i8_e32 v3, v139, v166
	v_dot4c_i32_i8_e32 v3, v144, v163
	v_dot4c_i32_i8_e32 v3, v146, v167
	v_dot4c_i32_i8_e32 v3, v149, v164
	v_dot4c_i32_i8_e32 v3, v150, v168
	v_pk_mul_f32 v[98:99], v[98:99], s[4:5] op_sel_hi:[1,0]
	v_dot4c_i32_i8_e32 v3, v151, v165
	v_pk_fma_f32 v[172:173], v[172:173], v[170:171], v[98:99] neg_lo:[0,0,1] neg_hi:[0,0,1]
	v_dot4c_i32_i8_e32 v3, v152, v169
	v_pk_fma_f32 v[30:31], v[90:91], v[172:173], v[30:31] op_sel_hi:[0,1,1]
	v_cvt_f32_i32_e32 v172, v7
	v_mov_b32_e32 v7, 0
	v_cvt_f32_i32_e32 v173, v3
	v_mov_b32_e32 v3, 0
	v_dot4c_i32_i8_e32 v3, v147, v162
	v_dot4c_i32_i8_e32 v3, v148, v166
	;; [unrolled: 1-line block ×7, first 2 shown]
	v_pk_fma_f32 v[172:173], v[172:173], v[170:171], v[98:99] neg_lo:[0,0,1] neg_hi:[0,0,1]
	v_dot4c_i32_i8_e32 v3, v160, v169
	v_pk_fma_f32 v[28:29], v[92:93], v[172:173], v[28:29] op_sel_hi:[0,1,1]
	v_cvt_f32_i32_e32 v172, v161
	v_mov_b32_e32 v161, 0
	v_cvt_f32_i32_e32 v173, v3
	v_mov_b32_e32 v3, 0
	v_dot4c_i32_i8_e32 v3, v155, v162
	v_dot4c_i32_i8_e32 v3, v156, v166
	v_dot4c_i32_i8_e32 v3, v0, v163
	v_dot4c_i32_i8_e32 v3, v4, v167
	v_dot4c_i32_i8_e32 v3, v1, v164
	v_dot4c_i32_i8_e32 v3, v5, v168
	v_dot4c_i32_i8_e32 v3, v2, v165
	v_dot4c_i32_i8_e32 v3, v6, v169
	v_cvt_f32_i32_e32 v162, v174
	v_pk_fma_f32 v[172:173], v[172:173], v[170:171], v[98:99] neg_lo:[0,0,1] neg_hi:[0,0,1]
	v_mov_b32_e32 v174, 0
	v_cvt_f32_i32_e32 v163, v3
	v_mov_b32_e32 v3, 0
	v_pk_fma_f32 v[26:27], v[94:95], v[172:173], v[26:27] op_sel_hi:[0,1,1]
	v_mov_b32_e32 v172, 0
	v_pk_fma_f32 v[98:99], v[162:163], v[170:171], v[98:99] neg_lo:[0,0,1] neg_hi:[0,0,1]
	v_add_u32_e32 v133, 4, v133
	v_pk_fma_f32 v[24:25], v[96:97], v[98:99], v[24:25] op_sel_hi:[0,1,1]
	ds_read_b128 v[162:165], v129 offset:4096
	ds_read_b128 v[166:169], v129 offset:4112
	ds_read2_b32 v[98:99], v128 offset0:128 offset1:160
	v_add_u32_e32 v132, 4, v132
	v_add_u32_e32 v131, 4, v131
	s_waitcnt lgkmcnt(2)
	v_dot4c_i32_i8_e32 v3, v135, v162
	v_dot4c_i32_i8_e32 v7, v137, v162
	;; [unrolled: 1-line block ×4, first 2 shown]
	s_waitcnt lgkmcnt(1)
	v_dot4c_i32_i8_e32 v3, v136, v166
	v_dot4c_i32_i8_e32 v7, v139, v166
	;; [unrolled: 1-line block ×28, first 2 shown]
	ds_read_b128 v[162:165], v129 offset:5120
	ds_read_b128 v[166:169], v129 offset:5136
	s_waitcnt lgkmcnt(2)
	v_cvt_f32_f16_e32 v171, v99
	v_cvt_f32_f16_e32 v170, v98
	v_cvt_f32_f16_sdwa v99, v99 dst_sel:DWORD dst_unused:UNUSED_PAD src0_sel:WORD_1
	s_waitcnt lgkmcnt(1)
	v_dot4c_i32_i8_e32 v172, v135, v162
	s_waitcnt lgkmcnt(0)
	v_dot4c_i32_i8_e32 v172, v136, v166
	v_dot4c_i32_i8_e32 v172, v138, v163
	v_dot4c_i32_i8_e32 v172, v140, v167
	v_dot4c_i32_i8_e32 v172, v141, v164
	v_dot4c_i32_i8_e32 v172, v142, v168
	v_dot4c_i32_i8_e32 v172, v143, v165
	v_dot4c_i32_i8_e32 v172, v145, v169
	v_cvt_f32_f16_sdwa v98, v98 dst_sel:DWORD dst_unused:UNUSED_PAD src0_sel:WORD_1
	v_add_u32_e32 v130, 16, v130
	s_cmp_lt_u32 s1, 12
	v_cvt_f32_i32_e32 v173, v172
	v_cvt_f32_i32_e32 v172, v3
	v_mov_b32_e32 v3, 0
	v_dot4c_i32_i8_e32 v3, v137, v162
	v_dot4c_i32_i8_e32 v3, v139, v166
	;; [unrolled: 1-line block ×6, first 2 shown]
	v_pk_mul_f32 v[98:99], v[98:99], s[4:5] op_sel_hi:[1,0]
	v_dot4c_i32_i8_e32 v3, v151, v165
	v_pk_fma_f32 v[172:173], v[172:173], v[170:171], v[98:99] neg_lo:[0,0,1] neg_hi:[0,0,1]
	v_dot4c_i32_i8_e32 v3, v152, v169
	v_pk_fma_f32 v[22:23], v[90:91], v[172:173], v[22:23] op_sel_hi:[0,1,1]
	v_cvt_f32_i32_e32 v172, v7
	v_mov_b32_e32 v7, 0
	v_cvt_f32_i32_e32 v173, v3
	v_mov_b32_e32 v3, 0
	v_dot4c_i32_i8_e32 v3, v147, v162
	v_dot4c_i32_i8_e32 v3, v148, v166
	v_dot4c_i32_i8_e32 v3, v153, v163
	v_dot4c_i32_i8_e32 v3, v154, v167
	v_dot4c_i32_i8_e32 v3, v157, v164
	v_dot4c_i32_i8_e32 v3, v158, v168
	v_dot4c_i32_i8_e32 v3, v159, v165
	v_pk_fma_f32 v[172:173], v[172:173], v[170:171], v[98:99] neg_lo:[0,0,1] neg_hi:[0,0,1]
	v_dot4c_i32_i8_e32 v3, v160, v169
	v_pk_fma_f32 v[20:21], v[92:93], v[172:173], v[20:21] op_sel_hi:[0,1,1]
	v_cvt_f32_i32_e32 v172, v161
	v_mov_b32_e32 v161, 0
	v_cvt_f32_i32_e32 v173, v3
	v_mov_b32_e32 v3, 0
	v_dot4c_i32_i8_e32 v3, v155, v162
	v_dot4c_i32_i8_e32 v3, v156, v166
	;; [unrolled: 1-line block ×8, first 2 shown]
	v_cvt_f32_i32_e32 v162, v174
	v_pk_fma_f32 v[172:173], v[172:173], v[170:171], v[98:99] neg_lo:[0,0,1] neg_hi:[0,0,1]
	s_nop 0
	v_cvt_f32_i32_e32 v163, v3
	v_mov_b32_e32 v3, 0
	v_pk_fma_f32 v[18:19], v[94:95], v[172:173], v[18:19] op_sel_hi:[0,1,1]
	v_pk_fma_f32 v[98:99], v[162:163], v[170:171], v[98:99] neg_lo:[0,0,1] neg_hi:[0,0,1]
	s_nop 0
	v_pk_fma_f32 v[16:17], v[96:97], v[98:99], v[16:17] op_sel_hi:[0,1,1]
	ds_read_b128 v[162:165], v129 offset:6144
	ds_read_b128 v[166:169], v129 offset:6160
	ds_read2_b32 v[98:99], v128 offset0:192 offset1:224
	v_mov_b32_e32 v170, 0
	v_mov_b32_e32 v171, 0
	s_waitcnt lgkmcnt(2)
	v_dot4c_i32_i8_e32 v3, v135, v162
	v_dot4c_i32_i8_e32 v7, v137, v162
	;; [unrolled: 1-line block ×4, first 2 shown]
	s_waitcnt lgkmcnt(1)
	v_dot4c_i32_i8_e32 v3, v136, v166
	v_dot4c_i32_i8_e32 v7, v139, v166
	;; [unrolled: 1-line block ×28, first 2 shown]
	ds_read_b128 v[162:165], v129 offset:7168
	ds_read_b128 v[166:169], v129 offset:7184
	v_add_u32_e32 v129, 32, v129
	v_add_u32_e32 v128, 4, v128
	s_waitcnt lgkmcnt(1)
	v_dot4c_i32_i8_e32 v171, v135, v162
	s_waitcnt lgkmcnt(0)
	v_dot4c_i32_i8_e32 v171, v136, v166
	v_dot4c_i32_i8_e32 v171, v138, v163
	;; [unrolled: 1-line block ×5, first 2 shown]
	v_cvt_f32_i32_e32 v142, v3
	v_mov_b32_e32 v3, 0
	v_dot4c_i32_i8_e32 v3, v137, v162
	v_dot4c_i32_i8_e32 v3, v139, v166
	;; [unrolled: 1-line block ×8, first 2 shown]
	v_cvt_f32_f16_e32 v141, v99
	v_cvt_f32_f16_e32 v140, v98
	v_cvt_f32_f16_sdwa v99, v99 dst_sel:DWORD dst_unused:UNUSED_PAD src0_sel:WORD_1
	v_cvt_f32_i32_e32 v137, v3
	v_mov_b32_e32 v3, 0
	v_dot4c_i32_i8_e32 v3, v147, v162
	v_dot4c_i32_i8_e32 v3, v148, v166
	v_cvt_f32_f16_sdwa v98, v98 dst_sel:DWORD dst_unused:UNUSED_PAD src0_sel:WORD_1
	v_dot4c_i32_i8_e32 v3, v153, v163
	v_cvt_f32_i32_e32 v136, v7
	v_dot4c_i32_i8_e32 v3, v154, v167
	v_dot4c_i32_i8_e32 v3, v157, v164
	;; [unrolled: 1-line block ×3, first 2 shown]
	v_pk_mul_f32 v[98:99], v[98:99], s[4:5] op_sel_hi:[1,0]
	v_dot4c_i32_i8_e32 v3, v159, v165
	v_pk_fma_f32 v[136:137], v[136:137], v[140:141], v[98:99] neg_lo:[0,0,1] neg_hi:[0,0,1]
	v_dot4c_i32_i8_e32 v3, v160, v169
	v_pk_fma_f32 v[12:13], v[92:93], v[136:137], v[12:13] op_sel_hi:[0,1,1]
	v_dot4c_i32_i8_e32 v171, v143, v165
	v_dot4c_i32_i8_e32 v171, v145, v169
	v_cvt_f32_i32_e32 v137, v3
	v_mov_b32_e32 v3, 0
	v_dot4c_i32_i8_e32 v3, v155, v162
	v_dot4c_i32_i8_e32 v3, v156, v166
	;; [unrolled: 1-line block ×8, first 2 shown]
	v_cvt_f32_i32_e32 v143, v171
	v_cvt_f32_i32_e32 v136, v161
	;; [unrolled: 1-line block ×4, first 2 shown]
	v_pk_fma_f32 v[142:143], v[142:143], v[140:141], v[98:99] neg_lo:[0,0,1] neg_hi:[0,0,1]
	v_pk_fma_f32 v[136:137], v[136:137], v[140:141], v[98:99] neg_lo:[0,0,1] neg_hi:[0,0,1]
	v_pk_fma_f32 v[14:15], v[90:91], v[142:143], v[14:15] op_sel_hi:[0,1,1]
	v_pk_fma_f32 v[0:1], v[0:1], v[140:141], v[98:99] neg_lo:[0,0,1] neg_hi:[0,0,1]
	v_pk_fma_f32 v[10:11], v[94:95], v[136:137], v[10:11] op_sel_hi:[0,1,1]
	v_pk_fma_f32 v[8:9], v[96:97], v[0:1], v[8:9] op_sel_hi:[0,1,1]
	s_cbranch_scc1 .LBB157_7
; %bb.8:                                ;   in Loop: Header=BB157_6 Depth=1
	s_or_b32 s1, s0, 4
	s_cmp_ge_i32 s1, s5
	s_barrier
	s_cbranch_scc1 .LBB157_5
; %bb.9:                                ;   in Loop: Header=BB157_6 Depth=1
	v_add_u32_e32 v90, s0, v111
	v_add_u32_e32 v92, v90, v102
	;; [unrolled: 1-line block ×6, first 2 shown]
	v_mad_i64_i32 v[98:99], s[16:17], v92, 36, v[86:87]
	v_add_u32_e32 v92, v90, v104
	v_mad_i64_i32 v[0:1], s[16:17], v0, 36, v[86:87]
	v_mad_i64_i32 v[2:3], s[16:17], v2, 36, v[86:87]
	;; [unrolled: 1-line block ×5, first 2 shown]
	v_add_u32_e32 v92, v90, v106
	v_add_u32_e32 v90, v90, v108
	v_mad_i64_i32 v[130:131], s[16:17], v92, 36, v[86:87]
	v_mad_i64_i32 v[132:133], s[16:17], v90, 36, v[86:87]
	global_load_dword v90, v[0:1], off offset:4
	s_nop 0
	global_load_dword v2, v[2:3], off offset:4
	s_nop 0
	;; [unrolled: 2-line block ×3, first 2 shown]
	global_load_dword v4, v[6:7], off offset:4
	global_load_dword v5, v[98:99], off offset:4
	s_nop 0
	global_load_dword v6, v[128:129], off offset:4
                                        ; kill: killed $vgpr128_vgpr129
                                        ; kill: killed $vgpr98_vgpr99
	global_load_dword v7, v[130:131], off offset:4
	global_load_dword v92, v[132:133], off offset:4
	v_add_u32_e32 v0, 4, v127
	v_mad_u64_u32 v[0:1], s[16:17], v0, 36, s[2:3]
	global_load_dword v0, v[0:1], off
	s_mov_b32 s1, 12
	v_mov_b32_e32 v127, v117
	v_mov_b32_e32 v128, v116
	;; [unrolled: 1-line block ×7, first 2 shown]
	s_waitcnt vmcnt(8)
	ds_write_b32 v89, v90
	s_waitcnt vmcnt(7)
	ds_write_b32 v93, v2
	;; [unrolled: 2-line block ×9, first 2 shown]
	s_waitcnt lgkmcnt(0)
	s_barrier
.LBB157_10:                             ;   Parent Loop BB157_6 Depth=1
                                        ; =>  This Inner Loop Header: Depth=2
	ds_read_b128 v[0:3], v128
	ds_read_b128 v[4:7], v128 offset:16
	ds_read2_b32 v[98:99], v127 offset1:32
	ds_read_b32 v90, v130
	ds_read2_b32 v[138:139], v129 offset1:1
	ds_read2_b32 v[142:143], v129 offset0:2 offset1:3
	v_add_u32_e32 v94, 0x1080, v129
	v_add_u32_e32 v96, 0x2100, v129
	v_mov_b32_e32 v170, 0
	s_waitcnt lgkmcnt(1)
	v_lshrrev_b32_e32 v92, 4, v138
	v_and_b32_e32 v135, 0xf0f0f0f, v92
	v_lshrrev_b32_e32 v92, 4, v139
	v_and_b32_e32 v137, 0xf0f0f0f, v139
	v_and_b32_e32 v139, 0xf0f0f0f, v92
	s_waitcnt lgkmcnt(0)
	v_lshrrev_b32_e32 v92, 4, v142
	v_and_b32_e32 v141, 0xf0f0f0f, v92
	v_lshrrev_b32_e32 v92, 4, v143
	v_and_b32_e32 v144, 0xf0f0f0f, v92
	ds_read_b32 v92, v131
	ds_read2_b32 v[146:147], v94 offset1:1
	v_and_b32_e32 v134, 0xf0f0f0f, v138
	v_and_b32_e32 v140, 0xf0f0f0f, v142
	;; [unrolled: 1-line block ×3, first 2 shown]
	v_mov_b32_e32 v172, 0
	s_waitcnt lgkmcnt(0)
	v_lshrrev_b32_e32 v94, 4, v146
	v_and_b32_e32 v138, 0xf0f0f0f, v94
	v_lshrrev_b32_e32 v94, 4, v147
	v_and_b32_e32 v145, 0xf0f0f0f, v94
	v_add_u32_e32 v94, 0x1088, v129
	v_and_b32_e32 v136, 0xf0f0f0f, v146
	v_and_b32_e32 v143, 0xf0f0f0f, v147
	ds_read2_b32 v[146:147], v94 offset1:1
	v_mov_b32_e32 v173, 0
	v_mov_b32_e32 v174, 0
	v_dot4c_i32_i8_e32 v170, v134, v0
	v_dot4c_i32_i8_e32 v172, v136, v0
	s_waitcnt lgkmcnt(0)
	v_lshrrev_b32_e32 v94, 4, v146
	v_and_b32_e32 v149, 0xf0f0f0f, v94
	v_lshrrev_b32_e32 v94, 4, v147
	v_and_b32_e32 v151, 0xf0f0f0f, v94
	ds_read_b32 v94, v132
	ds_read2_b32 v[152:153], v96 offset1:1
	v_and_b32_e32 v150, 0xf0f0f0f, v147
	v_and_b32_e32 v148, 0xf0f0f0f, v146
	v_dot4c_i32_i8_e32 v170, v135, v4
	v_dot4c_i32_i8_e32 v172, v138, v4
	s_waitcnt lgkmcnt(0)
	v_lshrrev_b32_e32 v96, 4, v152
	v_and_b32_e32 v147, 0xf0f0f0f, v96
	v_lshrrev_b32_e32 v96, 4, v153
	v_and_b32_e32 v146, 0xf0f0f0f, v152
	v_and_b32_e32 v152, 0xf0f0f0f, v153
	;; [unrolled: 1-line block ×3, first 2 shown]
	v_add_u32_e32 v96, 0x2108, v129
	ds_read2_b32 v[154:155], v96 offset1:1
	v_dot4c_i32_i8_e32 v173, v146, v0
	v_dot4c_i32_i8_e32 v173, v147, v4
	;; [unrolled: 1-line block ×4, first 2 shown]
	s_waitcnt lgkmcnt(0)
	v_lshrrev_b32_e32 v96, 4, v154
	v_and_b32_e32 v157, 0xf0f0f0f, v96
	v_lshrrev_b32_e32 v96, 4, v155
	v_and_b32_e32 v156, 0xf0f0f0f, v154
	v_and_b32_e32 v159, 0xf0f0f0f, v96
	v_add_u32_e32 v154, 0x3180, v129
	ds_read_b32 v96, v133
	ds_read2_b32 v[160:161], v154 offset1:1
	v_and_b32_e32 v158, 0xf0f0f0f, v155
	v_dot4c_i32_i8_e32 v173, v152, v1
	v_dot4c_i32_i8_e32 v170, v139, v5
	;; [unrolled: 1-line block ×3, first 2 shown]
	s_waitcnt lgkmcnt(0)
	v_and_b32_e32 v154, 0xf0f0f0f, v160
	v_lshrrev_b32_e32 v155, 4, v160
	v_and_b32_e32 v155, 0xf0f0f0f, v155
	v_dot4c_i32_i8_e32 v174, v154, v0
	v_dot4c_i32_i8_e32 v174, v155, v4
	v_and_b32_e32 v0, 0xf0f0f0f, v161
	v_dot4c_i32_i8_e32 v174, v0, v1
	v_add_u32_e32 v1, 0x3188, v129
	v_lshrrev_b32_e32 v4, 4, v161
	ds_read2_b32 v[160:161], v1 offset1:1
	v_and_b32_e32 v4, 0xf0f0f0f, v4
	v_dot4c_i32_i8_e32 v173, v153, v5
	v_dot4c_i32_i8_e32 v174, v4, v5
	;; [unrolled: 1-line block ×3, first 2 shown]
	s_waitcnt lgkmcnt(0)
	v_and_b32_e32 v1, 0xf0f0f0f, v160
	v_lshrrev_b32_e32 v5, 4, v160
	v_dot4c_i32_i8_e32 v172, v148, v2
	v_dot4c_i32_i8_e32 v173, v156, v2
	v_and_b32_e32 v5, 0xf0f0f0f, v5
	v_dot4c_i32_i8_e32 v174, v1, v2
	v_dot4c_i32_i8_e32 v170, v141, v6
	;; [unrolled: 1-line block ×5, first 2 shown]
	v_and_b32_e32 v2, 0xf0f0f0f, v161
	v_lshrrev_b32_e32 v6, 4, v161
	ds_read_b128 v[160:163], v128 offset:1024
	ds_read_b128 v[164:167], v128 offset:1040
	v_dot4c_i32_i8_e32 v170, v142, v3
	v_dot4c_i32_i8_e32 v172, v150, v3
	;; [unrolled: 1-line block ×4, first 2 shown]
	v_mov_b32_e32 v3, 0
	s_waitcnt lgkmcnt(1)
	v_dot4c_i32_i8_e32 v3, v134, v160
	s_waitcnt lgkmcnt(0)
	v_dot4c_i32_i8_e32 v3, v135, v164
	v_dot4c_i32_i8_e32 v3, v137, v161
	;; [unrolled: 1-line block ×8, first 2 shown]
	v_cvt_f32_f16_e32 v169, v99
	v_cvt_f32_f16_e32 v168, v98
	v_cvt_f32_i32_e32 v171, v3
	v_mov_b32_e32 v3, 0
	v_dot4c_i32_i8_e32 v3, v136, v160
	v_dot4c_i32_i8_e32 v3, v138, v164
	v_cvt_f32_f16_sdwa v99, v99 dst_sel:DWORD dst_unused:UNUSED_PAD src0_sel:WORD_1
	v_cvt_f32_f16_sdwa v98, v98 dst_sel:DWORD dst_unused:UNUSED_PAD src0_sel:WORD_1
	v_dot4c_i32_i8_e32 v3, v143, v161
	v_cvt_f32_i32_e32 v170, v170
	v_dot4c_i32_i8_e32 v3, v145, v165
	v_dot4c_i32_i8_e32 v3, v148, v162
	;; [unrolled: 1-line block ×3, first 2 shown]
	v_pk_mul_f32 v[98:99], v[98:99], s[4:5] op_sel_hi:[1,0]
	v_dot4c_i32_i8_e32 v3, v150, v163
	v_pk_fma_f32 v[170:171], v[168:169], v[170:171], v[98:99] neg_lo:[0,0,1] neg_hi:[0,0,1]
	v_dot4c_i32_i8_e32 v3, v151, v167
	v_pk_fma_f32 v[44:45], v[90:91], v[170:171], v[44:45] op_sel_hi:[0,1,1]
	v_dot4c_i32_i8_e32 v172, v151, v7
	v_and_b32_e32 v6, 0xf0f0f0f, v6
	v_cvt_f32_i32_e32 v171, v3
	v_mov_b32_e32 v3, 0
	v_dot4c_i32_i8_e32 v3, v146, v160
	v_dot4c_i32_i8_e32 v3, v147, v164
	;; [unrolled: 1-line block ×3, first 2 shown]
	v_cvt_f32_i32_e32 v170, v172
	v_dot4c_i32_i8_e32 v3, v153, v165
	v_dot4c_i32_i8_e32 v3, v156, v162
	;; [unrolled: 1-line block ×4, first 2 shown]
	v_pk_fma_f32 v[170:171], v[168:169], v[170:171], v[98:99] neg_lo:[0,0,1] neg_hi:[0,0,1]
	v_dot4c_i32_i8_e32 v3, v159, v167
	v_pk_fma_f32 v[36:37], v[92:93], v[170:171], v[36:37] op_sel_hi:[0,1,1]
	v_dot4c_i32_i8_e32 v173, v159, v7
	v_dot4c_i32_i8_e32 v174, v6, v7
	v_cvt_f32_i32_e32 v171, v3
	v_mov_b32_e32 v3, 0
	v_dot4c_i32_i8_e32 v3, v154, v160
	v_dot4c_i32_i8_e32 v3, v155, v164
	;; [unrolled: 1-line block ×8, first 2 shown]
	v_cvt_f32_i32_e32 v170, v173
	v_cvt_f32_i32_e32 v160, v174
	v_mov_b32_e32 v7, 0
	v_cvt_f32_i32_e32 v161, v3
	v_pk_fma_f32 v[170:171], v[168:169], v[170:171], v[98:99] neg_lo:[0,0,1] neg_hi:[0,0,1]
	v_mov_b32_e32 v3, 0
	v_mov_b32_e32 v172, 0
	v_pk_fma_f32 v[98:99], v[168:169], v[160:161], v[98:99] neg_lo:[0,0,1] neg_hi:[0,0,1]
	v_mov_b32_e32 v173, 0
	v_pk_fma_f32 v[32:33], v[96:97], v[98:99], v[32:33] op_sel_hi:[0,1,1]
	ds_read_b128 v[160:163], v128 offset:2048
	ds_read_b128 v[164:167], v128 offset:2064
	ds_read2_b32 v[98:99], v127 offset0:64 offset1:96
	v_pk_fma_f32 v[34:35], v[94:95], v[170:171], v[34:35] op_sel_hi:[0,1,1]
	v_mov_b32_e32 v170, 0
	s_waitcnt lgkmcnt(2)
	v_dot4c_i32_i8_e32 v3, v134, v160
	v_dot4c_i32_i8_e32 v7, v136, v160
	;; [unrolled: 1-line block ×4, first 2 shown]
	s_waitcnt lgkmcnt(1)
	v_dot4c_i32_i8_e32 v3, v135, v164
	v_dot4c_i32_i8_e32 v7, v138, v164
	;; [unrolled: 1-line block ×28, first 2 shown]
	ds_read_b128 v[160:163], v128 offset:3072
	ds_read_b128 v[164:167], v128 offset:3088
	s_waitcnt lgkmcnt(2)
	v_cvt_f32_f16_e32 v169, v99
	v_cvt_f32_f16_e32 v168, v98
	v_cvt_f32_f16_sdwa v99, v99 dst_sel:DWORD dst_unused:UNUSED_PAD src0_sel:WORD_1
	s_waitcnt lgkmcnt(1)
	v_dot4c_i32_i8_e32 v170, v134, v160
	s_waitcnt lgkmcnt(0)
	v_dot4c_i32_i8_e32 v170, v135, v164
	v_dot4c_i32_i8_e32 v170, v137, v161
	;; [unrolled: 1-line block ×7, first 2 shown]
	v_cvt_f32_f16_sdwa v98, v98 dst_sel:DWORD dst_unused:UNUSED_PAD src0_sel:WORD_1
	s_add_i32 s1, s1, 4
	v_add_u32_e32 v133, 4, v133
	v_cvt_f32_i32_e32 v171, v170
	v_cvt_f32_i32_e32 v170, v3
	v_mov_b32_e32 v3, 0
	v_dot4c_i32_i8_e32 v3, v136, v160
	v_dot4c_i32_i8_e32 v3, v138, v164
	;; [unrolled: 1-line block ×6, first 2 shown]
	v_pk_mul_f32 v[98:99], v[98:99], s[4:5] op_sel_hi:[1,0]
	v_dot4c_i32_i8_e32 v3, v150, v163
	v_pk_fma_f32 v[170:171], v[170:171], v[168:169], v[98:99] neg_lo:[0,0,1] neg_hi:[0,0,1]
	v_dot4c_i32_i8_e32 v3, v151, v167
	v_pk_fma_f32 v[30:31], v[90:91], v[170:171], v[30:31] op_sel_hi:[0,1,1]
	v_cvt_f32_i32_e32 v170, v7
	v_mov_b32_e32 v7, 0
	v_cvt_f32_i32_e32 v171, v3
	v_mov_b32_e32 v3, 0
	v_dot4c_i32_i8_e32 v3, v146, v160
	v_dot4c_i32_i8_e32 v3, v147, v164
	;; [unrolled: 1-line block ×7, first 2 shown]
	v_pk_fma_f32 v[170:171], v[170:171], v[168:169], v[98:99] neg_lo:[0,0,1] neg_hi:[0,0,1]
	v_dot4c_i32_i8_e32 v3, v159, v167
	v_pk_fma_f32 v[28:29], v[92:93], v[170:171], v[28:29] op_sel_hi:[0,1,1]
	v_cvt_f32_i32_e32 v170, v172
	v_mov_b32_e32 v172, 0
	v_cvt_f32_i32_e32 v171, v3
	v_mov_b32_e32 v3, 0
	v_dot4c_i32_i8_e32 v3, v154, v160
	v_dot4c_i32_i8_e32 v3, v155, v164
	;; [unrolled: 1-line block ×8, first 2 shown]
	v_cvt_f32_i32_e32 v160, v173
	v_pk_fma_f32 v[170:171], v[170:171], v[168:169], v[98:99] neg_lo:[0,0,1] neg_hi:[0,0,1]
	v_mov_b32_e32 v173, 0
	v_cvt_f32_i32_e32 v161, v3
	v_mov_b32_e32 v3, 0
	v_pk_fma_f32 v[26:27], v[94:95], v[170:171], v[26:27] op_sel_hi:[0,1,1]
	v_mov_b32_e32 v170, 0
	v_pk_fma_f32 v[98:99], v[160:161], v[168:169], v[98:99] neg_lo:[0,0,1] neg_hi:[0,0,1]
	v_add_u32_e32 v132, 4, v132
	v_pk_fma_f32 v[24:25], v[96:97], v[98:99], v[24:25] op_sel_hi:[0,1,1]
	ds_read_b128 v[160:163], v128 offset:4096
	ds_read_b128 v[164:167], v128 offset:4112
	ds_read2_b32 v[98:99], v127 offset0:128 offset1:160
	v_add_u32_e32 v131, 4, v131
	v_add_u32_e32 v130, 4, v130
	s_waitcnt lgkmcnt(2)
	v_dot4c_i32_i8_e32 v3, v134, v160
	v_dot4c_i32_i8_e32 v7, v136, v160
	;; [unrolled: 1-line block ×4, first 2 shown]
	s_waitcnt lgkmcnt(1)
	v_dot4c_i32_i8_e32 v3, v135, v164
	v_dot4c_i32_i8_e32 v7, v138, v164
	;; [unrolled: 1-line block ×28, first 2 shown]
	ds_read_b128 v[160:163], v128 offset:5120
	ds_read_b128 v[164:167], v128 offset:5136
	s_waitcnt lgkmcnt(2)
	v_cvt_f32_f16_e32 v169, v99
	v_cvt_f32_f16_e32 v168, v98
	v_cvt_f32_f16_sdwa v99, v99 dst_sel:DWORD dst_unused:UNUSED_PAD src0_sel:WORD_1
	s_waitcnt lgkmcnt(1)
	v_dot4c_i32_i8_e32 v170, v134, v160
	s_waitcnt lgkmcnt(0)
	v_dot4c_i32_i8_e32 v170, v135, v164
	v_dot4c_i32_i8_e32 v170, v137, v161
	;; [unrolled: 1-line block ×7, first 2 shown]
	v_cvt_f32_f16_sdwa v98, v98 dst_sel:DWORD dst_unused:UNUSED_PAD src0_sel:WORD_1
	v_add_u32_e32 v129, 16, v129
	s_cmp_lt_u32 s1, 28
	v_cvt_f32_i32_e32 v171, v170
	v_cvt_f32_i32_e32 v170, v3
	v_mov_b32_e32 v3, 0
	v_dot4c_i32_i8_e32 v3, v136, v160
	v_dot4c_i32_i8_e32 v3, v138, v164
	;; [unrolled: 1-line block ×6, first 2 shown]
	v_pk_mul_f32 v[98:99], v[98:99], s[4:5] op_sel_hi:[1,0]
	v_dot4c_i32_i8_e32 v3, v150, v163
	v_pk_fma_f32 v[170:171], v[170:171], v[168:169], v[98:99] neg_lo:[0,0,1] neg_hi:[0,0,1]
	v_dot4c_i32_i8_e32 v3, v151, v167
	v_pk_fma_f32 v[22:23], v[90:91], v[170:171], v[22:23] op_sel_hi:[0,1,1]
	v_cvt_f32_i32_e32 v170, v7
	v_mov_b32_e32 v7, 0
	v_cvt_f32_i32_e32 v171, v3
	v_mov_b32_e32 v3, 0
	v_dot4c_i32_i8_e32 v3, v146, v160
	v_dot4c_i32_i8_e32 v3, v147, v164
	;; [unrolled: 1-line block ×7, first 2 shown]
	v_pk_fma_f32 v[170:171], v[170:171], v[168:169], v[98:99] neg_lo:[0,0,1] neg_hi:[0,0,1]
	v_dot4c_i32_i8_e32 v3, v159, v167
	v_pk_fma_f32 v[20:21], v[92:93], v[170:171], v[20:21] op_sel_hi:[0,1,1]
	v_cvt_f32_i32_e32 v170, v172
	s_nop 0
	v_cvt_f32_i32_e32 v171, v3
	v_mov_b32_e32 v3, 0
	v_dot4c_i32_i8_e32 v3, v154, v160
	v_dot4c_i32_i8_e32 v3, v155, v164
	v_dot4c_i32_i8_e32 v3, v0, v161
	v_dot4c_i32_i8_e32 v3, v4, v165
	v_dot4c_i32_i8_e32 v3, v1, v162
	v_dot4c_i32_i8_e32 v3, v5, v166
	v_dot4c_i32_i8_e32 v3, v2, v163
	v_dot4c_i32_i8_e32 v3, v6, v167
	v_cvt_f32_i32_e32 v160, v173
	v_pk_fma_f32 v[170:171], v[170:171], v[168:169], v[98:99] neg_lo:[0,0,1] neg_hi:[0,0,1]
	s_nop 0
	v_cvt_f32_i32_e32 v161, v3
	v_mov_b32_e32 v3, 0
	v_pk_fma_f32 v[18:19], v[94:95], v[170:171], v[18:19] op_sel_hi:[0,1,1]
	v_mov_b32_e32 v170, 0
	v_pk_fma_f32 v[98:99], v[160:161], v[168:169], v[98:99] neg_lo:[0,0,1] neg_hi:[0,0,1]
	v_mov_b32_e32 v168, 0
	v_pk_fma_f32 v[16:17], v[96:97], v[98:99], v[16:17] op_sel_hi:[0,1,1]
	ds_read_b128 v[160:163], v128 offset:6144
	ds_read_b128 v[164:167], v128 offset:6160
	ds_read2_b32 v[98:99], v127 offset0:192 offset1:224
	v_mov_b32_e32 v169, 0
	v_add_u32_e32 v127, 4, v127
	s_waitcnt lgkmcnt(2)
	v_dot4c_i32_i8_e32 v3, v134, v160
	v_dot4c_i32_i8_e32 v7, v136, v160
	v_dot4c_i32_i8_e32 v168, v146, v160
	v_dot4c_i32_i8_e32 v169, v154, v160
	s_waitcnt lgkmcnt(1)
	v_dot4c_i32_i8_e32 v3, v135, v164
	v_dot4c_i32_i8_e32 v7, v138, v164
	;; [unrolled: 1-line block ×28, first 2 shown]
	ds_read_b128 v[160:163], v128 offset:7168
	ds_read_b128 v[164:167], v128 offset:7184
	v_add_u32_e32 v128, 32, v128
	s_waitcnt lgkmcnt(1)
	v_dot4c_i32_i8_e32 v170, v134, v160
	s_waitcnt lgkmcnt(0)
	v_dot4c_i32_i8_e32 v170, v135, v164
	v_dot4c_i32_i8_e32 v170, v137, v161
	;; [unrolled: 1-line block ×4, first 2 shown]
	v_cvt_f32_i32_e32 v140, v3
	v_mov_b32_e32 v3, 0
	v_dot4c_i32_i8_e32 v3, v136, v160
	v_dot4c_i32_i8_e32 v3, v138, v164
	;; [unrolled: 1-line block ×8, first 2 shown]
	v_cvt_f32_f16_e32 v135, v99
	v_cvt_f32_f16_e32 v134, v98
	v_cvt_f32_f16_sdwa v99, v99 dst_sel:DWORD dst_unused:UNUSED_PAD src0_sel:WORD_1
	v_cvt_f32_i32_e32 v137, v3
	v_mov_b32_e32 v3, 0
	v_dot4c_i32_i8_e32 v3, v146, v160
	v_dot4c_i32_i8_e32 v3, v147, v164
	v_cvt_f32_f16_sdwa v98, v98 dst_sel:DWORD dst_unused:UNUSED_PAD src0_sel:WORD_1
	v_dot4c_i32_i8_e32 v3, v152, v161
	v_cvt_f32_i32_e32 v136, v7
	v_dot4c_i32_i8_e32 v3, v153, v165
	v_dot4c_i32_i8_e32 v3, v156, v162
	;; [unrolled: 1-line block ×3, first 2 shown]
	v_pk_mul_f32 v[98:99], v[98:99], s[4:5] op_sel_hi:[1,0]
	v_dot4c_i32_i8_e32 v3, v158, v163
	v_pk_fma_f32 v[136:137], v[136:137], v[134:135], v[98:99] neg_lo:[0,0,1] neg_hi:[0,0,1]
	v_dot4c_i32_i8_e32 v3, v159, v167
	v_pk_fma_f32 v[12:13], v[92:93], v[136:137], v[12:13] op_sel_hi:[0,1,1]
	v_dot4c_i32_i8_e32 v170, v141, v166
	v_dot4c_i32_i8_e32 v170, v142, v163
	v_cvt_f32_i32_e32 v137, v3
	v_mov_b32_e32 v3, 0
	v_dot4c_i32_i8_e32 v3, v154, v160
	v_dot4c_i32_i8_e32 v3, v155, v164
	;; [unrolled: 1-line block ×9, first 2 shown]
	v_cvt_f32_i32_e32 v136, v168
	v_cvt_f32_i32_e32 v0, v169
	;; [unrolled: 1-line block ×4, first 2 shown]
	v_pk_fma_f32 v[136:137], v[136:137], v[134:135], v[98:99] neg_lo:[0,0,1] neg_hi:[0,0,1]
	v_pk_fma_f32 v[140:141], v[140:141], v[134:135], v[98:99] neg_lo:[0,0,1] neg_hi:[0,0,1]
	v_pk_fma_f32 v[0:1], v[0:1], v[134:135], v[98:99] neg_lo:[0,0,1] neg_hi:[0,0,1]
	v_pk_fma_f32 v[14:15], v[90:91], v[140:141], v[14:15] op_sel_hi:[0,1,1]
	v_pk_fma_f32 v[10:11], v[94:95], v[136:137], v[10:11] op_sel_hi:[0,1,1]
	;; [unrolled: 1-line block ×3, first 2 shown]
	s_cbranch_scc1 .LBB157_10
; %bb.11:                               ;   in Loop: Header=BB157_6 Depth=1
	s_barrier
	s_branch .LBB157_5
.LBB157_12:
	v_mov_b32_e32 v1, v43
.LBB157_13:
	v_cmp_gt_u32_e32 vcc, s8, v47
	s_and_saveexec_b64 s[0:1], vcc
	s_cbranch_execz .LBB157_64
; %bb.14:
	v_add_u32_e32 v0, s14, v39
	v_mul_lo_u32 v5, v47, s10
	v_cmp_gt_u32_e32 vcc, s10, v0
	s_and_saveexec_b64 s[2:3], vcc
	s_cbranch_execz .LBB157_16
; %bb.15:
	v_bfe_u32 v2, v44, 16, 1
	s_movk_i32 s0, 0x7fff
	v_add3_u32 v2, v44, v2, s0
	v_lshrrev_b32_e32 v2, 16, v2
	v_mov_b32_e32 v3, 0x7fc0
	v_cmp_o_f32_e64 s[0:1], v44, v44
	s_nop 1
	v_cndmask_b32_e64 v4, v3, v2, s[0:1]
	v_add_u32_e32 v2, v0, v5
	v_mov_b32_e32 v3, 0
	s_waitcnt lgkmcnt(0)
	v_lshl_add_u64 v[2:3], v[2:3], 1, s[12:13]
	global_store_short v[2:3], v4, off
.LBB157_16:
	s_or_b64 exec, exec, s[2:3]
	v_add_u32_e32 v2, 32, v0
	v_cmp_gt_u32_e64 s[0:1], s10, v2
	s_and_saveexec_b64 s[4:5], s[0:1]
	s_cbranch_execz .LBB157_18
; %bb.17:
	v_bfe_u32 v3, v36, 16, 1
	s_movk_i32 s2, 0x7fff
	v_add3_u32 v3, v36, v3, s2
	v_lshrrev_b32_e32 v3, 16, v3
	v_mov_b32_e32 v4, 0x7fc0
	v_cmp_o_f32_e64 s[2:3], v36, v36
	v_add_u32_e32 v6, v2, v5
	v_mov_b32_e32 v7, 0
	v_cndmask_b32_e64 v3, v4, v3, s[2:3]
	s_waitcnt lgkmcnt(0)
	v_lshl_add_u64 v[6:7], v[6:7], 1, s[12:13]
	global_store_short v[6:7], v3, off
.LBB157_18:
	s_or_b64 exec, exec, s[4:5]
	v_add_u32_e32 v3, 64, v0
	v_cmp_gt_u32_e64 s[2:3], s10, v3
	s_and_saveexec_b64 s[6:7], s[2:3]
	s_cbranch_execz .LBB157_20
; %bb.19:
	v_bfe_u32 v4, v34, 16, 1
	s_movk_i32 s4, 0x7fff
	v_add3_u32 v4, v34, v4, s4
	v_lshrrev_b32_e32 v4, 16, v4
	v_mov_b32_e32 v6, 0x7fc0
	v_cmp_o_f32_e64 s[4:5], v34, v34
	v_mov_b32_e32 v7, 0
	s_nop 0
	v_cndmask_b32_e64 v4, v6, v4, s[4:5]
	v_add_u32_e32 v6, v3, v5
	s_waitcnt lgkmcnt(0)
	v_lshl_add_u64 v[6:7], v[6:7], 1, s[12:13]
	global_store_short v[6:7], v4, off
.LBB157_20:
	s_or_b64 exec, exec, s[6:7]
	v_add_u32_e32 v4, 0x60, v0
	v_cmp_gt_u32_e64 s[4:5], s10, v4
	s_and_saveexec_b64 s[14:15], s[4:5]
	s_cbranch_execz .LBB157_22
; %bb.21:
	v_bfe_u32 v6, v32, 16, 1
	s_movk_i32 s6, 0x7fff
	v_add3_u32 v6, v32, v6, s6
	v_lshrrev_b32_e32 v6, 16, v6
	v_mov_b32_e32 v7, 0x7fc0
	v_cmp_o_f32_e64 s[6:7], v32, v32
	s_nop 1
	v_cndmask_b32_e64 v32, v7, v6, s[6:7]
	v_add_u32_e32 v6, v4, v5
	v_mov_b32_e32 v7, 0
	s_waitcnt lgkmcnt(0)
	v_lshl_add_u64 v[6:7], v[6:7], 1, s[12:13]
	global_store_short v[6:7], v32, off
.LBB157_22:
	s_or_b64 exec, exec, s[14:15]
	v_add3_u32 v5, v1, s11, 8
	v_cmp_gt_u32_e64 s[6:7], s8, v5
	s_and_b64 exec, exec, s[6:7]
	s_cbranch_execz .LBB157_64
; %bb.23:
	v_mul_lo_u32 v5, v5, s10
	s_and_saveexec_b64 s[14:15], vcc
	s_cbranch_execnz .LBB157_65
; %bb.24:
	s_or_b64 exec, exec, s[14:15]
	s_and_saveexec_b64 s[14:15], s[0:1]
	s_cbranch_execnz .LBB157_66
.LBB157_25:
	s_or_b64 exec, exec, s[14:15]
	s_and_saveexec_b64 s[14:15], s[2:3]
	s_cbranch_execnz .LBB157_67
.LBB157_26:
	s_or_b64 exec, exec, s[14:15]
	s_and_saveexec_b64 s[14:15], s[4:5]
	s_cbranch_execz .LBB157_28
.LBB157_27:
	v_bfe_u32 v6, v33, 16, 1
	s_movk_i32 s6, 0x7fff
	v_add3_u32 v6, v33, v6, s6
	v_lshrrev_b32_e32 v6, 16, v6
	v_mov_b32_e32 v7, 0x7fc0
	v_cmp_o_f32_e64 s[6:7], v33, v33
	s_nop 1
	v_cndmask_b32_e64 v32, v7, v6, s[6:7]
	v_add_u32_e32 v6, v5, v4
	v_mov_b32_e32 v7, 0
	s_waitcnt lgkmcnt(0)
	v_lshl_add_u64 v[6:7], v[6:7], 1, s[12:13]
	global_store_short v[6:7], v32, off
.LBB157_28:
	s_or_b64 exec, exec, s[14:15]
	v_add3_u32 v5, v1, s11, 16
	v_cmp_gt_u32_e64 s[6:7], s8, v5
	s_and_b64 exec, exec, s[6:7]
	s_cbranch_execz .LBB157_64
; %bb.29:
	v_mul_lo_u32 v5, v5, s10
	s_and_saveexec_b64 s[14:15], vcc
	s_cbranch_execnz .LBB157_68
; %bb.30:
	s_or_b64 exec, exec, s[14:15]
	s_and_saveexec_b64 s[14:15], s[0:1]
	s_cbranch_execnz .LBB157_69
.LBB157_31:
	s_or_b64 exec, exec, s[14:15]
	s_and_saveexec_b64 s[14:15], s[2:3]
	s_cbranch_execnz .LBB157_70
.LBB157_32:
	s_or_b64 exec, exec, s[14:15]
	s_and_saveexec_b64 s[14:15], s[4:5]
	s_cbranch_execz .LBB157_34
.LBB157_33:
	v_bfe_u32 v6, v24, 16, 1
	s_movk_i32 s6, 0x7fff
	v_add3_u32 v6, v24, v6, s6
	v_lshrrev_b32_e32 v6, 16, v6
	v_mov_b32_e32 v7, 0x7fc0
	v_cmp_o_f32_e64 s[6:7], v24, v24
	s_nop 1
	v_cndmask_b32_e64 v24, v7, v6, s[6:7]
	v_add_u32_e32 v6, v5, v4
	v_mov_b32_e32 v7, 0
	s_waitcnt lgkmcnt(0)
	v_lshl_add_u64 v[6:7], v[6:7], 1, s[12:13]
	global_store_short v[6:7], v24, off
.LBB157_34:
	s_or_b64 exec, exec, s[14:15]
	v_add3_u32 v5, v1, s11, 24
	v_cmp_gt_u32_e64 s[6:7], s8, v5
	s_and_b64 exec, exec, s[6:7]
	s_cbranch_execz .LBB157_64
; %bb.35:
	v_mul_lo_u32 v5, v5, s10
	s_and_saveexec_b64 s[14:15], vcc
	s_cbranch_execnz .LBB157_71
; %bb.36:
	s_or_b64 exec, exec, s[14:15]
	s_and_saveexec_b64 s[14:15], s[0:1]
	s_cbranch_execnz .LBB157_72
.LBB157_37:
	s_or_b64 exec, exec, s[14:15]
	s_and_saveexec_b64 s[14:15], s[2:3]
	s_cbranch_execnz .LBB157_73
.LBB157_38:
	s_or_b64 exec, exec, s[14:15]
	s_and_saveexec_b64 s[14:15], s[4:5]
	s_cbranch_execz .LBB157_40
.LBB157_39:
	v_bfe_u32 v6, v25, 16, 1
	s_movk_i32 s6, 0x7fff
	v_add3_u32 v6, v25, v6, s6
	v_lshrrev_b32_e32 v6, 16, v6
	v_mov_b32_e32 v7, 0x7fc0
	v_cmp_o_f32_e64 s[6:7], v25, v25
	s_nop 1
	v_cndmask_b32_e64 v24, v7, v6, s[6:7]
	v_add_u32_e32 v6, v5, v4
	v_mov_b32_e32 v7, 0
	s_waitcnt lgkmcnt(0)
	v_lshl_add_u64 v[6:7], v[6:7], 1, s[12:13]
	global_store_short v[6:7], v24, off
.LBB157_40:
	s_or_b64 exec, exec, s[14:15]
	v_add3_u32 v5, v1, s11, 32
	v_cmp_gt_u32_e64 s[6:7], s8, v5
	s_and_b64 exec, exec, s[6:7]
	s_cbranch_execz .LBB157_64
; %bb.41:
	v_mul_lo_u32 v5, v5, s10
	s_and_saveexec_b64 s[14:15], vcc
	s_cbranch_execnz .LBB157_74
; %bb.42:
	s_or_b64 exec, exec, s[14:15]
	s_and_saveexec_b64 s[14:15], s[0:1]
	s_cbranch_execnz .LBB157_75
.LBB157_43:
	s_or_b64 exec, exec, s[14:15]
	s_and_saveexec_b64 s[14:15], s[2:3]
	s_cbranch_execnz .LBB157_76
.LBB157_44:
	s_or_b64 exec, exec, s[14:15]
	s_and_saveexec_b64 s[14:15], s[4:5]
	s_cbranch_execz .LBB157_46
.LBB157_45:
	v_bfe_u32 v6, v16, 16, 1
	s_movk_i32 s6, 0x7fff
	v_add3_u32 v6, v16, v6, s6
	v_lshrrev_b32_e32 v6, 16, v6
	v_mov_b32_e32 v7, 0x7fc0
	v_cmp_o_f32_e64 s[6:7], v16, v16
	s_nop 1
	v_cndmask_b32_e64 v16, v7, v6, s[6:7]
	v_add_u32_e32 v6, v5, v4
	v_mov_b32_e32 v7, 0
	s_waitcnt lgkmcnt(0)
	v_lshl_add_u64 v[6:7], v[6:7], 1, s[12:13]
	global_store_short v[6:7], v16, off
.LBB157_46:
	s_or_b64 exec, exec, s[14:15]
	v_add3_u32 v5, v1, s11, 40
	v_cmp_gt_u32_e64 s[6:7], s8, v5
	s_and_b64 exec, exec, s[6:7]
	s_cbranch_execz .LBB157_64
; %bb.47:
	v_mul_lo_u32 v5, v5, s10
	s_and_saveexec_b64 s[14:15], vcc
	s_cbranch_execnz .LBB157_77
; %bb.48:
	s_or_b64 exec, exec, s[14:15]
	s_and_saveexec_b64 s[14:15], s[0:1]
	s_cbranch_execnz .LBB157_78
.LBB157_49:
	s_or_b64 exec, exec, s[14:15]
	s_and_saveexec_b64 s[14:15], s[2:3]
	s_cbranch_execnz .LBB157_79
.LBB157_50:
	s_or_b64 exec, exec, s[14:15]
	s_and_saveexec_b64 s[14:15], s[4:5]
	s_cbranch_execz .LBB157_52
.LBB157_51:
	v_bfe_u32 v6, v17, 16, 1
	s_movk_i32 s6, 0x7fff
	v_add3_u32 v6, v17, v6, s6
	v_lshrrev_b32_e32 v6, 16, v6
	v_mov_b32_e32 v7, 0x7fc0
	v_cmp_o_f32_e64 s[6:7], v17, v17
	s_nop 1
	v_cndmask_b32_e64 v16, v7, v6, s[6:7]
	v_add_u32_e32 v6, v5, v4
	v_mov_b32_e32 v7, 0
	s_waitcnt lgkmcnt(0)
	v_lshl_add_u64 v[6:7], v[6:7], 1, s[12:13]
	global_store_short v[6:7], v16, off
.LBB157_52:
	s_or_b64 exec, exec, s[14:15]
	v_add3_u32 v5, v1, s11, 48
	v_cmp_gt_u32_e64 s[6:7], s8, v5
	s_and_b64 exec, exec, s[6:7]
	s_cbranch_execz .LBB157_64
; %bb.53:
	v_mul_lo_u32 v5, v5, s10
	s_and_saveexec_b64 s[14:15], vcc
	s_cbranch_execnz .LBB157_80
; %bb.54:
	s_or_b64 exec, exec, s[14:15]
	s_and_saveexec_b64 s[14:15], s[0:1]
	s_cbranch_execnz .LBB157_81
.LBB157_55:
	s_or_b64 exec, exec, s[14:15]
	s_and_saveexec_b64 s[14:15], s[2:3]
	s_cbranch_execnz .LBB157_82
.LBB157_56:
	s_or_b64 exec, exec, s[14:15]
	s_and_saveexec_b64 s[14:15], s[4:5]
	s_cbranch_execz .LBB157_58
.LBB157_57:
	v_bfe_u32 v6, v8, 16, 1
	s_movk_i32 s6, 0x7fff
	v_add3_u32 v6, v8, v6, s6
	v_lshrrev_b32_e32 v6, 16, v6
	v_mov_b32_e32 v7, 0x7fc0
	v_cmp_o_f32_e64 s[6:7], v8, v8
	s_nop 1
	v_cndmask_b32_e64 v8, v7, v6, s[6:7]
	v_add_u32_e32 v6, v5, v4
	v_mov_b32_e32 v7, 0
	s_waitcnt lgkmcnt(0)
	v_lshl_add_u64 v[6:7], v[6:7], 1, s[12:13]
	global_store_short v[6:7], v8, off
.LBB157_58:
	s_or_b64 exec, exec, s[14:15]
	v_add3_u32 v1, v1, s11, 56
	v_cmp_gt_u32_e64 s[6:7], s8, v1
	s_and_b64 exec, exec, s[6:7]
	s_cbranch_execz .LBB157_64
; %bb.59:
	v_mul_lo_u32 v1, v1, s10
	s_and_saveexec_b64 s[6:7], vcc
	s_cbranch_execnz .LBB157_83
; %bb.60:
	s_or_b64 exec, exec, s[6:7]
	s_and_saveexec_b64 s[6:7], s[0:1]
	s_cbranch_execnz .LBB157_84
.LBB157_61:
	s_or_b64 exec, exec, s[6:7]
	s_and_saveexec_b64 s[0:1], s[2:3]
	s_cbranch_execnz .LBB157_85
.LBB157_62:
	s_or_b64 exec, exec, s[0:1]
	s_and_b64 exec, exec, s[4:5]
	s_cbranch_execz .LBB157_64
.LBB157_63:
	v_bfe_u32 v0, v9, 16, 1
	s_movk_i32 s0, 0x7fff
	v_add3_u32 v0, v9, v0, s0
	v_lshrrev_b32_e32 v0, 16, v0
	v_mov_b32_e32 v2, 0x7fc0
	v_cmp_o_f32_e32 vcc, v9, v9
	s_nop 1
	v_cndmask_b32_e32 v2, v2, v0, vcc
	v_add_u32_e32 v0, v1, v4
	v_mov_b32_e32 v1, 0
	s_waitcnt lgkmcnt(0)
	v_lshl_add_u64 v[0:1], v[0:1], 1, s[12:13]
	global_store_short v[0:1], v2, off
.LBB157_64:
	s_endpgm
.LBB157_65:
	v_bfe_u32 v6, v45, 16, 1
	s_movk_i32 s6, 0x7fff
	v_add3_u32 v6, v45, v6, s6
	v_lshrrev_b32_e32 v6, 16, v6
	v_mov_b32_e32 v7, 0x7fc0
	v_cmp_o_f32_e64 s[6:7], v45, v45
	s_nop 1
	v_cndmask_b32_e64 v32, v7, v6, s[6:7]
	v_add_u32_e32 v6, v5, v0
	v_mov_b32_e32 v7, 0
	s_waitcnt lgkmcnt(0)
	v_lshl_add_u64 v[6:7], v[6:7], 1, s[12:13]
	global_store_short v[6:7], v32, off
	s_or_b64 exec, exec, s[14:15]
	s_and_saveexec_b64 s[14:15], s[0:1]
	s_cbranch_execz .LBB157_25
.LBB157_66:
	v_bfe_u32 v6, v37, 16, 1
	s_movk_i32 s6, 0x7fff
	v_add3_u32 v6, v37, v6, s6
	v_lshrrev_b32_e32 v6, 16, v6
	v_mov_b32_e32 v7, 0x7fc0
	v_cmp_o_f32_e64 s[6:7], v37, v37
	s_nop 1
	v_cndmask_b32_e64 v32, v7, v6, s[6:7]
	v_add_u32_e32 v6, v5, v2
	v_mov_b32_e32 v7, 0
	s_waitcnt lgkmcnt(0)
	v_lshl_add_u64 v[6:7], v[6:7], 1, s[12:13]
	global_store_short v[6:7], v32, off
	s_or_b64 exec, exec, s[14:15]
	s_and_saveexec_b64 s[14:15], s[2:3]
	s_cbranch_execz .LBB157_26
.LBB157_67:
	v_bfe_u32 v6, v35, 16, 1
	s_movk_i32 s6, 0x7fff
	v_add3_u32 v6, v35, v6, s6
	v_lshrrev_b32_e32 v6, 16, v6
	v_mov_b32_e32 v7, 0x7fc0
	v_cmp_o_f32_e64 s[6:7], v35, v35
	s_nop 1
	v_cndmask_b32_e64 v32, v7, v6, s[6:7]
	v_add_u32_e32 v6, v5, v3
	v_mov_b32_e32 v7, 0
	s_waitcnt lgkmcnt(0)
	v_lshl_add_u64 v[6:7], v[6:7], 1, s[12:13]
	global_store_short v[6:7], v32, off
	s_or_b64 exec, exec, s[14:15]
	s_and_saveexec_b64 s[14:15], s[4:5]
	s_cbranch_execnz .LBB157_27
	s_branch .LBB157_28
.LBB157_68:
	v_bfe_u32 v6, v30, 16, 1
	s_movk_i32 s6, 0x7fff
	v_add3_u32 v6, v30, v6, s6
	v_lshrrev_b32_e32 v6, 16, v6
	v_mov_b32_e32 v7, 0x7fc0
	v_cmp_o_f32_e64 s[6:7], v30, v30
	s_nop 1
	v_cndmask_b32_e64 v30, v7, v6, s[6:7]
	v_add_u32_e32 v6, v5, v0
	v_mov_b32_e32 v7, 0
	s_waitcnt lgkmcnt(0)
	v_lshl_add_u64 v[6:7], v[6:7], 1, s[12:13]
	global_store_short v[6:7], v30, off
	s_or_b64 exec, exec, s[14:15]
	s_and_saveexec_b64 s[14:15], s[0:1]
	s_cbranch_execz .LBB157_31
.LBB157_69:
	v_bfe_u32 v6, v28, 16, 1
	s_movk_i32 s6, 0x7fff
	v_add3_u32 v6, v28, v6, s6
	v_lshrrev_b32_e32 v6, 16, v6
	v_mov_b32_e32 v7, 0x7fc0
	v_cmp_o_f32_e64 s[6:7], v28, v28
	s_nop 1
	v_cndmask_b32_e64 v28, v7, v6, s[6:7]
	v_add_u32_e32 v6, v5, v2
	v_mov_b32_e32 v7, 0
	s_waitcnt lgkmcnt(0)
	v_lshl_add_u64 v[6:7], v[6:7], 1, s[12:13]
	global_store_short v[6:7], v28, off
	s_or_b64 exec, exec, s[14:15]
	s_and_saveexec_b64 s[14:15], s[2:3]
	s_cbranch_execz .LBB157_32
.LBB157_70:
	v_bfe_u32 v6, v26, 16, 1
	s_movk_i32 s6, 0x7fff
	v_add3_u32 v6, v26, v6, s6
	v_lshrrev_b32_e32 v6, 16, v6
	v_mov_b32_e32 v7, 0x7fc0
	v_cmp_o_f32_e64 s[6:7], v26, v26
	s_nop 1
	v_cndmask_b32_e64 v26, v7, v6, s[6:7]
	v_add_u32_e32 v6, v5, v3
	v_mov_b32_e32 v7, 0
	s_waitcnt lgkmcnt(0)
	v_lshl_add_u64 v[6:7], v[6:7], 1, s[12:13]
	global_store_short v[6:7], v26, off
	s_or_b64 exec, exec, s[14:15]
	s_and_saveexec_b64 s[14:15], s[4:5]
	s_cbranch_execnz .LBB157_33
	s_branch .LBB157_34
.LBB157_71:
	v_bfe_u32 v6, v31, 16, 1
	s_movk_i32 s6, 0x7fff
	v_add3_u32 v6, v31, v6, s6
	v_lshrrev_b32_e32 v6, 16, v6
	v_mov_b32_e32 v7, 0x7fc0
	v_cmp_o_f32_e64 s[6:7], v31, v31
	s_nop 1
	v_cndmask_b32_e64 v24, v7, v6, s[6:7]
	v_add_u32_e32 v6, v5, v0
	v_mov_b32_e32 v7, 0
	s_waitcnt lgkmcnt(0)
	v_lshl_add_u64 v[6:7], v[6:7], 1, s[12:13]
	global_store_short v[6:7], v24, off
	s_or_b64 exec, exec, s[14:15]
	s_and_saveexec_b64 s[14:15], s[0:1]
	s_cbranch_execz .LBB157_37
.LBB157_72:
	v_bfe_u32 v6, v29, 16, 1
	s_movk_i32 s6, 0x7fff
	v_add3_u32 v6, v29, v6, s6
	v_lshrrev_b32_e32 v6, 16, v6
	v_mov_b32_e32 v7, 0x7fc0
	v_cmp_o_f32_e64 s[6:7], v29, v29
	s_nop 1
	v_cndmask_b32_e64 v24, v7, v6, s[6:7]
	v_add_u32_e32 v6, v5, v2
	v_mov_b32_e32 v7, 0
	s_waitcnt lgkmcnt(0)
	v_lshl_add_u64 v[6:7], v[6:7], 1, s[12:13]
	global_store_short v[6:7], v24, off
	s_or_b64 exec, exec, s[14:15]
	s_and_saveexec_b64 s[14:15], s[2:3]
	s_cbranch_execz .LBB157_38
.LBB157_73:
	v_bfe_u32 v6, v27, 16, 1
	s_movk_i32 s6, 0x7fff
	v_add3_u32 v6, v27, v6, s6
	v_lshrrev_b32_e32 v6, 16, v6
	v_mov_b32_e32 v7, 0x7fc0
	v_cmp_o_f32_e64 s[6:7], v27, v27
	s_nop 1
	v_cndmask_b32_e64 v24, v7, v6, s[6:7]
	v_add_u32_e32 v6, v5, v3
	v_mov_b32_e32 v7, 0
	s_waitcnt lgkmcnt(0)
	v_lshl_add_u64 v[6:7], v[6:7], 1, s[12:13]
	global_store_short v[6:7], v24, off
	s_or_b64 exec, exec, s[14:15]
	s_and_saveexec_b64 s[14:15], s[4:5]
	s_cbranch_execnz .LBB157_39
	s_branch .LBB157_40
.LBB157_74:
	v_bfe_u32 v6, v22, 16, 1
	s_movk_i32 s6, 0x7fff
	v_add3_u32 v6, v22, v6, s6
	v_lshrrev_b32_e32 v6, 16, v6
	v_mov_b32_e32 v7, 0x7fc0
	v_cmp_o_f32_e64 s[6:7], v22, v22
	s_nop 1
	v_cndmask_b32_e64 v22, v7, v6, s[6:7]
	v_add_u32_e32 v6, v5, v0
	v_mov_b32_e32 v7, 0
	s_waitcnt lgkmcnt(0)
	v_lshl_add_u64 v[6:7], v[6:7], 1, s[12:13]
	global_store_short v[6:7], v22, off
	s_or_b64 exec, exec, s[14:15]
	s_and_saveexec_b64 s[14:15], s[0:1]
	s_cbranch_execz .LBB157_43
.LBB157_75:
	v_bfe_u32 v6, v20, 16, 1
	s_movk_i32 s6, 0x7fff
	v_add3_u32 v6, v20, v6, s6
	v_lshrrev_b32_e32 v6, 16, v6
	v_mov_b32_e32 v7, 0x7fc0
	v_cmp_o_f32_e64 s[6:7], v20, v20
	s_nop 1
	v_cndmask_b32_e64 v20, v7, v6, s[6:7]
	v_add_u32_e32 v6, v5, v2
	v_mov_b32_e32 v7, 0
	s_waitcnt lgkmcnt(0)
	v_lshl_add_u64 v[6:7], v[6:7], 1, s[12:13]
	global_store_short v[6:7], v20, off
	s_or_b64 exec, exec, s[14:15]
	s_and_saveexec_b64 s[14:15], s[2:3]
	s_cbranch_execz .LBB157_44
.LBB157_76:
	v_bfe_u32 v6, v18, 16, 1
	s_movk_i32 s6, 0x7fff
	v_add3_u32 v6, v18, v6, s6
	v_lshrrev_b32_e32 v6, 16, v6
	v_mov_b32_e32 v7, 0x7fc0
	v_cmp_o_f32_e64 s[6:7], v18, v18
	s_nop 1
	v_cndmask_b32_e64 v18, v7, v6, s[6:7]
	v_add_u32_e32 v6, v5, v3
	v_mov_b32_e32 v7, 0
	s_waitcnt lgkmcnt(0)
	v_lshl_add_u64 v[6:7], v[6:7], 1, s[12:13]
	global_store_short v[6:7], v18, off
	s_or_b64 exec, exec, s[14:15]
	s_and_saveexec_b64 s[14:15], s[4:5]
	s_cbranch_execnz .LBB157_45
	s_branch .LBB157_46
.LBB157_77:
	v_bfe_u32 v6, v23, 16, 1
	s_movk_i32 s6, 0x7fff
	v_add3_u32 v6, v23, v6, s6
	v_lshrrev_b32_e32 v6, 16, v6
	v_mov_b32_e32 v7, 0x7fc0
	v_cmp_o_f32_e64 s[6:7], v23, v23
	s_nop 1
	v_cndmask_b32_e64 v16, v7, v6, s[6:7]
	v_add_u32_e32 v6, v5, v0
	v_mov_b32_e32 v7, 0
	s_waitcnt lgkmcnt(0)
	v_lshl_add_u64 v[6:7], v[6:7], 1, s[12:13]
	global_store_short v[6:7], v16, off
	s_or_b64 exec, exec, s[14:15]
	s_and_saveexec_b64 s[14:15], s[0:1]
	s_cbranch_execz .LBB157_49
.LBB157_78:
	v_bfe_u32 v6, v21, 16, 1
	s_movk_i32 s6, 0x7fff
	v_add3_u32 v6, v21, v6, s6
	v_lshrrev_b32_e32 v6, 16, v6
	v_mov_b32_e32 v7, 0x7fc0
	v_cmp_o_f32_e64 s[6:7], v21, v21
	s_nop 1
	v_cndmask_b32_e64 v16, v7, v6, s[6:7]
	v_add_u32_e32 v6, v5, v2
	v_mov_b32_e32 v7, 0
	s_waitcnt lgkmcnt(0)
	v_lshl_add_u64 v[6:7], v[6:7], 1, s[12:13]
	global_store_short v[6:7], v16, off
	s_or_b64 exec, exec, s[14:15]
	s_and_saveexec_b64 s[14:15], s[2:3]
	s_cbranch_execz .LBB157_50
.LBB157_79:
	v_bfe_u32 v6, v19, 16, 1
	s_movk_i32 s6, 0x7fff
	v_add3_u32 v6, v19, v6, s6
	v_lshrrev_b32_e32 v6, 16, v6
	v_mov_b32_e32 v7, 0x7fc0
	v_cmp_o_f32_e64 s[6:7], v19, v19
	s_nop 1
	v_cndmask_b32_e64 v16, v7, v6, s[6:7]
	v_add_u32_e32 v6, v5, v3
	v_mov_b32_e32 v7, 0
	s_waitcnt lgkmcnt(0)
	v_lshl_add_u64 v[6:7], v[6:7], 1, s[12:13]
	global_store_short v[6:7], v16, off
	s_or_b64 exec, exec, s[14:15]
	s_and_saveexec_b64 s[14:15], s[4:5]
	s_cbranch_execnz .LBB157_51
	s_branch .LBB157_52
.LBB157_80:
	v_bfe_u32 v6, v14, 16, 1
	s_movk_i32 s6, 0x7fff
	v_add3_u32 v6, v14, v6, s6
	v_lshrrev_b32_e32 v6, 16, v6
	v_mov_b32_e32 v7, 0x7fc0
	v_cmp_o_f32_e64 s[6:7], v14, v14
	s_nop 1
	v_cndmask_b32_e64 v14, v7, v6, s[6:7]
	v_add_u32_e32 v6, v5, v0
	v_mov_b32_e32 v7, 0
	s_waitcnt lgkmcnt(0)
	v_lshl_add_u64 v[6:7], v[6:7], 1, s[12:13]
	global_store_short v[6:7], v14, off
	s_or_b64 exec, exec, s[14:15]
	s_and_saveexec_b64 s[14:15], s[0:1]
	s_cbranch_execz .LBB157_55
.LBB157_81:
	v_bfe_u32 v6, v12, 16, 1
	s_movk_i32 s6, 0x7fff
	v_add3_u32 v6, v12, v6, s6
	v_lshrrev_b32_e32 v6, 16, v6
	v_mov_b32_e32 v7, 0x7fc0
	v_cmp_o_f32_e64 s[6:7], v12, v12
	s_nop 1
	v_cndmask_b32_e64 v12, v7, v6, s[6:7]
	v_add_u32_e32 v6, v5, v2
	v_mov_b32_e32 v7, 0
	s_waitcnt lgkmcnt(0)
	v_lshl_add_u64 v[6:7], v[6:7], 1, s[12:13]
	global_store_short v[6:7], v12, off
	s_or_b64 exec, exec, s[14:15]
	s_and_saveexec_b64 s[14:15], s[2:3]
	s_cbranch_execz .LBB157_56
.LBB157_82:
	v_bfe_u32 v6, v10, 16, 1
	s_movk_i32 s6, 0x7fff
	v_add3_u32 v6, v10, v6, s6
	v_lshrrev_b32_e32 v6, 16, v6
	v_mov_b32_e32 v7, 0x7fc0
	v_cmp_o_f32_e64 s[6:7], v10, v10
	s_nop 1
	v_cndmask_b32_e64 v10, v7, v6, s[6:7]
	v_add_u32_e32 v6, v5, v3
	v_mov_b32_e32 v7, 0
	s_waitcnt lgkmcnt(0)
	v_lshl_add_u64 v[6:7], v[6:7], 1, s[12:13]
	global_store_short v[6:7], v10, off
	s_or_b64 exec, exec, s[14:15]
	s_and_saveexec_b64 s[14:15], s[4:5]
	s_cbranch_execnz .LBB157_57
	s_branch .LBB157_58
.LBB157_83:
	v_bfe_u32 v5, v15, 16, 1
	s_movk_i32 s8, 0x7fff
	v_add3_u32 v5, v15, v5, s8
	v_lshrrev_b32_e32 v5, 16, v5
	v_mov_b32_e32 v6, 0x7fc0
	v_cmp_o_f32_e32 vcc, v15, v15
	v_mov_b32_e32 v7, 0
	s_nop 0
	v_cndmask_b32_e32 v5, v6, v5, vcc
	v_add_u32_e32 v6, v1, v0
	s_waitcnt lgkmcnt(0)
	v_lshl_add_u64 v[6:7], v[6:7], 1, s[12:13]
	global_store_short v[6:7], v5, off
	s_or_b64 exec, exec, s[6:7]
	s_and_saveexec_b64 s[6:7], s[0:1]
	s_cbranch_execz .LBB157_61
.LBB157_84:
	v_bfe_u32 v0, v13, 16, 1
	s_movk_i32 s0, 0x7fff
	v_add3_u32 v0, v13, v0, s0
	v_lshrrev_b32_e32 v0, 16, v0
	v_mov_b32_e32 v5, 0x7fc0
	v_cmp_o_f32_e32 vcc, v13, v13
	v_add_u32_e32 v6, v1, v2
	v_mov_b32_e32 v7, 0
	v_cndmask_b32_e32 v0, v5, v0, vcc
	s_waitcnt lgkmcnt(0)
	v_lshl_add_u64 v[6:7], v[6:7], 1, s[12:13]
	global_store_short v[6:7], v0, off
	s_or_b64 exec, exec, s[6:7]
	s_and_saveexec_b64 s[0:1], s[2:3]
	s_cbranch_execz .LBB157_62
.LBB157_85:
	v_bfe_u32 v0, v11, 16, 1
	s_movk_i32 s2, 0x7fff
	v_add3_u32 v0, v11, v0, s2
	v_lshrrev_b32_e32 v0, 16, v0
	v_mov_b32_e32 v2, 0x7fc0
	v_cmp_o_f32_e32 vcc, v11, v11
	s_nop 1
	v_cndmask_b32_e32 v0, v2, v0, vcc
	v_add_u32_e32 v2, v1, v3
	v_mov_b32_e32 v3, 0
	s_waitcnt lgkmcnt(0)
	v_lshl_add_u64 v[2:3], v[2:3], 1, s[12:13]
	global_store_short v[2:3], v0, off
	s_or_b64 exec, exec, s[0:1]
	s_and_b64 exec, exec, s[4:5]
	s_cbranch_execnz .LBB157_63
	s_branch .LBB157_64
	.section	.rodata,"a",@progbits
	.p2align	6, 0x0
	.amdhsa_kernel _ZL12mul_mat_q4_0IN3c108BFloat16ELb0EEvPKvS3_PT_iiiii
		.amdhsa_group_segment_fixed_size 30336
		.amdhsa_private_segment_fixed_size 0
		.amdhsa_kernarg_size 44
		.amdhsa_user_sgpr_count 2
		.amdhsa_user_sgpr_dispatch_ptr 0
		.amdhsa_user_sgpr_queue_ptr 0
		.amdhsa_user_sgpr_kernarg_segment_ptr 1
		.amdhsa_user_sgpr_dispatch_id 0
		.amdhsa_user_sgpr_kernarg_preload_length 0
		.amdhsa_user_sgpr_kernarg_preload_offset 0
		.amdhsa_user_sgpr_private_segment_size 0
		.amdhsa_uses_dynamic_stack 0
		.amdhsa_enable_private_segment 0
		.amdhsa_system_sgpr_workgroup_id_x 1
		.amdhsa_system_sgpr_workgroup_id_y 1
		.amdhsa_system_sgpr_workgroup_id_z 0
		.amdhsa_system_sgpr_workgroup_info 0
		.amdhsa_system_vgpr_workitem_id 1
		.amdhsa_next_free_vgpr 176
		.amdhsa_next_free_sgpr 20
		.amdhsa_accum_offset 176
		.amdhsa_reserve_vcc 1
		.amdhsa_float_round_mode_32 0
		.amdhsa_float_round_mode_16_64 0
		.amdhsa_float_denorm_mode_32 3
		.amdhsa_float_denorm_mode_16_64 3
		.amdhsa_dx10_clamp 1
		.amdhsa_ieee_mode 1
		.amdhsa_fp16_overflow 0
		.amdhsa_tg_split 0
		.amdhsa_exception_fp_ieee_invalid_op 0
		.amdhsa_exception_fp_denorm_src 0
		.amdhsa_exception_fp_ieee_div_zero 0
		.amdhsa_exception_fp_ieee_overflow 0
		.amdhsa_exception_fp_ieee_underflow 0
		.amdhsa_exception_fp_ieee_inexact 0
		.amdhsa_exception_int_div_zero 0
	.end_amdhsa_kernel
	.section	.text._ZL12mul_mat_q4_0IN3c108BFloat16ELb0EEvPKvS3_PT_iiiii,"axG",@progbits,_ZL12mul_mat_q4_0IN3c108BFloat16ELb0EEvPKvS3_PT_iiiii,comdat
.Lfunc_end157:
	.size	_ZL12mul_mat_q4_0IN3c108BFloat16ELb0EEvPKvS3_PT_iiiii, .Lfunc_end157-_ZL12mul_mat_q4_0IN3c108BFloat16ELb0EEvPKvS3_PT_iiiii
                                        ; -- End function
	.section	.AMDGPU.csdata,"",@progbits
; Kernel info:
; codeLenInByte = 10960
; NumSgprs: 26
; NumVgprs: 176
; NumAgprs: 0
; TotalNumVgprs: 176
; ScratchSize: 0
; MemoryBound: 0
; FloatMode: 240
; IeeeMode: 1
; LDSByteSize: 30336 bytes/workgroup (compile time only)
; SGPRBlocks: 3
; VGPRBlocks: 21
; NumSGPRsForWavesPerEU: 26
; NumVGPRsForWavesPerEU: 176
; AccumOffset: 176
; Occupancy: 2
; WaveLimiterHint : 0
; COMPUTE_PGM_RSRC2:SCRATCH_EN: 0
; COMPUTE_PGM_RSRC2:USER_SGPR: 2
; COMPUTE_PGM_RSRC2:TRAP_HANDLER: 0
; COMPUTE_PGM_RSRC2:TGID_X_EN: 1
; COMPUTE_PGM_RSRC2:TGID_Y_EN: 1
; COMPUTE_PGM_RSRC2:TGID_Z_EN: 0
; COMPUTE_PGM_RSRC2:TIDIG_COMP_CNT: 1
; COMPUTE_PGM_RSRC3_GFX90A:ACCUM_OFFSET: 43
; COMPUTE_PGM_RSRC3_GFX90A:TG_SPLIT: 0
	.section	.text._ZL12mul_mat_q4_0IN3c108BFloat16ELb1EEvPKvS3_PT_iiiii,"axG",@progbits,_ZL12mul_mat_q4_0IN3c108BFloat16ELb1EEvPKvS3_PT_iiiii,comdat
	.globl	_ZL12mul_mat_q4_0IN3c108BFloat16ELb1EEvPKvS3_PT_iiiii ; -- Begin function _ZL12mul_mat_q4_0IN3c108BFloat16ELb1EEvPKvS3_PT_iiiii
	.p2align	8
	.type	_ZL12mul_mat_q4_0IN3c108BFloat16ELb1EEvPKvS3_PT_iiiii,@function
_ZL12mul_mat_q4_0IN3c108BFloat16ELb1EEvPKvS3_PT_iiiii: ; @_ZL12mul_mat_q4_0IN3c108BFloat16ELb1EEvPKvS3_PT_iiiii
; %bb.0:
	s_load_dwordx4 s[8:11], s[0:1], 0x18
	s_load_dword s14, s[0:1], 0x28
	s_lshl_b32 s15, s3, 6
	v_bfe_u32 v39, v0, 10, 10
	s_waitcnt lgkmcnt(0)
	s_cmp_gt_i32 s8, 31
	s_cbranch_scc1 .LBB158_2
; %bb.1:
	v_bfe_u32 v1, v0, 10, 10
	s_mov_b32 s4, 0
	v_and_b32_e32 v33, 0x3ff, v0
	v_add_u32_e32 v41, s15, v1
	s_mov_b32 s5, s4
	s_mov_b64 s[6:7], 0
	s_branch .LBB158_3
.LBB158_2:
	s_mov_b64 s[6:7], -1
                                        ; implicit-def: $sgpr4_sgpr5
                                        ; implicit-def: $vgpr1
                                        ; implicit-def: $vgpr33
                                        ; implicit-def: $vgpr41
.LBB158_3:
	s_load_dwordx2 s[12:13], s[0:1], 0x10
	s_lshl_b32 s16, s2, 7
	s_andn2_b64 vcc, exec, s[6:7]
	v_mov_b64_e32 v[8:9], s[4:5]
	v_mov_b64_e32 v[16:17], s[4:5]
	;; [unrolled: 1-line block ×16, first 2 shown]
	s_cbranch_vccnz .LBB158_13
; %bb.4:
	s_ashr_i32 s4, s8, 31
	s_lshr_b32 s4, s4, 27
	s_load_dwordx4 s[0:3], s[0:1], 0x0
	s_add_i32 s4, s8, s4
	s_ashr_i32 s5, s4, 5
	s_ashr_i32 s4, s11, 31
	s_lshr_b32 s4, s4, 27
	s_add_i32 s4, s11, s4
	s_mul_i32 s6, s5, s16
	s_ashr_i32 s4, s4, 5
	s_mul_hi_i32 s7, s6, 18
	s_mul_i32 s6, s6, 18
	s_waitcnt lgkmcnt(0)
	s_add_u32 s6, s0, s6
	s_addc_u32 s7, s1, s7
	s_not_b32 s0, s16
	s_add_i32 s11, s0, s9
	v_and_b32_e32 v33, 0x3ff, v0
	v_lshlrev_b32_e32 v0, 2, v33
	v_min_i32_e32 v1, s11, v39
	s_movk_i32 s1, 0x84
	v_add_u32_e32 v4, 8, v39
	v_mul_lo_u32 v38, v1, s5
	v_mad_u64_u32 v[40:41], s[8:9], v1, s1, v[0:1]
	v_min_i32_e32 v1, s11, v4
	v_add_u32_e32 v5, 16, v39
	v_mul_lo_u32 v42, v1, s5
	v_mad_u64_u32 v[44:45], s[8:9], v1, s1, v[0:1]
	v_min_i32_e32 v1, s11, v5
	;; [unrolled: 4-line block ×7, first 2 shown]
	v_mul_lo_u32 v68, v1, s5
	v_mad_u64_u32 v[70:71], s[8:9], v1, s1, v[0:1]
	v_add_u32_e32 v1, 64, v39
	v_min_i32_e32 v1, s11, v1
	v_mul_lo_u32 v74, v1, s5
	v_mad_u64_u32 v[76:77], s[8:9], v1, s1, v[0:1]
	v_add_u32_e32 v1, 0x48, v39
	v_min_i32_e32 v1, s11, v1
	;; [unrolled: 4-line block ×8, first 2 shown]
	v_lshrrev_b32_e32 v43, 3, v33
	v_mul_lo_u32 v104, v1, s5
	v_mad_u64_u32 v[106:107], s[8:9], v1, s1, v[0:1]
	v_lshl_add_u32 v1, v39, 2, v43
	v_min_i32_e32 v2, s11, v1
	v_ashrrev_i32_e32 v3, 31, v2
	v_lshrrev_b32_e32 v3, 30, v3
	v_and_b32_e32 v108, 7, v33
	v_mul_lo_u32 v110, v2, s5
	v_add_u32_e32 v3, v2, v3
	v_lshlrev_b32_e32 v13, 5, v2
	v_add_u32_e32 v2, 32, v1
	v_and_b32_e32 v3, -4, v3
	v_lshlrev_b32_e32 v11, 2, v108
	s_movk_i32 s8, 0x6200
	v_min_i32_e32 v2, s11, v2
	v_add3_u32 v12, v3, v11, s8
	v_ashrrev_i32_e32 v3, 31, v2
	v_lshrrev_b32_e32 v3, 30, v3
	v_mul_lo_u32 v112, v2, s5
	v_add_u32_e32 v3, v2, v3
	v_lshlrev_b32_e32 v15, 5, v2
	v_add_u32_e32 v2, 64, v1
	v_and_b32_e32 v3, -4, v3
	v_min_i32_e32 v2, s11, v2
	v_add3_u32 v14, v3, v11, s8
	v_ashrrev_i32_e32 v3, 31, v2
	v_add_u32_e32 v1, 0x60, v1
	v_lshrrev_b32_e32 v3, 30, v3
	v_min_i32_e32 v1, s11, v1
	v_mul_lo_u32 v114, v2, s5
	v_add_u32_e32 v3, v2, v3
	v_lshlrev_b32_e32 v17, 5, v2
	v_ashrrev_i32_e32 v2, 31, v1
	v_mov_b32_e32 v35, 0
	v_lshrrev_b32_e32 v2, 30, v2
	v_lshrrev_b32_e32 v32, 2, v33
	v_and_b32_e32 v34, 12, v0
	v_mul_lo_u32 v116, v1, s5
	v_add_u32_e32 v2, v1, v2
	v_lshlrev_b32_e32 v18, 5, v1
	v_and_b32_e32 v0, 28, v0
	v_mov_b32_e32 v1, v35
	v_lshl_add_u64 v[118:119], s[2:3], 0, v[0:1]
	v_lshl_add_u32 v0, v39, 3, v32
	v_and_b32_e32 v3, -4, v3
	v_and_b32_e32 v2, -4, v2
	v_and_b32_e32 v1, 63, v0
	v_add3_u32 v16, v3, v11, s8
	v_add3_u32 v11, v2, v11, s8
	s_add_i32 s8, s10, -1
	v_or_b32_e32 v20, s15, v1
	v_and_b32_e32 v0, 3, v33
	v_min_i32_e32 v20, s8, v20
	v_cvt_f64_i32_e32 v[2:3], s8
	v_mad_u64_u32 v[120:121], s[8:9], v20, s4, v[0:1]
	v_lshlrev_b32_e32 v0, 2, v0
	v_add_u32_e32 v41, s15, v39
	v_lshl_or_b32 v0, v1, 4, v0
	v_add_u32_e32 v45, 0x7280, v0
	v_cvt_f64_u32_e32 v[0:1], v41
	v_and_b32_e32 v19, 31, v33
	v_min_f64 v[0:1], v[0:1], v[2:3]
	v_cvt_i32_f64_e32 v0, v[0:1]
	v_lshlrev_b32_e32 v19, 2, v19
	v_lshlrev_b32_e32 v20, 7, v39
	v_mul_lo_u32 v47, s4, v0
	v_or_b32_e32 v0, v20, v19
	v_add_u32_e32 v49, 0x4200, v0
	v_add_u32_e32 v0, 8, v41
	v_cvt_f64_u32_e32 v[0:1], v0
	v_min_f64 v[0:1], v[0:1], v[2:3]
	v_cvt_i32_f64_e32 v0, v[0:1]
	v_mul_lo_u32 v51, s4, v0
	v_lshl_or_b32 v0, v4, 7, v19
	v_add_u32_e32 v55, 0x4200, v0
	v_add_u32_e32 v0, 16, v41
	v_cvt_f64_u32_e32 v[0:1], v0
	v_min_f64 v[0:1], v[0:1], v[2:3]
	v_cvt_i32_f64_e32 v0, v[0:1]
	v_mul_lo_u32 v57, s4, v0
	v_lshl_or_b32 v0, v5, 7, v19
	v_add_u32_e32 v59, 0x4200, v0
	v_add_u32_e32 v0, 24, v41
	v_cvt_f64_u32_e32 v[0:1], v0
	v_min_f64 v[0:1], v[0:1], v[2:3]
	v_cvt_i32_f64_e32 v0, v[0:1]
	v_mul_lo_u32 v61, s4, v0
	v_lshl_or_b32 v0, v6, 7, v19
	v_add_u32_e32 v63, 0x4200, v0
	v_add_u32_e32 v0, 32, v41
	v_cvt_f64_u32_e32 v[0:1], v0
	v_min_f64 v[0:1], v[0:1], v[2:3]
	v_cvt_i32_f64_e32 v0, v[0:1]
	v_mul_lo_u32 v65, s4, v0
	v_lshl_or_b32 v0, v7, 7, v19
	v_add_u32_e32 v67, 0x4200, v0
	v_add_u32_e32 v0, 40, v41
	v_cvt_f64_u32_e32 v[0:1], v0
	v_min_f64 v[0:1], v[0:1], v[2:3]
	v_cvt_i32_f64_e32 v0, v[0:1]
	v_mul_lo_u32 v69, s4, v0
	v_lshl_or_b32 v0, v8, 7, v19
	v_add_u32_e32 v71, 0x4200, v0
	v_add_u32_e32 v0, 48, v41
	v_cvt_f64_u32_e32 v[0:1], v0
	v_min_f64 v[0:1], v[0:1], v[2:3]
	v_cvt_i32_f64_e32 v0, v[0:1]
	v_mul_lo_u32 v75, s4, v0
	v_lshl_or_b32 v0, v9, 7, v19
	v_add_u32_e32 v77, 0x4200, v0
	v_add_u32_e32 v0, 56, v41
	v_cvt_f64_u32_e32 v[0:1], v0
	v_min_f64 v[0:1], v[0:1], v[2:3]
	v_cvt_i32_f64_e32 v0, v[0:1]
	v_mul_lo_u32 v79, s4, v0
	v_lshl_or_b32 v0, v10, 7, v19
	v_add_u32_e32 v81, 0x4200, v0
	v_add_u32_e32 v0, 32, v33
	v_add_u32_e32 v1, 64, v33
	v_add_u32_e32 v2, 0x60, v33
	s_mov_b32 s0, 0
	v_lshlrev_b32_e32 v3, 5, v33
	v_lshrrev_b32_e32 v85, 3, v0
	v_and_b32_e32 v2, 0x1fc, v2
	v_and_b32_e32 v1, 0x1fc, v1
	;; [unrolled: 1-line block ×4, first 2 shown]
	v_add_u32_e32 v2, v3, v2
	v_add_u32_e32 v1, v3, v1
	;; [unrolled: 1-line block ×4, first 2 shown]
	v_mov_b32_e32 v4, 0x7280
	v_mad_u32_u24 v109, v33, s1, 64
	s_mov_b32 s1, s0
	v_mul_u32_u24_e32 v83, 0x84, v33
	v_add_u32_e32 v89, 0x6e00, v2
	v_add_u32_e32 v91, 0x6a00, v1
	;; [unrolled: 1-line block ×5, first 2 shown]
	v_lshl_add_u32 v99, v39, 4, v4
	v_add_u32_e32 v101, 0x6e10, v2
	v_add_u32_e32 v103, 0x6a10, v1
	;; [unrolled: 1-line block ×4, first 2 shown]
	v_mov_b64_e32 v[86:87], s[0:1]
	v_add_u32_e32 v111, v12, v13
	v_add_u32_e32 v113, v14, v15
	;; [unrolled: 1-line block ×4, first 2 shown]
	s_mov_b32 s4, 0x41000000
	v_mov_b64_e32 v[30:31], s[0:1]
	v_mov_b64_e32 v[22:23], s[0:1]
	;; [unrolled: 1-line block ×15, first 2 shown]
	s_branch .LBB158_6
.LBB158_5:                              ;   in Loop: Header=BB158_6 Depth=1
	s_add_i32 s0, s0, 8
	s_cmp_ge_i32 s0, s5
	s_cbranch_scc1 .LBB158_12
.LBB158_6:                              ; =>This Loop Header: Depth=1
                                        ;     Child Loop BB158_7 Depth 2
                                        ;     Child Loop BB158_10 Depth 2
	s_mul_i32 s8, s0, 18
	s_mul_hi_u32 s1, s0, 18
	s_add_u32 s8, s6, s8
	s_addc_u32 s9, s7, s1
	v_mad_u64_u32 v[0:1], s[18:19], v32, 18, s[8:9]
	v_lshl_add_u64 v[0:1], v[0:1], 0, v[34:35]
	v_lshl_add_u64 v[0:1], v[0:1], 0, 2
	v_mad_i64_i32 v[2:3], s[18:19], v38, 18, v[0:1]
	v_mad_i64_i32 v[4:5], s[18:19], v42, 18, v[0:1]
	v_mad_i64_i32 v[6:7], s[18:19], v46, 18, v[0:1]
	v_mad_i64_i32 v[122:123], s[18:19], v50, 18, v[0:1]
	v_mad_i64_i32 v[124:125], s[18:19], v56, 18, v[0:1]
	v_mad_i64_i32 v[126:127], s[18:19], v60, 18, v[0:1]
	v_mad_i64_i32 v[128:129], s[18:19], v64, 18, v[0:1]
	v_mad_i64_i32 v[130:131], s[18:19], v68, 18, v[0:1]
	global_load_dword v132, v[2:3], off
	global_load_dword v133, v[4:5], off
	;; [unrolled: 1-line block ×7, first 2 shown]
                                        ; kill: killed $vgpr128_vgpr129
                                        ; kill: killed $vgpr126_vgpr127
	s_nop 0
	global_load_dword v130, v[130:131], off
	v_mad_i64_i32 v[2:3], s[18:19], v74, 18, v[0:1]
	v_mad_i64_i32 v[4:5], s[18:19], v78, 18, v[0:1]
	;; [unrolled: 1-line block ×8, first 2 shown]
	global_load_dword v131, v[2:3], off
	global_load_dword v139, v[4:5], off
	;; [unrolled: 1-line block ×8, first 2 shown]
	v_mad_u64_u32 v[0:1], s[8:9], v108, 18, s[8:9]
	v_mad_i64_i32 v[2:3], s[8:9], v110, 18, v[0:1]
	v_mad_i64_i32 v[4:5], s[8:9], v112, 18, v[0:1]
	;; [unrolled: 1-line block ×4, first 2 shown]
	v_add_u32_e32 v128, s0, v43
	global_load_ushort v146, v[2:3], off
	global_load_ushort v147, v[4:5], off
	;; [unrolled: 1-line block ×4, first 2 shown]
	v_add_u32_e32 v0, v128, v47
	v_add_u32_e32 v2, v128, v51
	;; [unrolled: 1-line block ×5, first 2 shown]
	v_mad_i64_i32 v[0:1], s[8:9], v0, 36, v[118:119]
	v_mad_i64_i32 v[2:3], s[8:9], v2, 36, v[118:119]
	;; [unrolled: 1-line block ×5, first 2 shown]
	v_add_u32_e32 v124, v128, v69
	v_add_u32_e32 v126, v128, v75
	;; [unrolled: 1-line block ×3, first 2 shown]
	v_mad_i64_i32 v[124:125], s[8:9], v124, 36, v[118:119]
	v_mad_i64_i32 v[126:127], s[8:9], v126, 36, v[118:119]
	;; [unrolled: 1-line block ×3, first 2 shown]
	global_load_dword v150, v[0:1], off offset:4
	s_nop 0
	global_load_dword v2, v[2:3], off offset:4
	s_nop 0
	;; [unrolled: 2-line block ×3, first 2 shown]
	global_load_dword v4, v[6:7], off offset:4
	global_load_dword v5, v[122:123], off offset:4
	s_nop 0
	global_load_dword v6, v[124:125], off offset:4
	global_load_dword v7, v[126:127], off offset:4
	global_load_dword v122, v[128:129], off offset:4
	v_add_u32_e32 v121, s0, v120
	v_mad_u64_u32 v[0:1], s[8:9], v121, 36, s[2:3]
	global_load_dword v0, v[0:1], off
	s_mov_b32 s1, -4
	v_mov_b32_e32 v127, v83
	v_mov_b32_e32 v129, v95
	s_waitcnt vmcnt(28)
	ds_write_b32 v40, v132
	s_waitcnt vmcnt(27)
	ds_write_b32 v44, v133
	;; [unrolled: 2-line block ×16, first 2 shown]
	v_mov_b32_e32 v132, v93
	v_mov_b32_e32 v133, v91
	;; [unrolled: 1-line block ×3, first 2 shown]
	s_waitcnt vmcnt(12)
	v_cvt_f32_f16_e32 v1, v146
	s_waitcnt vmcnt(11)
	v_cvt_f32_f16_e32 v123, v147
	s_waitcnt vmcnt(10)
	v_cvt_f32_f16_e32 v124, v148
	s_waitcnt vmcnt(9)
	v_cvt_f32_f16_e32 v125, v149
	ds_write_b32 v111, v1
	ds_write_b32 v113, v123
	;; [unrolled: 1-line block ×4, first 2 shown]
	s_waitcnt vmcnt(8)
	ds_write_b32 v49, v150
	s_waitcnt vmcnt(7)
	ds_write_b32 v55, v2
	;; [unrolled: 2-line block ×9, first 2 shown]
	v_mov_b32_e32 v123, v99
	v_mov_b32_e32 v125, v97
	s_waitcnt lgkmcnt(0)
	s_barrier
.LBB158_7:                              ;   Parent Loop BB158_6 Depth=1
                                        ; =>  This Inner Loop Header: Depth=2
	ds_read_b128 v[0:3], v125
	ds_read_b128 v[4:7], v125 offset:16
	ds_read2_b32 v[130:131], v123 offset1:32
	ds_read_b32 v122, v129
	ds_read2_b32 v[136:137], v127 offset1:1
	ds_read2_b32 v[144:145], v127 offset0:2 offset1:3
	v_add_u32_e32 v126, 0x1080, v127
	v_add_u32_e32 v128, 0x2100, v127
	v_mov_b32_e32 v172, 0
	s_waitcnt lgkmcnt(1)
	v_lshrrev_b32_e32 v124, 4, v136
	v_and_b32_e32 v135, 0xf0f0f0f, v136
	v_and_b32_e32 v136, 0xf0f0f0f, v124
	v_lshrrev_b32_e32 v124, 4, v137
	v_and_b32_e32 v140, 0xf0f0f0f, v124
	s_waitcnt lgkmcnt(0)
	v_lshrrev_b32_e32 v124, 4, v144
	v_and_b32_e32 v142, 0xf0f0f0f, v124
	v_lshrrev_b32_e32 v124, 4, v145
	v_and_b32_e32 v143, 0xf0f0f0f, v145
	v_and_b32_e32 v145, 0xf0f0f0f, v124
	ds_read_b32 v124, v132
	ds_read2_b32 v[146:147], v126 offset1:1
	v_and_b32_e32 v138, 0xf0f0f0f, v137
	v_and_b32_e32 v141, 0xf0f0f0f, v144
	v_mov_b32_e32 v174, 0
	v_mov_b32_e32 v175, 0
	s_waitcnt lgkmcnt(0)
	v_lshrrev_b32_e32 v126, 4, v146
	v_and_b32_e32 v139, 0xf0f0f0f, v126
	v_lshrrev_b32_e32 v126, 4, v147
	v_and_b32_e32 v137, 0xf0f0f0f, v146
	v_and_b32_e32 v146, 0xf0f0f0f, v126
	v_add_u32_e32 v126, 0x1088, v127
	ds_read2_b32 v[152:153], v126 offset1:1
	v_and_b32_e32 v144, 0xf0f0f0f, v147
	v_dot4c_i32_i8_e32 v172, v135, v0
	v_dot4c_i32_i8_e32 v174, v137, v0
	;; [unrolled: 1-line block ×3, first 2 shown]
	s_waitcnt lgkmcnt(0)
	v_lshrrev_b32_e32 v126, 4, v152
	v_and_b32_e32 v150, 0xf0f0f0f, v126
	v_lshrrev_b32_e32 v126, 4, v153
	v_and_b32_e32 v149, 0xf0f0f0f, v152
	v_and_b32_e32 v152, 0xf0f0f0f, v126
	ds_read_b32 v126, v133
	ds_read2_b32 v[154:155], v128 offset1:1
	v_and_b32_e32 v151, 0xf0f0f0f, v153
	v_dot4c_i32_i8_e32 v174, v139, v4
	v_dot4c_i32_i8_e32 v172, v138, v1
	v_dot4c_i32_i8_e32 v174, v144, v1
	s_waitcnt lgkmcnt(0)
	v_lshrrev_b32_e32 v128, 4, v154
	v_and_b32_e32 v148, 0xf0f0f0f, v128
	v_lshrrev_b32_e32 v128, 4, v155
	v_and_b32_e32 v147, 0xf0f0f0f, v154
	v_and_b32_e32 v154, 0xf0f0f0f, v128
	v_add_u32_e32 v128, 0x2108, v127
	ds_read2_b32 v[160:161], v128 offset1:1
	v_and_b32_e32 v153, 0xf0f0f0f, v155
	v_add_u32_e32 v155, 0x3180, v127
	v_dot4c_i32_i8_e32 v175, v147, v0
	v_dot4c_i32_i8_e32 v175, v148, v4
	s_waitcnt lgkmcnt(0)
	v_lshrrev_b32_e32 v128, 4, v160
	v_and_b32_e32 v158, 0xf0f0f0f, v128
	v_lshrrev_b32_e32 v128, 4, v161
	v_and_b32_e32 v157, 0xf0f0f0f, v160
	v_and_b32_e32 v160, 0xf0f0f0f, v128
	ds_read_b32 v128, v134
	ds_read2_b32 v[162:163], v155 offset1:1
	v_and_b32_e32 v159, 0xf0f0f0f, v161
	v_mov_b32_e32 v161, 0
	v_dot4c_i32_i8_e32 v175, v153, v1
	v_dot4c_i32_i8_e32 v172, v140, v5
	s_waitcnt lgkmcnt(0)
	v_and_b32_e32 v155, 0xf0f0f0f, v162
	v_lshrrev_b32_e32 v156, 4, v162
	v_and_b32_e32 v156, 0xf0f0f0f, v156
	v_dot4c_i32_i8_e32 v161, v155, v0
	v_dot4c_i32_i8_e32 v161, v156, v4
	v_and_b32_e32 v0, 0xf0f0f0f, v163
	v_dot4c_i32_i8_e32 v161, v0, v1
	v_add_u32_e32 v1, 0x3188, v127
	v_lshrrev_b32_e32 v4, 4, v163
	ds_read2_b32 v[162:163], v1 offset1:1
	v_and_b32_e32 v4, 0xf0f0f0f, v4
	v_dot4c_i32_i8_e32 v174, v146, v5
	v_dot4c_i32_i8_e32 v175, v154, v5
	;; [unrolled: 1-line block ×3, first 2 shown]
	s_waitcnt lgkmcnt(0)
	v_and_b32_e32 v1, 0xf0f0f0f, v162
	v_lshrrev_b32_e32 v5, 4, v162
	v_dot4c_i32_i8_e32 v172, v141, v2
	v_dot4c_i32_i8_e32 v174, v149, v2
	;; [unrolled: 1-line block ×3, first 2 shown]
	v_and_b32_e32 v5, 0xf0f0f0f, v5
	v_dot4c_i32_i8_e32 v161, v1, v2
	v_dot4c_i32_i8_e32 v172, v142, v6
	;; [unrolled: 1-line block ×5, first 2 shown]
	v_and_b32_e32 v2, 0xf0f0f0f, v163
	v_lshrrev_b32_e32 v6, 4, v163
	ds_read_b128 v[162:165], v125 offset:1024
	ds_read_b128 v[166:169], v125 offset:1040
	v_dot4c_i32_i8_e32 v172, v143, v3
	v_dot4c_i32_i8_e32 v174, v151, v3
	;; [unrolled: 1-line block ×4, first 2 shown]
	v_mov_b32_e32 v3, 0
	s_waitcnt lgkmcnt(1)
	v_dot4c_i32_i8_e32 v3, v135, v162
	s_waitcnt lgkmcnt(0)
	v_dot4c_i32_i8_e32 v3, v136, v166
	v_dot4c_i32_i8_e32 v3, v138, v163
	;; [unrolled: 1-line block ×8, first 2 shown]
	v_cvt_f32_f16_e32 v171, v131
	v_cvt_f32_f16_e32 v170, v130
	v_cvt_f32_i32_e32 v173, v3
	v_mov_b32_e32 v3, 0
	v_dot4c_i32_i8_e32 v3, v137, v162
	v_dot4c_i32_i8_e32 v3, v139, v166
	v_cvt_f32_f16_sdwa v131, v131 dst_sel:DWORD dst_unused:UNUSED_PAD src0_sel:WORD_1
	v_cvt_f32_f16_sdwa v130, v130 dst_sel:DWORD dst_unused:UNUSED_PAD src0_sel:WORD_1
	v_dot4c_i32_i8_e32 v3, v144, v163
	v_cvt_f32_i32_e32 v172, v172
	v_dot4c_i32_i8_e32 v3, v146, v167
	v_dot4c_i32_i8_e32 v3, v149, v164
	;; [unrolled: 1-line block ×3, first 2 shown]
	v_pk_mul_f32 v[130:131], v[130:131], s[4:5] op_sel_hi:[1,0]
	v_dot4c_i32_i8_e32 v3, v151, v165
	v_pk_fma_f32 v[172:173], v[170:171], v[172:173], v[130:131] neg_lo:[0,0,1] neg_hi:[0,0,1]
	v_dot4c_i32_i8_e32 v3, v152, v169
	v_pk_fma_f32 v[86:87], v[122:123], v[172:173], v[86:87] op_sel_hi:[0,1,1]
	v_dot4c_i32_i8_e32 v174, v152, v7
	v_and_b32_e32 v6, 0xf0f0f0f, v6
	v_cvt_f32_i32_e32 v173, v3
	v_mov_b32_e32 v3, 0
	v_dot4c_i32_i8_e32 v3, v147, v162
	v_dot4c_i32_i8_e32 v3, v148, v166
	;; [unrolled: 1-line block ×3, first 2 shown]
	v_cvt_f32_i32_e32 v172, v174
	v_dot4c_i32_i8_e32 v3, v154, v167
	v_dot4c_i32_i8_e32 v3, v157, v164
	;; [unrolled: 1-line block ×4, first 2 shown]
	v_pk_fma_f32 v[172:173], v[170:171], v[172:173], v[130:131] neg_lo:[0,0,1] neg_hi:[0,0,1]
	v_dot4c_i32_i8_e32 v3, v160, v169
	v_pk_fma_f32 v[72:73], v[124:125], v[172:173], v[72:73] op_sel_hi:[0,1,1]
	v_dot4c_i32_i8_e32 v175, v160, v7
	v_dot4c_i32_i8_e32 v161, v6, v7
	v_cvt_f32_i32_e32 v173, v3
	v_mov_b32_e32 v3, 0
	v_dot4c_i32_i8_e32 v3, v155, v162
	v_dot4c_i32_i8_e32 v3, v156, v166
	;; [unrolled: 1-line block ×8, first 2 shown]
	v_cvt_f32_i32_e32 v172, v175
	v_cvt_f32_i32_e32 v162, v161
	v_mov_b32_e32 v7, 0
	v_cvt_f32_i32_e32 v163, v3
	v_pk_fma_f32 v[172:173], v[170:171], v[172:173], v[130:131] neg_lo:[0,0,1] neg_hi:[0,0,1]
	v_mov_b32_e32 v3, 0
	v_mov_b32_e32 v161, 0
	v_pk_fma_f32 v[130:131], v[170:171], v[162:163], v[130:131] neg_lo:[0,0,1] neg_hi:[0,0,1]
	v_mov_b32_e32 v174, 0
	v_pk_fma_f32 v[36:37], v[128:129], v[130:131], v[36:37] op_sel_hi:[0,1,1]
	ds_read_b128 v[162:165], v125 offset:2048
	ds_read_b128 v[166:169], v125 offset:2064
	ds_read2_b32 v[130:131], v123 offset0:64 offset1:96
	v_pk_fma_f32 v[52:53], v[126:127], v[172:173], v[52:53] op_sel_hi:[0,1,1]
	v_mov_b32_e32 v172, 0
	s_waitcnt lgkmcnt(2)
	v_dot4c_i32_i8_e32 v3, v135, v162
	v_dot4c_i32_i8_e32 v7, v137, v162
	;; [unrolled: 1-line block ×4, first 2 shown]
	s_waitcnt lgkmcnt(1)
	v_dot4c_i32_i8_e32 v3, v136, v166
	v_dot4c_i32_i8_e32 v7, v139, v166
	;; [unrolled: 1-line block ×28, first 2 shown]
	ds_read_b128 v[162:165], v125 offset:3072
	ds_read_b128 v[166:169], v125 offset:3088
	s_waitcnt lgkmcnt(2)
	v_cvt_f32_f16_e32 v171, v131
	v_cvt_f32_f16_e32 v170, v130
	v_cvt_f32_f16_sdwa v131, v131 dst_sel:DWORD dst_unused:UNUSED_PAD src0_sel:WORD_1
	s_waitcnt lgkmcnt(1)
	v_dot4c_i32_i8_e32 v172, v135, v162
	s_waitcnt lgkmcnt(0)
	v_dot4c_i32_i8_e32 v172, v136, v166
	v_dot4c_i32_i8_e32 v172, v138, v163
	;; [unrolled: 1-line block ×7, first 2 shown]
	v_cvt_f32_f16_sdwa v130, v130 dst_sel:DWORD dst_unused:UNUSED_PAD src0_sel:WORD_1
	s_add_i32 s1, s1, 4
	v_add_u32_e32 v134, 4, v134
	v_cvt_f32_i32_e32 v173, v172
	v_cvt_f32_i32_e32 v172, v3
	v_mov_b32_e32 v3, 0
	v_dot4c_i32_i8_e32 v3, v137, v162
	v_dot4c_i32_i8_e32 v3, v139, v166
	;; [unrolled: 1-line block ×6, first 2 shown]
	v_pk_mul_f32 v[130:131], v[130:131], s[4:5] op_sel_hi:[1,0]
	v_dot4c_i32_i8_e32 v3, v151, v165
	v_pk_fma_f32 v[172:173], v[172:173], v[170:171], v[130:131] neg_lo:[0,0,1] neg_hi:[0,0,1]
	v_dot4c_i32_i8_e32 v3, v152, v169
	v_pk_fma_f32 v[30:31], v[122:123], v[172:173], v[30:31] op_sel_hi:[0,1,1]
	v_cvt_f32_i32_e32 v172, v7
	v_mov_b32_e32 v7, 0
	v_cvt_f32_i32_e32 v173, v3
	v_mov_b32_e32 v3, 0
	v_dot4c_i32_i8_e32 v3, v147, v162
	v_dot4c_i32_i8_e32 v3, v148, v166
	v_dot4c_i32_i8_e32 v3, v153, v163
	v_dot4c_i32_i8_e32 v3, v154, v167
	v_dot4c_i32_i8_e32 v3, v157, v164
	v_dot4c_i32_i8_e32 v3, v158, v168
	v_dot4c_i32_i8_e32 v3, v159, v165
	v_pk_fma_f32 v[172:173], v[172:173], v[170:171], v[130:131] neg_lo:[0,0,1] neg_hi:[0,0,1]
	v_dot4c_i32_i8_e32 v3, v160, v169
	v_pk_fma_f32 v[28:29], v[124:125], v[172:173], v[28:29] op_sel_hi:[0,1,1]
	v_cvt_f32_i32_e32 v172, v161
	v_mov_b32_e32 v161, 0
	v_cvt_f32_i32_e32 v173, v3
	v_mov_b32_e32 v3, 0
	v_dot4c_i32_i8_e32 v3, v155, v162
	v_dot4c_i32_i8_e32 v3, v156, v166
	v_dot4c_i32_i8_e32 v3, v0, v163
	v_dot4c_i32_i8_e32 v3, v4, v167
	v_dot4c_i32_i8_e32 v3, v1, v164
	v_dot4c_i32_i8_e32 v3, v5, v168
	v_dot4c_i32_i8_e32 v3, v2, v165
	v_dot4c_i32_i8_e32 v3, v6, v169
	v_cvt_f32_i32_e32 v162, v174
	v_pk_fma_f32 v[172:173], v[172:173], v[170:171], v[130:131] neg_lo:[0,0,1] neg_hi:[0,0,1]
	v_mov_b32_e32 v174, 0
	v_cvt_f32_i32_e32 v163, v3
	v_mov_b32_e32 v3, 0
	v_pk_fma_f32 v[26:27], v[126:127], v[172:173], v[26:27] op_sel_hi:[0,1,1]
	v_mov_b32_e32 v172, 0
	v_pk_fma_f32 v[130:131], v[162:163], v[170:171], v[130:131] neg_lo:[0,0,1] neg_hi:[0,0,1]
	v_add_u32_e32 v133, 4, v133
	v_pk_fma_f32 v[24:25], v[128:129], v[130:131], v[24:25] op_sel_hi:[0,1,1]
	ds_read_b128 v[162:165], v125 offset:4096
	ds_read_b128 v[166:169], v125 offset:4112
	ds_read2_b32 v[130:131], v123 offset0:128 offset1:160
	v_add_u32_e32 v132, 4, v132
	s_cmp_lt_u32 s1, 12
	s_waitcnt lgkmcnt(2)
	v_dot4c_i32_i8_e32 v3, v135, v162
	v_dot4c_i32_i8_e32 v7, v137, v162
	;; [unrolled: 1-line block ×4, first 2 shown]
	s_waitcnt lgkmcnt(1)
	v_dot4c_i32_i8_e32 v3, v136, v166
	v_dot4c_i32_i8_e32 v7, v139, v166
	;; [unrolled: 1-line block ×28, first 2 shown]
	ds_read_b128 v[162:165], v125 offset:5120
	ds_read_b128 v[166:169], v125 offset:5136
	s_waitcnt lgkmcnt(2)
	v_cvt_f32_f16_e32 v171, v131
	v_cvt_f32_f16_e32 v170, v130
	v_cvt_f32_f16_sdwa v131, v131 dst_sel:DWORD dst_unused:UNUSED_PAD src0_sel:WORD_1
	s_waitcnt lgkmcnt(1)
	v_dot4c_i32_i8_e32 v172, v135, v162
	s_waitcnt lgkmcnt(0)
	v_dot4c_i32_i8_e32 v172, v136, v166
	v_dot4c_i32_i8_e32 v172, v138, v163
	;; [unrolled: 1-line block ×7, first 2 shown]
	v_cvt_f32_f16_sdwa v130, v130 dst_sel:DWORD dst_unused:UNUSED_PAD src0_sel:WORD_1
	v_pk_mul_f32 v[130:131], v[130:131], s[4:5] op_sel_hi:[1,0]
	s_nop 0
	v_cvt_f32_i32_e32 v173, v172
	v_cvt_f32_i32_e32 v172, v3
	v_mov_b32_e32 v3, 0
	v_dot4c_i32_i8_e32 v3, v137, v162
	v_dot4c_i32_i8_e32 v3, v139, v166
	;; [unrolled: 1-line block ×7, first 2 shown]
	v_pk_fma_f32 v[172:173], v[172:173], v[170:171], v[130:131] neg_lo:[0,0,1] neg_hi:[0,0,1]
	v_dot4c_i32_i8_e32 v3, v152, v169
	v_pk_fma_f32 v[22:23], v[122:123], v[172:173], v[22:23] op_sel_hi:[0,1,1]
	v_cvt_f32_i32_e32 v172, v7
	v_mov_b32_e32 v7, 0
	v_cvt_f32_i32_e32 v173, v3
	v_mov_b32_e32 v3, 0
	v_dot4c_i32_i8_e32 v3, v147, v162
	v_dot4c_i32_i8_e32 v3, v148, v166
	;; [unrolled: 1-line block ×7, first 2 shown]
	v_pk_fma_f32 v[172:173], v[172:173], v[170:171], v[130:131] neg_lo:[0,0,1] neg_hi:[0,0,1]
	v_dot4c_i32_i8_e32 v3, v160, v169
	v_pk_fma_f32 v[20:21], v[124:125], v[172:173], v[20:21] op_sel_hi:[0,1,1]
	v_cvt_f32_i32_e32 v172, v161
	v_mov_b32_e32 v161, 0
	v_cvt_f32_i32_e32 v173, v3
	v_mov_b32_e32 v3, 0
	v_dot4c_i32_i8_e32 v3, v155, v162
	v_dot4c_i32_i8_e32 v3, v156, v166
	;; [unrolled: 1-line block ×8, first 2 shown]
	v_cvt_f32_i32_e32 v162, v174
	v_pk_fma_f32 v[172:173], v[172:173], v[170:171], v[130:131] neg_lo:[0,0,1] neg_hi:[0,0,1]
	s_nop 0
	v_cvt_f32_i32_e32 v163, v3
	v_mov_b32_e32 v3, 0
	v_pk_fma_f32 v[18:19], v[126:127], v[172:173], v[18:19] op_sel_hi:[0,1,1]
	v_pk_fma_f32 v[130:131], v[162:163], v[170:171], v[130:131] neg_lo:[0,0,1] neg_hi:[0,0,1]
	s_nop 0
	v_pk_fma_f32 v[16:17], v[128:129], v[130:131], v[16:17] op_sel_hi:[0,1,1]
	ds_read_b128 v[162:165], v125 offset:6144
	ds_read_b128 v[166:169], v125 offset:6160
	ds_read2_b32 v[130:131], v123 offset0:192 offset1:224
	v_mov_b32_e32 v170, 0
	v_mov_b32_e32 v171, 0
	s_waitcnt lgkmcnt(2)
	v_dot4c_i32_i8_e32 v3, v135, v162
	v_dot4c_i32_i8_e32 v7, v137, v162
	;; [unrolled: 1-line block ×4, first 2 shown]
	s_waitcnt lgkmcnt(1)
	v_dot4c_i32_i8_e32 v3, v136, v166
	v_dot4c_i32_i8_e32 v7, v139, v166
	;; [unrolled: 1-line block ×28, first 2 shown]
	ds_read_b128 v[162:165], v125 offset:7168
	ds_read_b128 v[166:169], v125 offset:7184
	s_waitcnt lgkmcnt(1)
	v_dot4c_i32_i8_e32 v171, v135, v162
	s_waitcnt lgkmcnt(0)
	v_dot4c_i32_i8_e32 v171, v136, v166
	v_dot4c_i32_i8_e32 v171, v138, v163
	;; [unrolled: 1-line block ×5, first 2 shown]
	v_cvt_f32_i32_e32 v142, v3
	v_mov_b32_e32 v3, 0
	v_dot4c_i32_i8_e32 v3, v137, v162
	v_dot4c_i32_i8_e32 v3, v139, v166
	;; [unrolled: 1-line block ×8, first 2 shown]
	v_cvt_f32_f16_e32 v141, v131
	v_cvt_f32_f16_e32 v140, v130
	v_cvt_f32_f16_sdwa v131, v131 dst_sel:DWORD dst_unused:UNUSED_PAD src0_sel:WORD_1
	v_cvt_f32_i32_e32 v137, v3
	v_mov_b32_e32 v3, 0
	v_dot4c_i32_i8_e32 v3, v147, v162
	v_dot4c_i32_i8_e32 v3, v148, v166
	v_cvt_f32_f16_sdwa v130, v130 dst_sel:DWORD dst_unused:UNUSED_PAD src0_sel:WORD_1
	v_dot4c_i32_i8_e32 v3, v153, v163
	v_cvt_f32_i32_e32 v136, v7
	v_dot4c_i32_i8_e32 v3, v154, v167
	v_dot4c_i32_i8_e32 v3, v157, v164
	;; [unrolled: 1-line block ×3, first 2 shown]
	v_pk_mul_f32 v[130:131], v[130:131], s[4:5] op_sel_hi:[1,0]
	v_dot4c_i32_i8_e32 v3, v159, v165
	v_pk_fma_f32 v[136:137], v[136:137], v[140:141], v[130:131] neg_lo:[0,0,1] neg_hi:[0,0,1]
	v_dot4c_i32_i8_e32 v3, v160, v169
	v_pk_fma_f32 v[12:13], v[124:125], v[136:137], v[12:13] op_sel_hi:[0,1,1]
	v_dot4c_i32_i8_e32 v171, v143, v165
	v_dot4c_i32_i8_e32 v171, v145, v169
	v_cvt_f32_i32_e32 v137, v3
	v_mov_b32_e32 v3, 0
	v_dot4c_i32_i8_e32 v3, v155, v162
	v_dot4c_i32_i8_e32 v3, v156, v166
	;; [unrolled: 1-line block ×8, first 2 shown]
	v_cvt_f32_i32_e32 v143, v171
	v_cvt_f32_i32_e32 v136, v161
	;; [unrolled: 1-line block ×4, first 2 shown]
	v_pk_fma_f32 v[142:143], v[142:143], v[140:141], v[130:131] neg_lo:[0,0,1] neg_hi:[0,0,1]
	v_pk_fma_f32 v[136:137], v[136:137], v[140:141], v[130:131] neg_lo:[0,0,1] neg_hi:[0,0,1]
	v_pk_fma_f32 v[14:15], v[122:123], v[142:143], v[14:15] op_sel_hi:[0,1,1]
	v_pk_fma_f32 v[0:1], v[0:1], v[140:141], v[130:131] neg_lo:[0,0,1] neg_hi:[0,0,1]
	v_pk_fma_f32 v[10:11], v[126:127], v[136:137], v[10:11] op_sel_hi:[0,1,1]
	v_pk_fma_f32 v[8:9], v[128:129], v[0:1], v[8:9] op_sel_hi:[0,1,1]
	v_add_u32_e32 v129, 4, v129
	v_add_u32_e32 v127, 16, v127
	;; [unrolled: 1-line block ×4, first 2 shown]
	s_cbranch_scc1 .LBB158_7
; %bb.8:                                ;   in Loop: Header=BB158_6 Depth=1
	s_or_b32 s1, s0, 4
	s_cmp_ge_i32 s1, s5
	s_barrier
	s_cbranch_scc1 .LBB158_5
; %bb.9:                                ;   in Loop: Header=BB158_6 Depth=1
	v_add_u32_e32 v128, s0, v85
	v_add_u32_e32 v0, v128, v47
	;; [unrolled: 1-line block ×6, first 2 shown]
	v_mad_i64_i32 v[0:1], s[8:9], v0, 36, v[118:119]
	v_mad_i64_i32 v[2:3], s[8:9], v2, 36, v[118:119]
	v_mad_i64_i32 v[4:5], s[8:9], v4, 36, v[118:119]
	v_mad_i64_i32 v[6:7], s[8:9], v6, 36, v[118:119]
	v_mad_i64_i32 v[122:123], s[8:9], v122, 36, v[118:119]
	v_add_u32_e32 v124, v128, v69
	v_add_u32_e32 v126, v128, v75
	;; [unrolled: 1-line block ×3, first 2 shown]
	v_mad_i64_i32 v[124:125], s[8:9], v124, 36, v[118:119]
	v_mad_i64_i32 v[126:127], s[8:9], v126, 36, v[118:119]
	;; [unrolled: 1-line block ×3, first 2 shown]
	global_load_dword v130, v[0:1], off offset:4
	s_nop 0
	global_load_dword v2, v[2:3], off offset:4
	s_nop 0
	;; [unrolled: 2-line block ×3, first 2 shown]
	global_load_dword v4, v[6:7], off offset:4
	global_load_dword v5, v[122:123], off offset:4
	s_nop 0
	global_load_dword v6, v[124:125], off offset:4
                                        ; kill: killed $vgpr124_vgpr125
                                        ; kill: killed $vgpr122_vgpr123
	global_load_dword v7, v[126:127], off offset:4
	global_load_dword v122, v[128:129], off offset:4
	v_add_u32_e32 v0, 4, v121
	v_mad_u64_u32 v[0:1], s[8:9], v0, 36, s[2:3]
	global_load_dword v0, v[0:1], off
	s_mov_b32 s1, 12
	v_mov_b32_e32 v121, v99
	v_mov_b32_e32 v123, v97
	;; [unrolled: 1-line block ×7, first 2 shown]
	s_waitcnt vmcnt(8)
	ds_write_b32 v49, v130
	s_waitcnt vmcnt(7)
	ds_write_b32 v55, v2
	;; [unrolled: 2-line block ×9, first 2 shown]
	s_waitcnt lgkmcnt(0)
	s_barrier
.LBB158_10:                             ;   Parent Loop BB158_6 Depth=1
                                        ; =>  This Inner Loop Header: Depth=2
	ds_read_b128 v[0:3], v123
	ds_read_b128 v[4:7], v123 offset:16
	ds_read2_b32 v[130:131], v121 offset1:32
	ds_read_b32 v122, v127
	ds_read2_b32 v[138:139], v125 offset1:1
	ds_read2_b32 v[142:143], v125 offset0:2 offset1:3
	v_add_u32_e32 v126, 0x1080, v125
	v_add_u32_e32 v128, 0x2100, v125
	v_mov_b32_e32 v170, 0
	s_waitcnt lgkmcnt(1)
	v_lshrrev_b32_e32 v124, 4, v138
	v_and_b32_e32 v135, 0xf0f0f0f, v124
	v_lshrrev_b32_e32 v124, 4, v139
	v_and_b32_e32 v137, 0xf0f0f0f, v139
	v_and_b32_e32 v139, 0xf0f0f0f, v124
	s_waitcnt lgkmcnt(0)
	v_lshrrev_b32_e32 v124, 4, v142
	v_and_b32_e32 v141, 0xf0f0f0f, v124
	v_lshrrev_b32_e32 v124, 4, v143
	v_and_b32_e32 v144, 0xf0f0f0f, v124
	ds_read_b32 v124, v129
	ds_read2_b32 v[146:147], v126 offset1:1
	v_and_b32_e32 v134, 0xf0f0f0f, v138
	v_and_b32_e32 v140, 0xf0f0f0f, v142
	;; [unrolled: 1-line block ×3, first 2 shown]
	v_mov_b32_e32 v172, 0
	s_waitcnt lgkmcnt(0)
	v_lshrrev_b32_e32 v126, 4, v146
	v_and_b32_e32 v138, 0xf0f0f0f, v126
	v_lshrrev_b32_e32 v126, 4, v147
	v_and_b32_e32 v145, 0xf0f0f0f, v126
	v_add_u32_e32 v126, 0x1088, v125
	v_and_b32_e32 v136, 0xf0f0f0f, v146
	v_and_b32_e32 v143, 0xf0f0f0f, v147
	ds_read2_b32 v[146:147], v126 offset1:1
	v_mov_b32_e32 v173, 0
	v_mov_b32_e32 v174, 0
	v_dot4c_i32_i8_e32 v170, v134, v0
	v_dot4c_i32_i8_e32 v172, v136, v0
	s_waitcnt lgkmcnt(0)
	v_lshrrev_b32_e32 v126, 4, v146
	v_and_b32_e32 v149, 0xf0f0f0f, v126
	v_lshrrev_b32_e32 v126, 4, v147
	v_and_b32_e32 v151, 0xf0f0f0f, v126
	ds_read_b32 v126, v132
	ds_read2_b32 v[152:153], v128 offset1:1
	v_and_b32_e32 v150, 0xf0f0f0f, v147
	v_and_b32_e32 v148, 0xf0f0f0f, v146
	v_dot4c_i32_i8_e32 v170, v135, v4
	v_dot4c_i32_i8_e32 v172, v138, v4
	s_waitcnt lgkmcnt(0)
	v_lshrrev_b32_e32 v128, 4, v152
	v_and_b32_e32 v147, 0xf0f0f0f, v128
	v_lshrrev_b32_e32 v128, 4, v153
	v_and_b32_e32 v146, 0xf0f0f0f, v152
	v_and_b32_e32 v152, 0xf0f0f0f, v153
	;; [unrolled: 1-line block ×3, first 2 shown]
	v_add_u32_e32 v128, 0x2108, v125
	ds_read2_b32 v[154:155], v128 offset1:1
	v_dot4c_i32_i8_e32 v173, v146, v0
	v_dot4c_i32_i8_e32 v173, v147, v4
	;; [unrolled: 1-line block ×4, first 2 shown]
	s_waitcnt lgkmcnt(0)
	v_lshrrev_b32_e32 v128, 4, v154
	v_and_b32_e32 v157, 0xf0f0f0f, v128
	v_lshrrev_b32_e32 v128, 4, v155
	v_and_b32_e32 v156, 0xf0f0f0f, v154
	v_and_b32_e32 v159, 0xf0f0f0f, v128
	v_add_u32_e32 v154, 0x3180, v125
	ds_read_b32 v128, v133
	ds_read2_b32 v[160:161], v154 offset1:1
	v_and_b32_e32 v158, 0xf0f0f0f, v155
	v_dot4c_i32_i8_e32 v173, v152, v1
	v_dot4c_i32_i8_e32 v170, v139, v5
	;; [unrolled: 1-line block ×3, first 2 shown]
	s_waitcnt lgkmcnt(0)
	v_and_b32_e32 v154, 0xf0f0f0f, v160
	v_lshrrev_b32_e32 v155, 4, v160
	v_and_b32_e32 v155, 0xf0f0f0f, v155
	v_dot4c_i32_i8_e32 v174, v154, v0
	v_dot4c_i32_i8_e32 v174, v155, v4
	v_and_b32_e32 v0, 0xf0f0f0f, v161
	v_dot4c_i32_i8_e32 v174, v0, v1
	v_add_u32_e32 v1, 0x3188, v125
	v_lshrrev_b32_e32 v4, 4, v161
	ds_read2_b32 v[160:161], v1 offset1:1
	v_and_b32_e32 v4, 0xf0f0f0f, v4
	v_dot4c_i32_i8_e32 v173, v153, v5
	v_dot4c_i32_i8_e32 v174, v4, v5
	;; [unrolled: 1-line block ×3, first 2 shown]
	s_waitcnt lgkmcnt(0)
	v_and_b32_e32 v1, 0xf0f0f0f, v160
	v_lshrrev_b32_e32 v5, 4, v160
	v_dot4c_i32_i8_e32 v172, v148, v2
	v_dot4c_i32_i8_e32 v173, v156, v2
	v_and_b32_e32 v5, 0xf0f0f0f, v5
	v_dot4c_i32_i8_e32 v174, v1, v2
	v_dot4c_i32_i8_e32 v170, v141, v6
	;; [unrolled: 1-line block ×5, first 2 shown]
	v_and_b32_e32 v2, 0xf0f0f0f, v161
	v_lshrrev_b32_e32 v6, 4, v161
	ds_read_b128 v[160:163], v123 offset:1024
	ds_read_b128 v[164:167], v123 offset:1040
	v_dot4c_i32_i8_e32 v170, v142, v3
	v_dot4c_i32_i8_e32 v172, v150, v3
	;; [unrolled: 1-line block ×4, first 2 shown]
	v_mov_b32_e32 v3, 0
	s_waitcnt lgkmcnt(1)
	v_dot4c_i32_i8_e32 v3, v134, v160
	s_waitcnt lgkmcnt(0)
	v_dot4c_i32_i8_e32 v3, v135, v164
	v_dot4c_i32_i8_e32 v3, v137, v161
	;; [unrolled: 1-line block ×8, first 2 shown]
	v_cvt_f32_f16_e32 v169, v131
	v_cvt_f32_f16_e32 v168, v130
	v_cvt_f32_i32_e32 v171, v3
	v_mov_b32_e32 v3, 0
	v_dot4c_i32_i8_e32 v3, v136, v160
	v_dot4c_i32_i8_e32 v3, v138, v164
	v_cvt_f32_f16_sdwa v131, v131 dst_sel:DWORD dst_unused:UNUSED_PAD src0_sel:WORD_1
	v_cvt_f32_f16_sdwa v130, v130 dst_sel:DWORD dst_unused:UNUSED_PAD src0_sel:WORD_1
	v_dot4c_i32_i8_e32 v3, v143, v161
	v_cvt_f32_i32_e32 v170, v170
	v_dot4c_i32_i8_e32 v3, v145, v165
	v_dot4c_i32_i8_e32 v3, v148, v162
	;; [unrolled: 1-line block ×3, first 2 shown]
	v_pk_mul_f32 v[130:131], v[130:131], s[4:5] op_sel_hi:[1,0]
	v_dot4c_i32_i8_e32 v3, v150, v163
	v_pk_fma_f32 v[170:171], v[168:169], v[170:171], v[130:131] neg_lo:[0,0,1] neg_hi:[0,0,1]
	v_dot4c_i32_i8_e32 v3, v151, v167
	v_pk_fma_f32 v[86:87], v[122:123], v[170:171], v[86:87] op_sel_hi:[0,1,1]
	v_dot4c_i32_i8_e32 v172, v151, v7
	v_and_b32_e32 v6, 0xf0f0f0f, v6
	v_cvt_f32_i32_e32 v171, v3
	v_mov_b32_e32 v3, 0
	v_dot4c_i32_i8_e32 v3, v146, v160
	v_dot4c_i32_i8_e32 v3, v147, v164
	;; [unrolled: 1-line block ×3, first 2 shown]
	v_cvt_f32_i32_e32 v170, v172
	v_dot4c_i32_i8_e32 v3, v153, v165
	v_dot4c_i32_i8_e32 v3, v156, v162
	;; [unrolled: 1-line block ×4, first 2 shown]
	v_pk_fma_f32 v[170:171], v[168:169], v[170:171], v[130:131] neg_lo:[0,0,1] neg_hi:[0,0,1]
	v_dot4c_i32_i8_e32 v3, v159, v167
	v_pk_fma_f32 v[72:73], v[124:125], v[170:171], v[72:73] op_sel_hi:[0,1,1]
	v_dot4c_i32_i8_e32 v173, v159, v7
	v_dot4c_i32_i8_e32 v174, v6, v7
	v_cvt_f32_i32_e32 v171, v3
	v_mov_b32_e32 v3, 0
	v_dot4c_i32_i8_e32 v3, v154, v160
	v_dot4c_i32_i8_e32 v3, v155, v164
	;; [unrolled: 1-line block ×8, first 2 shown]
	v_cvt_f32_i32_e32 v170, v173
	v_cvt_f32_i32_e32 v160, v174
	v_mov_b32_e32 v7, 0
	v_cvt_f32_i32_e32 v161, v3
	v_pk_fma_f32 v[170:171], v[168:169], v[170:171], v[130:131] neg_lo:[0,0,1] neg_hi:[0,0,1]
	v_mov_b32_e32 v3, 0
	v_mov_b32_e32 v172, 0
	v_pk_fma_f32 v[130:131], v[168:169], v[160:161], v[130:131] neg_lo:[0,0,1] neg_hi:[0,0,1]
	v_mov_b32_e32 v173, 0
	v_pk_fma_f32 v[36:37], v[128:129], v[130:131], v[36:37] op_sel_hi:[0,1,1]
	ds_read_b128 v[160:163], v123 offset:2048
	ds_read_b128 v[164:167], v123 offset:2064
	ds_read2_b32 v[130:131], v121 offset0:64 offset1:96
	v_pk_fma_f32 v[52:53], v[126:127], v[170:171], v[52:53] op_sel_hi:[0,1,1]
	v_mov_b32_e32 v170, 0
	s_waitcnt lgkmcnt(2)
	v_dot4c_i32_i8_e32 v3, v134, v160
	v_dot4c_i32_i8_e32 v7, v136, v160
	;; [unrolled: 1-line block ×4, first 2 shown]
	s_waitcnt lgkmcnt(1)
	v_dot4c_i32_i8_e32 v3, v135, v164
	v_dot4c_i32_i8_e32 v7, v138, v164
	;; [unrolled: 1-line block ×28, first 2 shown]
	ds_read_b128 v[160:163], v123 offset:3072
	ds_read_b128 v[164:167], v123 offset:3088
	s_waitcnt lgkmcnt(2)
	v_cvt_f32_f16_e32 v169, v131
	v_cvt_f32_f16_e32 v168, v130
	v_cvt_f32_f16_sdwa v131, v131 dst_sel:DWORD dst_unused:UNUSED_PAD src0_sel:WORD_1
	s_waitcnt lgkmcnt(1)
	v_dot4c_i32_i8_e32 v170, v134, v160
	s_waitcnt lgkmcnt(0)
	v_dot4c_i32_i8_e32 v170, v135, v164
	v_dot4c_i32_i8_e32 v170, v137, v161
	;; [unrolled: 1-line block ×7, first 2 shown]
	v_cvt_f32_f16_sdwa v130, v130 dst_sel:DWORD dst_unused:UNUSED_PAD src0_sel:WORD_1
	s_add_i32 s1, s1, 4
	v_add_u32_e32 v133, 4, v133
	v_cvt_f32_i32_e32 v171, v170
	v_cvt_f32_i32_e32 v170, v3
	v_mov_b32_e32 v3, 0
	v_dot4c_i32_i8_e32 v3, v136, v160
	v_dot4c_i32_i8_e32 v3, v138, v164
	;; [unrolled: 1-line block ×6, first 2 shown]
	v_pk_mul_f32 v[130:131], v[130:131], s[4:5] op_sel_hi:[1,0]
	v_dot4c_i32_i8_e32 v3, v150, v163
	v_pk_fma_f32 v[170:171], v[170:171], v[168:169], v[130:131] neg_lo:[0,0,1] neg_hi:[0,0,1]
	v_dot4c_i32_i8_e32 v3, v151, v167
	v_pk_fma_f32 v[30:31], v[122:123], v[170:171], v[30:31] op_sel_hi:[0,1,1]
	v_cvt_f32_i32_e32 v170, v7
	v_mov_b32_e32 v7, 0
	v_cvt_f32_i32_e32 v171, v3
	v_mov_b32_e32 v3, 0
	v_dot4c_i32_i8_e32 v3, v146, v160
	v_dot4c_i32_i8_e32 v3, v147, v164
	;; [unrolled: 1-line block ×7, first 2 shown]
	v_pk_fma_f32 v[170:171], v[170:171], v[168:169], v[130:131] neg_lo:[0,0,1] neg_hi:[0,0,1]
	v_dot4c_i32_i8_e32 v3, v159, v167
	v_pk_fma_f32 v[28:29], v[124:125], v[170:171], v[28:29] op_sel_hi:[0,1,1]
	v_cvt_f32_i32_e32 v170, v172
	v_mov_b32_e32 v172, 0
	v_cvt_f32_i32_e32 v171, v3
	v_mov_b32_e32 v3, 0
	v_dot4c_i32_i8_e32 v3, v154, v160
	v_dot4c_i32_i8_e32 v3, v155, v164
	;; [unrolled: 1-line block ×8, first 2 shown]
	v_cvt_f32_i32_e32 v160, v173
	v_pk_fma_f32 v[170:171], v[170:171], v[168:169], v[130:131] neg_lo:[0,0,1] neg_hi:[0,0,1]
	v_mov_b32_e32 v173, 0
	v_cvt_f32_i32_e32 v161, v3
	v_mov_b32_e32 v3, 0
	v_pk_fma_f32 v[26:27], v[126:127], v[170:171], v[26:27] op_sel_hi:[0,1,1]
	v_mov_b32_e32 v170, 0
	v_pk_fma_f32 v[130:131], v[160:161], v[168:169], v[130:131] neg_lo:[0,0,1] neg_hi:[0,0,1]
	v_add_u32_e32 v132, 4, v132
	v_pk_fma_f32 v[24:25], v[128:129], v[130:131], v[24:25] op_sel_hi:[0,1,1]
	ds_read_b128 v[160:163], v123 offset:4096
	ds_read_b128 v[164:167], v123 offset:4112
	ds_read2_b32 v[130:131], v121 offset0:128 offset1:160
	s_cmp_lt_u32 s1, 28
	s_waitcnt lgkmcnt(2)
	v_dot4c_i32_i8_e32 v3, v134, v160
	v_dot4c_i32_i8_e32 v7, v136, v160
	;; [unrolled: 1-line block ×4, first 2 shown]
	s_waitcnt lgkmcnt(1)
	v_dot4c_i32_i8_e32 v3, v135, v164
	v_dot4c_i32_i8_e32 v7, v138, v164
	;; [unrolled: 1-line block ×28, first 2 shown]
	ds_read_b128 v[160:163], v123 offset:5120
	ds_read_b128 v[164:167], v123 offset:5136
	s_waitcnt lgkmcnt(2)
	v_cvt_f32_f16_e32 v169, v131
	v_cvt_f32_f16_e32 v168, v130
	v_cvt_f32_f16_sdwa v131, v131 dst_sel:DWORD dst_unused:UNUSED_PAD src0_sel:WORD_1
	s_waitcnt lgkmcnt(1)
	v_dot4c_i32_i8_e32 v170, v134, v160
	s_waitcnt lgkmcnt(0)
	v_dot4c_i32_i8_e32 v170, v135, v164
	v_dot4c_i32_i8_e32 v170, v137, v161
	;; [unrolled: 1-line block ×7, first 2 shown]
	v_cvt_f32_f16_sdwa v130, v130 dst_sel:DWORD dst_unused:UNUSED_PAD src0_sel:WORD_1
	v_pk_mul_f32 v[130:131], v[130:131], s[4:5] op_sel_hi:[1,0]
	s_nop 0
	v_cvt_f32_i32_e32 v171, v170
	v_cvt_f32_i32_e32 v170, v3
	v_mov_b32_e32 v3, 0
	v_dot4c_i32_i8_e32 v3, v136, v160
	v_dot4c_i32_i8_e32 v3, v138, v164
	;; [unrolled: 1-line block ×7, first 2 shown]
	v_pk_fma_f32 v[170:171], v[170:171], v[168:169], v[130:131] neg_lo:[0,0,1] neg_hi:[0,0,1]
	v_dot4c_i32_i8_e32 v3, v151, v167
	v_pk_fma_f32 v[22:23], v[122:123], v[170:171], v[22:23] op_sel_hi:[0,1,1]
	v_cvt_f32_i32_e32 v170, v7
	v_mov_b32_e32 v7, 0
	v_cvt_f32_i32_e32 v171, v3
	v_mov_b32_e32 v3, 0
	v_dot4c_i32_i8_e32 v3, v146, v160
	v_dot4c_i32_i8_e32 v3, v147, v164
	;; [unrolled: 1-line block ×7, first 2 shown]
	v_pk_fma_f32 v[170:171], v[170:171], v[168:169], v[130:131] neg_lo:[0,0,1] neg_hi:[0,0,1]
	v_dot4c_i32_i8_e32 v3, v159, v167
	v_pk_fma_f32 v[20:21], v[124:125], v[170:171], v[20:21] op_sel_hi:[0,1,1]
	v_cvt_f32_i32_e32 v170, v172
	s_nop 0
	v_cvt_f32_i32_e32 v171, v3
	v_mov_b32_e32 v3, 0
	v_dot4c_i32_i8_e32 v3, v154, v160
	v_dot4c_i32_i8_e32 v3, v155, v164
	;; [unrolled: 1-line block ×8, first 2 shown]
	v_cvt_f32_i32_e32 v160, v173
	v_pk_fma_f32 v[170:171], v[170:171], v[168:169], v[130:131] neg_lo:[0,0,1] neg_hi:[0,0,1]
	s_nop 0
	v_cvt_f32_i32_e32 v161, v3
	v_mov_b32_e32 v3, 0
	v_pk_fma_f32 v[18:19], v[126:127], v[170:171], v[18:19] op_sel_hi:[0,1,1]
	v_mov_b32_e32 v170, 0
	v_pk_fma_f32 v[130:131], v[160:161], v[168:169], v[130:131] neg_lo:[0,0,1] neg_hi:[0,0,1]
	v_mov_b32_e32 v168, 0
	v_pk_fma_f32 v[16:17], v[128:129], v[130:131], v[16:17] op_sel_hi:[0,1,1]
	ds_read_b128 v[160:163], v123 offset:6144
	ds_read_b128 v[164:167], v123 offset:6160
	ds_read2_b32 v[130:131], v121 offset0:192 offset1:224
	v_mov_b32_e32 v169, 0
	v_add_u32_e32 v121, 4, v121
	s_waitcnt lgkmcnt(2)
	v_dot4c_i32_i8_e32 v3, v134, v160
	v_dot4c_i32_i8_e32 v7, v136, v160
	v_dot4c_i32_i8_e32 v168, v146, v160
	v_dot4c_i32_i8_e32 v169, v154, v160
	s_waitcnt lgkmcnt(1)
	v_dot4c_i32_i8_e32 v3, v135, v164
	v_dot4c_i32_i8_e32 v7, v138, v164
	;; [unrolled: 1-line block ×28, first 2 shown]
	ds_read_b128 v[160:163], v123 offset:7168
	ds_read_b128 v[164:167], v123 offset:7184
	s_waitcnt lgkmcnt(1)
	v_dot4c_i32_i8_e32 v170, v134, v160
	s_waitcnt lgkmcnt(0)
	v_dot4c_i32_i8_e32 v170, v135, v164
	v_dot4c_i32_i8_e32 v170, v137, v161
	;; [unrolled: 1-line block ×4, first 2 shown]
	v_cvt_f32_i32_e32 v140, v3
	v_mov_b32_e32 v3, 0
	v_dot4c_i32_i8_e32 v3, v136, v160
	v_dot4c_i32_i8_e32 v3, v138, v164
	;; [unrolled: 1-line block ×8, first 2 shown]
	v_cvt_f32_f16_e32 v135, v131
	v_cvt_f32_f16_e32 v134, v130
	v_cvt_f32_f16_sdwa v131, v131 dst_sel:DWORD dst_unused:UNUSED_PAD src0_sel:WORD_1
	v_cvt_f32_i32_e32 v137, v3
	v_mov_b32_e32 v3, 0
	v_dot4c_i32_i8_e32 v3, v146, v160
	v_dot4c_i32_i8_e32 v3, v147, v164
	v_cvt_f32_f16_sdwa v130, v130 dst_sel:DWORD dst_unused:UNUSED_PAD src0_sel:WORD_1
	v_dot4c_i32_i8_e32 v3, v152, v161
	v_cvt_f32_i32_e32 v136, v7
	v_dot4c_i32_i8_e32 v3, v153, v165
	v_dot4c_i32_i8_e32 v3, v156, v162
	;; [unrolled: 1-line block ×3, first 2 shown]
	v_pk_mul_f32 v[130:131], v[130:131], s[4:5] op_sel_hi:[1,0]
	v_dot4c_i32_i8_e32 v3, v158, v163
	v_pk_fma_f32 v[136:137], v[136:137], v[134:135], v[130:131] neg_lo:[0,0,1] neg_hi:[0,0,1]
	v_dot4c_i32_i8_e32 v3, v159, v167
	v_pk_fma_f32 v[12:13], v[124:125], v[136:137], v[12:13] op_sel_hi:[0,1,1]
	v_dot4c_i32_i8_e32 v170, v141, v166
	v_dot4c_i32_i8_e32 v170, v142, v163
	v_cvt_f32_i32_e32 v137, v3
	v_mov_b32_e32 v3, 0
	v_dot4c_i32_i8_e32 v3, v154, v160
	v_dot4c_i32_i8_e32 v3, v155, v164
	;; [unrolled: 1-line block ×9, first 2 shown]
	v_cvt_f32_i32_e32 v136, v168
	v_cvt_f32_i32_e32 v0, v169
	;; [unrolled: 1-line block ×4, first 2 shown]
	v_pk_fma_f32 v[136:137], v[136:137], v[134:135], v[130:131] neg_lo:[0,0,1] neg_hi:[0,0,1]
	v_add_u32_e32 v125, 16, v125
	v_pk_fma_f32 v[140:141], v[140:141], v[134:135], v[130:131] neg_lo:[0,0,1] neg_hi:[0,0,1]
	v_pk_fma_f32 v[0:1], v[0:1], v[134:135], v[130:131] neg_lo:[0,0,1] neg_hi:[0,0,1]
	v_pk_fma_f32 v[14:15], v[122:123], v[140:141], v[14:15] op_sel_hi:[0,1,1]
	v_pk_fma_f32 v[10:11], v[126:127], v[136:137], v[10:11] op_sel_hi:[0,1,1]
	;; [unrolled: 1-line block ×3, first 2 shown]
	v_add_u32_e32 v129, 4, v129
	v_add_u32_e32 v127, 4, v127
	;; [unrolled: 1-line block ×3, first 2 shown]
	s_cbranch_scc1 .LBB158_10
; %bb.11:                               ;   in Loop: Header=BB158_6 Depth=1
	s_barrier
	s_branch .LBB158_5
.LBB158_12:
	v_mov_b32_e32 v1, v39
.LBB158_13:
	v_cmp_gt_u32_e32 vcc, s10, v41
	s_and_saveexec_b64 s[0:1], vcc
	s_cbranch_execz .LBB158_64
; %bb.14:
	v_add_u32_e32 v0, s16, v33
	v_mul_lo_u32 v5, v41, s14
	v_cmp_gt_u32_e32 vcc, s14, v0
	s_and_saveexec_b64 s[2:3], vcc
	s_cbranch_execz .LBB158_16
; %bb.15:
	v_bfe_u32 v2, v86, 16, 1
	s_movk_i32 s0, 0x7fff
	v_add3_u32 v2, v86, v2, s0
	v_lshrrev_b32_e32 v2, 16, v2
	v_mov_b32_e32 v3, 0x7fc0
	v_cmp_o_f32_e64 s[0:1], v86, v86
	s_nop 1
	v_cndmask_b32_e64 v4, v3, v2, s[0:1]
	v_add_u32_e32 v2, v0, v5
	v_mov_b32_e32 v3, 0
	s_waitcnt lgkmcnt(0)
	v_lshl_add_u64 v[2:3], v[2:3], 1, s[12:13]
	global_store_short v[2:3], v4, off
.LBB158_16:
	s_or_b64 exec, exec, s[2:3]
	v_add_u32_e32 v2, 32, v0
	v_cmp_gt_u32_e64 s[0:1], s14, v2
	s_and_saveexec_b64 s[4:5], s[0:1]
	s_cbranch_execz .LBB158_18
; %bb.17:
	v_bfe_u32 v3, v72, 16, 1
	s_movk_i32 s2, 0x7fff
	v_add3_u32 v3, v72, v3, s2
	v_lshrrev_b32_e32 v3, 16, v3
	v_mov_b32_e32 v4, 0x7fc0
	v_cmp_o_f32_e64 s[2:3], v72, v72
	v_add_u32_e32 v6, v2, v5
	v_mov_b32_e32 v7, 0
	v_cndmask_b32_e64 v3, v4, v3, s[2:3]
	s_waitcnt lgkmcnt(0)
	v_lshl_add_u64 v[6:7], v[6:7], 1, s[12:13]
	global_store_short v[6:7], v3, off
.LBB158_18:
	s_or_b64 exec, exec, s[4:5]
	v_add_u32_e32 v3, 64, v0
	v_cmp_gt_u32_e64 s[2:3], s14, v3
	s_and_saveexec_b64 s[6:7], s[2:3]
	s_cbranch_execz .LBB158_20
; %bb.19:
	v_bfe_u32 v4, v52, 16, 1
	s_movk_i32 s4, 0x7fff
	v_add3_u32 v4, v52, v4, s4
	v_lshrrev_b32_e32 v4, 16, v4
	v_mov_b32_e32 v6, 0x7fc0
	v_cmp_o_f32_e64 s[4:5], v52, v52
	v_mov_b32_e32 v7, 0
	s_nop 0
	v_cndmask_b32_e64 v4, v6, v4, s[4:5]
	v_add_u32_e32 v6, v3, v5
	s_waitcnt lgkmcnt(0)
	v_lshl_add_u64 v[6:7], v[6:7], 1, s[12:13]
	global_store_short v[6:7], v4, off
.LBB158_20:
	s_or_b64 exec, exec, s[6:7]
	v_add_u32_e32 v4, 0x60, v0
	v_cmp_gt_u32_e64 s[4:5], s14, v4
	s_and_saveexec_b64 s[8:9], s[4:5]
	s_cbranch_execz .LBB158_22
; %bb.21:
	v_bfe_u32 v6, v36, 16, 1
	s_movk_i32 s6, 0x7fff
	v_add3_u32 v6, v36, v6, s6
	v_lshrrev_b32_e32 v6, 16, v6
	v_mov_b32_e32 v7, 0x7fc0
	v_cmp_o_f32_e64 s[6:7], v36, v36
	s_nop 1
	v_cndmask_b32_e64 v32, v7, v6, s[6:7]
	v_add_u32_e32 v6, v4, v5
	v_mov_b32_e32 v7, 0
	s_waitcnt lgkmcnt(0)
	v_lshl_add_u64 v[6:7], v[6:7], 1, s[12:13]
	global_store_short v[6:7], v32, off
.LBB158_22:
	s_or_b64 exec, exec, s[8:9]
	v_add3_u32 v5, v1, s15, 8
	v_cmp_gt_u32_e64 s[6:7], s10, v5
	s_and_b64 exec, exec, s[6:7]
	s_cbranch_execz .LBB158_64
; %bb.23:
	v_mul_lo_u32 v5, v5, s14
	s_and_saveexec_b64 s[8:9], vcc
	s_cbranch_execnz .LBB158_65
; %bb.24:
	s_or_b64 exec, exec, s[8:9]
	s_and_saveexec_b64 s[8:9], s[0:1]
	s_cbranch_execnz .LBB158_66
.LBB158_25:
	s_or_b64 exec, exec, s[8:9]
	s_and_saveexec_b64 s[8:9], s[2:3]
	s_cbranch_execnz .LBB158_67
.LBB158_26:
	s_or_b64 exec, exec, s[8:9]
	s_and_saveexec_b64 s[8:9], s[4:5]
	s_cbranch_execz .LBB158_28
.LBB158_27:
	v_bfe_u32 v6, v37, 16, 1
	s_movk_i32 s6, 0x7fff
	v_add3_u32 v6, v37, v6, s6
	v_lshrrev_b32_e32 v6, 16, v6
	v_mov_b32_e32 v7, 0x7fc0
	v_cmp_o_f32_e64 s[6:7], v37, v37
	s_nop 1
	v_cndmask_b32_e64 v32, v7, v6, s[6:7]
	v_add_u32_e32 v6, v5, v4
	v_mov_b32_e32 v7, 0
	s_waitcnt lgkmcnt(0)
	v_lshl_add_u64 v[6:7], v[6:7], 1, s[12:13]
	global_store_short v[6:7], v32, off
.LBB158_28:
	s_or_b64 exec, exec, s[8:9]
	v_add3_u32 v5, v1, s15, 16
	v_cmp_gt_u32_e64 s[6:7], s10, v5
	s_and_b64 exec, exec, s[6:7]
	s_cbranch_execz .LBB158_64
; %bb.29:
	v_mul_lo_u32 v5, v5, s14
	s_and_saveexec_b64 s[8:9], vcc
	s_cbranch_execnz .LBB158_68
; %bb.30:
	s_or_b64 exec, exec, s[8:9]
	s_and_saveexec_b64 s[8:9], s[0:1]
	s_cbranch_execnz .LBB158_69
.LBB158_31:
	s_or_b64 exec, exec, s[8:9]
	s_and_saveexec_b64 s[8:9], s[2:3]
	s_cbranch_execnz .LBB158_70
.LBB158_32:
	s_or_b64 exec, exec, s[8:9]
	s_and_saveexec_b64 s[8:9], s[4:5]
	s_cbranch_execz .LBB158_34
.LBB158_33:
	v_bfe_u32 v6, v24, 16, 1
	s_movk_i32 s6, 0x7fff
	v_add3_u32 v6, v24, v6, s6
	v_lshrrev_b32_e32 v6, 16, v6
	v_mov_b32_e32 v7, 0x7fc0
	v_cmp_o_f32_e64 s[6:7], v24, v24
	s_nop 1
	v_cndmask_b32_e64 v24, v7, v6, s[6:7]
	v_add_u32_e32 v6, v5, v4
	v_mov_b32_e32 v7, 0
	s_waitcnt lgkmcnt(0)
	v_lshl_add_u64 v[6:7], v[6:7], 1, s[12:13]
	global_store_short v[6:7], v24, off
.LBB158_34:
	s_or_b64 exec, exec, s[8:9]
	v_add3_u32 v5, v1, s15, 24
	v_cmp_gt_u32_e64 s[6:7], s10, v5
	s_and_b64 exec, exec, s[6:7]
	s_cbranch_execz .LBB158_64
; %bb.35:
	v_mul_lo_u32 v5, v5, s14
	s_and_saveexec_b64 s[8:9], vcc
	s_cbranch_execnz .LBB158_71
; %bb.36:
	s_or_b64 exec, exec, s[8:9]
	s_and_saveexec_b64 s[8:9], s[0:1]
	s_cbranch_execnz .LBB158_72
.LBB158_37:
	s_or_b64 exec, exec, s[8:9]
	s_and_saveexec_b64 s[8:9], s[2:3]
	s_cbranch_execnz .LBB158_73
.LBB158_38:
	s_or_b64 exec, exec, s[8:9]
	s_and_saveexec_b64 s[8:9], s[4:5]
	s_cbranch_execz .LBB158_40
.LBB158_39:
	v_bfe_u32 v6, v25, 16, 1
	s_movk_i32 s6, 0x7fff
	v_add3_u32 v6, v25, v6, s6
	v_lshrrev_b32_e32 v6, 16, v6
	v_mov_b32_e32 v7, 0x7fc0
	v_cmp_o_f32_e64 s[6:7], v25, v25
	s_nop 1
	v_cndmask_b32_e64 v24, v7, v6, s[6:7]
	v_add_u32_e32 v6, v5, v4
	v_mov_b32_e32 v7, 0
	s_waitcnt lgkmcnt(0)
	v_lshl_add_u64 v[6:7], v[6:7], 1, s[12:13]
	global_store_short v[6:7], v24, off
.LBB158_40:
	s_or_b64 exec, exec, s[8:9]
	v_add3_u32 v5, v1, s15, 32
	v_cmp_gt_u32_e64 s[6:7], s10, v5
	s_and_b64 exec, exec, s[6:7]
	s_cbranch_execz .LBB158_64
; %bb.41:
	v_mul_lo_u32 v5, v5, s14
	s_and_saveexec_b64 s[8:9], vcc
	s_cbranch_execnz .LBB158_74
; %bb.42:
	s_or_b64 exec, exec, s[8:9]
	s_and_saveexec_b64 s[8:9], s[0:1]
	s_cbranch_execnz .LBB158_75
.LBB158_43:
	s_or_b64 exec, exec, s[8:9]
	s_and_saveexec_b64 s[8:9], s[2:3]
	s_cbranch_execnz .LBB158_76
.LBB158_44:
	s_or_b64 exec, exec, s[8:9]
	s_and_saveexec_b64 s[8:9], s[4:5]
	s_cbranch_execz .LBB158_46
.LBB158_45:
	v_bfe_u32 v6, v16, 16, 1
	s_movk_i32 s6, 0x7fff
	v_add3_u32 v6, v16, v6, s6
	v_lshrrev_b32_e32 v6, 16, v6
	v_mov_b32_e32 v7, 0x7fc0
	v_cmp_o_f32_e64 s[6:7], v16, v16
	s_nop 1
	v_cndmask_b32_e64 v16, v7, v6, s[6:7]
	v_add_u32_e32 v6, v5, v4
	v_mov_b32_e32 v7, 0
	s_waitcnt lgkmcnt(0)
	v_lshl_add_u64 v[6:7], v[6:7], 1, s[12:13]
	global_store_short v[6:7], v16, off
.LBB158_46:
	s_or_b64 exec, exec, s[8:9]
	v_add3_u32 v5, v1, s15, 40
	v_cmp_gt_u32_e64 s[6:7], s10, v5
	s_and_b64 exec, exec, s[6:7]
	s_cbranch_execz .LBB158_64
; %bb.47:
	v_mul_lo_u32 v5, v5, s14
	s_and_saveexec_b64 s[8:9], vcc
	s_cbranch_execnz .LBB158_77
; %bb.48:
	s_or_b64 exec, exec, s[8:9]
	s_and_saveexec_b64 s[8:9], s[0:1]
	s_cbranch_execnz .LBB158_78
.LBB158_49:
	s_or_b64 exec, exec, s[8:9]
	s_and_saveexec_b64 s[8:9], s[2:3]
	s_cbranch_execnz .LBB158_79
.LBB158_50:
	s_or_b64 exec, exec, s[8:9]
	s_and_saveexec_b64 s[8:9], s[4:5]
	s_cbranch_execz .LBB158_52
.LBB158_51:
	v_bfe_u32 v6, v17, 16, 1
	s_movk_i32 s6, 0x7fff
	v_add3_u32 v6, v17, v6, s6
	v_lshrrev_b32_e32 v6, 16, v6
	v_mov_b32_e32 v7, 0x7fc0
	v_cmp_o_f32_e64 s[6:7], v17, v17
	s_nop 1
	v_cndmask_b32_e64 v16, v7, v6, s[6:7]
	v_add_u32_e32 v6, v5, v4
	v_mov_b32_e32 v7, 0
	s_waitcnt lgkmcnt(0)
	v_lshl_add_u64 v[6:7], v[6:7], 1, s[12:13]
	global_store_short v[6:7], v16, off
.LBB158_52:
	s_or_b64 exec, exec, s[8:9]
	v_add3_u32 v5, v1, s15, 48
	v_cmp_gt_u32_e64 s[6:7], s10, v5
	s_and_b64 exec, exec, s[6:7]
	s_cbranch_execz .LBB158_64
; %bb.53:
	v_mul_lo_u32 v5, v5, s14
	s_and_saveexec_b64 s[8:9], vcc
	s_cbranch_execnz .LBB158_80
; %bb.54:
	s_or_b64 exec, exec, s[8:9]
	s_and_saveexec_b64 s[8:9], s[0:1]
	s_cbranch_execnz .LBB158_81
.LBB158_55:
	s_or_b64 exec, exec, s[8:9]
	s_and_saveexec_b64 s[8:9], s[2:3]
	s_cbranch_execnz .LBB158_82
.LBB158_56:
	s_or_b64 exec, exec, s[8:9]
	s_and_saveexec_b64 s[8:9], s[4:5]
	s_cbranch_execz .LBB158_58
.LBB158_57:
	v_bfe_u32 v6, v8, 16, 1
	s_movk_i32 s6, 0x7fff
	v_add3_u32 v6, v8, v6, s6
	v_lshrrev_b32_e32 v6, 16, v6
	v_mov_b32_e32 v7, 0x7fc0
	v_cmp_o_f32_e64 s[6:7], v8, v8
	s_nop 1
	v_cndmask_b32_e64 v8, v7, v6, s[6:7]
	v_add_u32_e32 v6, v5, v4
	v_mov_b32_e32 v7, 0
	s_waitcnt lgkmcnt(0)
	v_lshl_add_u64 v[6:7], v[6:7], 1, s[12:13]
	global_store_short v[6:7], v8, off
.LBB158_58:
	s_or_b64 exec, exec, s[8:9]
	v_add3_u32 v1, v1, s15, 56
	v_cmp_gt_u32_e64 s[6:7], s10, v1
	s_and_b64 exec, exec, s[6:7]
	s_cbranch_execz .LBB158_64
; %bb.59:
	v_mul_lo_u32 v1, v1, s14
	s_and_saveexec_b64 s[6:7], vcc
	s_cbranch_execnz .LBB158_83
; %bb.60:
	s_or_b64 exec, exec, s[6:7]
	s_and_saveexec_b64 s[6:7], s[0:1]
	s_cbranch_execnz .LBB158_84
.LBB158_61:
	s_or_b64 exec, exec, s[6:7]
	s_and_saveexec_b64 s[0:1], s[2:3]
	s_cbranch_execnz .LBB158_85
.LBB158_62:
	s_or_b64 exec, exec, s[0:1]
	s_and_b64 exec, exec, s[4:5]
	s_cbranch_execz .LBB158_64
.LBB158_63:
	v_bfe_u32 v0, v9, 16, 1
	s_movk_i32 s0, 0x7fff
	v_add3_u32 v0, v9, v0, s0
	v_lshrrev_b32_e32 v0, 16, v0
	v_mov_b32_e32 v2, 0x7fc0
	v_cmp_o_f32_e32 vcc, v9, v9
	s_nop 1
	v_cndmask_b32_e32 v2, v2, v0, vcc
	v_add_u32_e32 v0, v1, v4
	v_mov_b32_e32 v1, 0
	s_waitcnt lgkmcnt(0)
	v_lshl_add_u64 v[0:1], v[0:1], 1, s[12:13]
	global_store_short v[0:1], v2, off
.LBB158_64:
	s_endpgm
.LBB158_65:
	v_bfe_u32 v6, v87, 16, 1
	s_movk_i32 s6, 0x7fff
	v_add3_u32 v6, v87, v6, s6
	v_lshrrev_b32_e32 v6, 16, v6
	v_mov_b32_e32 v7, 0x7fc0
	v_cmp_o_f32_e64 s[6:7], v87, v87
	s_nop 1
	v_cndmask_b32_e64 v32, v7, v6, s[6:7]
	v_add_u32_e32 v6, v5, v0
	v_mov_b32_e32 v7, 0
	s_waitcnt lgkmcnt(0)
	v_lshl_add_u64 v[6:7], v[6:7], 1, s[12:13]
	global_store_short v[6:7], v32, off
	s_or_b64 exec, exec, s[8:9]
	s_and_saveexec_b64 s[8:9], s[0:1]
	s_cbranch_execz .LBB158_25
.LBB158_66:
	v_bfe_u32 v6, v73, 16, 1
	s_movk_i32 s6, 0x7fff
	v_add3_u32 v6, v73, v6, s6
	v_lshrrev_b32_e32 v6, 16, v6
	v_mov_b32_e32 v7, 0x7fc0
	v_cmp_o_f32_e64 s[6:7], v73, v73
	s_nop 1
	v_cndmask_b32_e64 v32, v7, v6, s[6:7]
	v_add_u32_e32 v6, v5, v2
	v_mov_b32_e32 v7, 0
	s_waitcnt lgkmcnt(0)
	v_lshl_add_u64 v[6:7], v[6:7], 1, s[12:13]
	global_store_short v[6:7], v32, off
	s_or_b64 exec, exec, s[8:9]
	s_and_saveexec_b64 s[8:9], s[2:3]
	s_cbranch_execz .LBB158_26
.LBB158_67:
	v_bfe_u32 v6, v53, 16, 1
	s_movk_i32 s6, 0x7fff
	v_add3_u32 v6, v53, v6, s6
	v_lshrrev_b32_e32 v6, 16, v6
	v_mov_b32_e32 v7, 0x7fc0
	v_cmp_o_f32_e64 s[6:7], v53, v53
	s_nop 1
	v_cndmask_b32_e64 v32, v7, v6, s[6:7]
	v_add_u32_e32 v6, v5, v3
	v_mov_b32_e32 v7, 0
	s_waitcnt lgkmcnt(0)
	v_lshl_add_u64 v[6:7], v[6:7], 1, s[12:13]
	global_store_short v[6:7], v32, off
	s_or_b64 exec, exec, s[8:9]
	s_and_saveexec_b64 s[8:9], s[4:5]
	s_cbranch_execnz .LBB158_27
	s_branch .LBB158_28
.LBB158_68:
	v_bfe_u32 v6, v30, 16, 1
	s_movk_i32 s6, 0x7fff
	v_add3_u32 v6, v30, v6, s6
	v_lshrrev_b32_e32 v6, 16, v6
	v_mov_b32_e32 v7, 0x7fc0
	v_cmp_o_f32_e64 s[6:7], v30, v30
	s_nop 1
	v_cndmask_b32_e64 v30, v7, v6, s[6:7]
	v_add_u32_e32 v6, v5, v0
	v_mov_b32_e32 v7, 0
	s_waitcnt lgkmcnt(0)
	v_lshl_add_u64 v[6:7], v[6:7], 1, s[12:13]
	global_store_short v[6:7], v30, off
	s_or_b64 exec, exec, s[8:9]
	s_and_saveexec_b64 s[8:9], s[0:1]
	s_cbranch_execz .LBB158_31
.LBB158_69:
	v_bfe_u32 v6, v28, 16, 1
	s_movk_i32 s6, 0x7fff
	v_add3_u32 v6, v28, v6, s6
	v_lshrrev_b32_e32 v6, 16, v6
	v_mov_b32_e32 v7, 0x7fc0
	v_cmp_o_f32_e64 s[6:7], v28, v28
	s_nop 1
	v_cndmask_b32_e64 v28, v7, v6, s[6:7]
	v_add_u32_e32 v6, v5, v2
	v_mov_b32_e32 v7, 0
	s_waitcnt lgkmcnt(0)
	v_lshl_add_u64 v[6:7], v[6:7], 1, s[12:13]
	global_store_short v[6:7], v28, off
	s_or_b64 exec, exec, s[8:9]
	s_and_saveexec_b64 s[8:9], s[2:3]
	s_cbranch_execz .LBB158_32
.LBB158_70:
	v_bfe_u32 v6, v26, 16, 1
	s_movk_i32 s6, 0x7fff
	v_add3_u32 v6, v26, v6, s6
	v_lshrrev_b32_e32 v6, 16, v6
	v_mov_b32_e32 v7, 0x7fc0
	v_cmp_o_f32_e64 s[6:7], v26, v26
	s_nop 1
	v_cndmask_b32_e64 v26, v7, v6, s[6:7]
	v_add_u32_e32 v6, v5, v3
	v_mov_b32_e32 v7, 0
	s_waitcnt lgkmcnt(0)
	v_lshl_add_u64 v[6:7], v[6:7], 1, s[12:13]
	global_store_short v[6:7], v26, off
	s_or_b64 exec, exec, s[8:9]
	s_and_saveexec_b64 s[8:9], s[4:5]
	s_cbranch_execnz .LBB158_33
	s_branch .LBB158_34
.LBB158_71:
	v_bfe_u32 v6, v31, 16, 1
	s_movk_i32 s6, 0x7fff
	v_add3_u32 v6, v31, v6, s6
	v_lshrrev_b32_e32 v6, 16, v6
	v_mov_b32_e32 v7, 0x7fc0
	v_cmp_o_f32_e64 s[6:7], v31, v31
	s_nop 1
	v_cndmask_b32_e64 v24, v7, v6, s[6:7]
	v_add_u32_e32 v6, v5, v0
	v_mov_b32_e32 v7, 0
	s_waitcnt lgkmcnt(0)
	v_lshl_add_u64 v[6:7], v[6:7], 1, s[12:13]
	global_store_short v[6:7], v24, off
	s_or_b64 exec, exec, s[8:9]
	s_and_saveexec_b64 s[8:9], s[0:1]
	s_cbranch_execz .LBB158_37
.LBB158_72:
	v_bfe_u32 v6, v29, 16, 1
	s_movk_i32 s6, 0x7fff
	v_add3_u32 v6, v29, v6, s6
	v_lshrrev_b32_e32 v6, 16, v6
	v_mov_b32_e32 v7, 0x7fc0
	v_cmp_o_f32_e64 s[6:7], v29, v29
	s_nop 1
	v_cndmask_b32_e64 v24, v7, v6, s[6:7]
	v_add_u32_e32 v6, v5, v2
	v_mov_b32_e32 v7, 0
	s_waitcnt lgkmcnt(0)
	v_lshl_add_u64 v[6:7], v[6:7], 1, s[12:13]
	global_store_short v[6:7], v24, off
	s_or_b64 exec, exec, s[8:9]
	s_and_saveexec_b64 s[8:9], s[2:3]
	s_cbranch_execz .LBB158_38
.LBB158_73:
	v_bfe_u32 v6, v27, 16, 1
	s_movk_i32 s6, 0x7fff
	v_add3_u32 v6, v27, v6, s6
	v_lshrrev_b32_e32 v6, 16, v6
	v_mov_b32_e32 v7, 0x7fc0
	v_cmp_o_f32_e64 s[6:7], v27, v27
	s_nop 1
	v_cndmask_b32_e64 v24, v7, v6, s[6:7]
	v_add_u32_e32 v6, v5, v3
	v_mov_b32_e32 v7, 0
	s_waitcnt lgkmcnt(0)
	v_lshl_add_u64 v[6:7], v[6:7], 1, s[12:13]
	global_store_short v[6:7], v24, off
	s_or_b64 exec, exec, s[8:9]
	s_and_saveexec_b64 s[8:9], s[4:5]
	s_cbranch_execnz .LBB158_39
	s_branch .LBB158_40
.LBB158_74:
	v_bfe_u32 v6, v22, 16, 1
	s_movk_i32 s6, 0x7fff
	v_add3_u32 v6, v22, v6, s6
	v_lshrrev_b32_e32 v6, 16, v6
	v_mov_b32_e32 v7, 0x7fc0
	v_cmp_o_f32_e64 s[6:7], v22, v22
	s_nop 1
	v_cndmask_b32_e64 v22, v7, v6, s[6:7]
	v_add_u32_e32 v6, v5, v0
	v_mov_b32_e32 v7, 0
	s_waitcnt lgkmcnt(0)
	v_lshl_add_u64 v[6:7], v[6:7], 1, s[12:13]
	global_store_short v[6:7], v22, off
	s_or_b64 exec, exec, s[8:9]
	s_and_saveexec_b64 s[8:9], s[0:1]
	s_cbranch_execz .LBB158_43
.LBB158_75:
	v_bfe_u32 v6, v20, 16, 1
	s_movk_i32 s6, 0x7fff
	v_add3_u32 v6, v20, v6, s6
	v_lshrrev_b32_e32 v6, 16, v6
	v_mov_b32_e32 v7, 0x7fc0
	v_cmp_o_f32_e64 s[6:7], v20, v20
	s_nop 1
	v_cndmask_b32_e64 v20, v7, v6, s[6:7]
	v_add_u32_e32 v6, v5, v2
	v_mov_b32_e32 v7, 0
	s_waitcnt lgkmcnt(0)
	v_lshl_add_u64 v[6:7], v[6:7], 1, s[12:13]
	global_store_short v[6:7], v20, off
	s_or_b64 exec, exec, s[8:9]
	s_and_saveexec_b64 s[8:9], s[2:3]
	s_cbranch_execz .LBB158_44
.LBB158_76:
	v_bfe_u32 v6, v18, 16, 1
	s_movk_i32 s6, 0x7fff
	v_add3_u32 v6, v18, v6, s6
	v_lshrrev_b32_e32 v6, 16, v6
	v_mov_b32_e32 v7, 0x7fc0
	v_cmp_o_f32_e64 s[6:7], v18, v18
	s_nop 1
	v_cndmask_b32_e64 v18, v7, v6, s[6:7]
	v_add_u32_e32 v6, v5, v3
	v_mov_b32_e32 v7, 0
	s_waitcnt lgkmcnt(0)
	v_lshl_add_u64 v[6:7], v[6:7], 1, s[12:13]
	global_store_short v[6:7], v18, off
	s_or_b64 exec, exec, s[8:9]
	s_and_saveexec_b64 s[8:9], s[4:5]
	s_cbranch_execnz .LBB158_45
	s_branch .LBB158_46
.LBB158_77:
	v_bfe_u32 v6, v23, 16, 1
	s_movk_i32 s6, 0x7fff
	v_add3_u32 v6, v23, v6, s6
	v_lshrrev_b32_e32 v6, 16, v6
	v_mov_b32_e32 v7, 0x7fc0
	v_cmp_o_f32_e64 s[6:7], v23, v23
	s_nop 1
	v_cndmask_b32_e64 v16, v7, v6, s[6:7]
	v_add_u32_e32 v6, v5, v0
	v_mov_b32_e32 v7, 0
	s_waitcnt lgkmcnt(0)
	v_lshl_add_u64 v[6:7], v[6:7], 1, s[12:13]
	global_store_short v[6:7], v16, off
	s_or_b64 exec, exec, s[8:9]
	s_and_saveexec_b64 s[8:9], s[0:1]
	s_cbranch_execz .LBB158_49
.LBB158_78:
	v_bfe_u32 v6, v21, 16, 1
	s_movk_i32 s6, 0x7fff
	v_add3_u32 v6, v21, v6, s6
	v_lshrrev_b32_e32 v6, 16, v6
	v_mov_b32_e32 v7, 0x7fc0
	v_cmp_o_f32_e64 s[6:7], v21, v21
	s_nop 1
	v_cndmask_b32_e64 v16, v7, v6, s[6:7]
	v_add_u32_e32 v6, v5, v2
	v_mov_b32_e32 v7, 0
	s_waitcnt lgkmcnt(0)
	v_lshl_add_u64 v[6:7], v[6:7], 1, s[12:13]
	global_store_short v[6:7], v16, off
	s_or_b64 exec, exec, s[8:9]
	s_and_saveexec_b64 s[8:9], s[2:3]
	s_cbranch_execz .LBB158_50
.LBB158_79:
	v_bfe_u32 v6, v19, 16, 1
	s_movk_i32 s6, 0x7fff
	v_add3_u32 v6, v19, v6, s6
	v_lshrrev_b32_e32 v6, 16, v6
	v_mov_b32_e32 v7, 0x7fc0
	v_cmp_o_f32_e64 s[6:7], v19, v19
	s_nop 1
	v_cndmask_b32_e64 v16, v7, v6, s[6:7]
	v_add_u32_e32 v6, v5, v3
	v_mov_b32_e32 v7, 0
	s_waitcnt lgkmcnt(0)
	v_lshl_add_u64 v[6:7], v[6:7], 1, s[12:13]
	global_store_short v[6:7], v16, off
	s_or_b64 exec, exec, s[8:9]
	s_and_saveexec_b64 s[8:9], s[4:5]
	s_cbranch_execnz .LBB158_51
	s_branch .LBB158_52
.LBB158_80:
	v_bfe_u32 v6, v14, 16, 1
	s_movk_i32 s6, 0x7fff
	v_add3_u32 v6, v14, v6, s6
	v_lshrrev_b32_e32 v6, 16, v6
	v_mov_b32_e32 v7, 0x7fc0
	v_cmp_o_f32_e64 s[6:7], v14, v14
	s_nop 1
	v_cndmask_b32_e64 v14, v7, v6, s[6:7]
	v_add_u32_e32 v6, v5, v0
	v_mov_b32_e32 v7, 0
	s_waitcnt lgkmcnt(0)
	v_lshl_add_u64 v[6:7], v[6:7], 1, s[12:13]
	global_store_short v[6:7], v14, off
	s_or_b64 exec, exec, s[8:9]
	s_and_saveexec_b64 s[8:9], s[0:1]
	s_cbranch_execz .LBB158_55
.LBB158_81:
	v_bfe_u32 v6, v12, 16, 1
	s_movk_i32 s6, 0x7fff
	v_add3_u32 v6, v12, v6, s6
	v_lshrrev_b32_e32 v6, 16, v6
	v_mov_b32_e32 v7, 0x7fc0
	v_cmp_o_f32_e64 s[6:7], v12, v12
	s_nop 1
	v_cndmask_b32_e64 v12, v7, v6, s[6:7]
	v_add_u32_e32 v6, v5, v2
	v_mov_b32_e32 v7, 0
	s_waitcnt lgkmcnt(0)
	v_lshl_add_u64 v[6:7], v[6:7], 1, s[12:13]
	global_store_short v[6:7], v12, off
	s_or_b64 exec, exec, s[8:9]
	s_and_saveexec_b64 s[8:9], s[2:3]
	s_cbranch_execz .LBB158_56
.LBB158_82:
	v_bfe_u32 v6, v10, 16, 1
	s_movk_i32 s6, 0x7fff
	v_add3_u32 v6, v10, v6, s6
	v_lshrrev_b32_e32 v6, 16, v6
	v_mov_b32_e32 v7, 0x7fc0
	v_cmp_o_f32_e64 s[6:7], v10, v10
	s_nop 1
	v_cndmask_b32_e64 v10, v7, v6, s[6:7]
	v_add_u32_e32 v6, v5, v3
	v_mov_b32_e32 v7, 0
	s_waitcnt lgkmcnt(0)
	v_lshl_add_u64 v[6:7], v[6:7], 1, s[12:13]
	global_store_short v[6:7], v10, off
	s_or_b64 exec, exec, s[8:9]
	s_and_saveexec_b64 s[8:9], s[4:5]
	s_cbranch_execnz .LBB158_57
	s_branch .LBB158_58
.LBB158_83:
	v_bfe_u32 v5, v15, 16, 1
	s_movk_i32 s8, 0x7fff
	v_add3_u32 v5, v15, v5, s8
	v_lshrrev_b32_e32 v5, 16, v5
	v_mov_b32_e32 v6, 0x7fc0
	v_cmp_o_f32_e32 vcc, v15, v15
	v_mov_b32_e32 v7, 0
	s_nop 0
	v_cndmask_b32_e32 v5, v6, v5, vcc
	v_add_u32_e32 v6, v1, v0
	s_waitcnt lgkmcnt(0)
	v_lshl_add_u64 v[6:7], v[6:7], 1, s[12:13]
	global_store_short v[6:7], v5, off
	s_or_b64 exec, exec, s[6:7]
	s_and_saveexec_b64 s[6:7], s[0:1]
	s_cbranch_execz .LBB158_61
.LBB158_84:
	v_bfe_u32 v0, v13, 16, 1
	s_movk_i32 s0, 0x7fff
	v_add3_u32 v0, v13, v0, s0
	v_lshrrev_b32_e32 v0, 16, v0
	v_mov_b32_e32 v5, 0x7fc0
	v_cmp_o_f32_e32 vcc, v13, v13
	v_add_u32_e32 v6, v1, v2
	v_mov_b32_e32 v7, 0
	v_cndmask_b32_e32 v0, v5, v0, vcc
	s_waitcnt lgkmcnt(0)
	v_lshl_add_u64 v[6:7], v[6:7], 1, s[12:13]
	global_store_short v[6:7], v0, off
	s_or_b64 exec, exec, s[6:7]
	s_and_saveexec_b64 s[0:1], s[2:3]
	s_cbranch_execz .LBB158_62
.LBB158_85:
	v_bfe_u32 v0, v11, 16, 1
	s_movk_i32 s2, 0x7fff
	v_add3_u32 v0, v11, v0, s2
	v_lshrrev_b32_e32 v0, 16, v0
	v_mov_b32_e32 v2, 0x7fc0
	v_cmp_o_f32_e32 vcc, v11, v11
	s_nop 1
	v_cndmask_b32_e32 v0, v2, v0, vcc
	v_add_u32_e32 v2, v1, v3
	v_mov_b32_e32 v3, 0
	s_waitcnt lgkmcnt(0)
	v_lshl_add_u64 v[2:3], v[2:3], 1, s[12:13]
	global_store_short v[2:3], v0, off
	s_or_b64 exec, exec, s[0:1]
	s_and_b64 exec, exec, s[4:5]
	s_cbranch_execnz .LBB158_63
	s_branch .LBB158_64
	.section	.rodata,"a",@progbits
	.p2align	6, 0x0
	.amdhsa_kernel _ZL12mul_mat_q4_0IN3c108BFloat16ELb1EEvPKvS3_PT_iiiii
		.amdhsa_group_segment_fixed_size 30336
		.amdhsa_private_segment_fixed_size 0
		.amdhsa_kernarg_size 44
		.amdhsa_user_sgpr_count 2
		.amdhsa_user_sgpr_dispatch_ptr 0
		.amdhsa_user_sgpr_queue_ptr 0
		.amdhsa_user_sgpr_kernarg_segment_ptr 1
		.amdhsa_user_sgpr_dispatch_id 0
		.amdhsa_user_sgpr_kernarg_preload_length 0
		.amdhsa_user_sgpr_kernarg_preload_offset 0
		.amdhsa_user_sgpr_private_segment_size 0
		.amdhsa_uses_dynamic_stack 0
		.amdhsa_enable_private_segment 0
		.amdhsa_system_sgpr_workgroup_id_x 1
		.amdhsa_system_sgpr_workgroup_id_y 1
		.amdhsa_system_sgpr_workgroup_id_z 0
		.amdhsa_system_sgpr_workgroup_info 0
		.amdhsa_system_vgpr_workitem_id 1
		.amdhsa_next_free_vgpr 176
		.amdhsa_next_free_sgpr 20
		.amdhsa_accum_offset 176
		.amdhsa_reserve_vcc 1
		.amdhsa_float_round_mode_32 0
		.amdhsa_float_round_mode_16_64 0
		.amdhsa_float_denorm_mode_32 3
		.amdhsa_float_denorm_mode_16_64 3
		.amdhsa_dx10_clamp 1
		.amdhsa_ieee_mode 1
		.amdhsa_fp16_overflow 0
		.amdhsa_tg_split 0
		.amdhsa_exception_fp_ieee_invalid_op 0
		.amdhsa_exception_fp_denorm_src 0
		.amdhsa_exception_fp_ieee_div_zero 0
		.amdhsa_exception_fp_ieee_overflow 0
		.amdhsa_exception_fp_ieee_underflow 0
		.amdhsa_exception_fp_ieee_inexact 0
		.amdhsa_exception_int_div_zero 0
	.end_amdhsa_kernel
	.section	.text._ZL12mul_mat_q4_0IN3c108BFloat16ELb1EEvPKvS3_PT_iiiii,"axG",@progbits,_ZL12mul_mat_q4_0IN3c108BFloat16ELb1EEvPKvS3_PT_iiiii,comdat
.Lfunc_end158:
	.size	_ZL12mul_mat_q4_0IN3c108BFloat16ELb1EEvPKvS3_PT_iiiii, .Lfunc_end158-_ZL12mul_mat_q4_0IN3c108BFloat16ELb1EEvPKvS3_PT_iiiii
                                        ; -- End function
	.section	.AMDGPU.csdata,"",@progbits
; Kernel info:
; codeLenInByte = 11296
; NumSgprs: 26
; NumVgprs: 176
; NumAgprs: 0
; TotalNumVgprs: 176
; ScratchSize: 0
; MemoryBound: 0
; FloatMode: 240
; IeeeMode: 1
; LDSByteSize: 30336 bytes/workgroup (compile time only)
; SGPRBlocks: 3
; VGPRBlocks: 21
; NumSGPRsForWavesPerEU: 26
; NumVGPRsForWavesPerEU: 176
; AccumOffset: 176
; Occupancy: 2
; WaveLimiterHint : 0
; COMPUTE_PGM_RSRC2:SCRATCH_EN: 0
; COMPUTE_PGM_RSRC2:USER_SGPR: 2
; COMPUTE_PGM_RSRC2:TRAP_HANDLER: 0
; COMPUTE_PGM_RSRC2:TGID_X_EN: 1
; COMPUTE_PGM_RSRC2:TGID_Y_EN: 1
; COMPUTE_PGM_RSRC2:TGID_Z_EN: 0
; COMPUTE_PGM_RSRC2:TIDIG_COMP_CNT: 1
; COMPUTE_PGM_RSRC3_GFX90A:ACCUM_OFFSET: 43
; COMPUTE_PGM_RSRC3_GFX90A:TG_SPLIT: 0
	.section	.text._ZL12mul_mat_q4_1IN3c108BFloat16ELb0EEvPKvS3_PT_iiiii,"axG",@progbits,_ZL12mul_mat_q4_1IN3c108BFloat16ELb0EEvPKvS3_PT_iiiii,comdat
	.globl	_ZL12mul_mat_q4_1IN3c108BFloat16ELb0EEvPKvS3_PT_iiiii ; -- Begin function _ZL12mul_mat_q4_1IN3c108BFloat16ELb0EEvPKvS3_PT_iiiii
	.p2align	8
	.type	_ZL12mul_mat_q4_1IN3c108BFloat16ELb0EEvPKvS3_PT_iiiii,@function
_ZL12mul_mat_q4_1IN3c108BFloat16ELb0EEvPKvS3_PT_iiiii: ; @_ZL12mul_mat_q4_1IN3c108BFloat16ELb0EEvPKvS3_PT_iiiii
; %bb.0:
	s_load_dword s7, s[0:1], 0x18
	s_load_dwordx4 s[8:11], s[0:1], 0x20
	s_waitcnt lgkmcnt(0)
	s_lshl_b32 s11, s3, 6
	v_bfe_u32 v61, v0, 10, 10
	s_cmp_gt_i32 s7, 31
	s_cbranch_scc1 .LBB159_2
; %bb.1:
	v_bfe_u32 v1, v0, 10, 10
	v_and_b32_e32 v60, 0x3ff, v0
	v_add_u32_e32 v65, s11, v1
	s_mov_b64 s[4:5], 0
	s_mov_b32 s3, 0
	s_branch .LBB159_3
.LBB159_2:
	s_mov_b64 s[4:5], -1
                                        ; implicit-def: $sgpr3
                                        ; implicit-def: $vgpr1
                                        ; implicit-def: $vgpr60
                                        ; implicit-def: $vgpr65
.LBB159_3:
	s_load_dwordx2 s[12:13], s[0:1], 0x10
	s_lshl_b32 s6, s2, 7
	s_andn2_b64 vcc, exec, s[4:5]
	v_mov_b32_e32 v9, s3
	v_mov_b32_e32 v19, s3
	;; [unrolled: 1-line block ×32, first 2 shown]
	s_cbranch_vccnz .LBB159_13
; %bb.4:
	s_ashr_i32 s4, s7, 31
	s_load_dwordx4 s[0:3], s[0:1], 0x0
	s_lshr_b32 s4, s4, 27
	s_ashr_i32 s5, s9, 31
	s_add_i32 s7, s7, s4
	s_lshr_b32 s5, s5, 27
	s_ashr_i32 s4, s7, 5
	s_add_i32 s5, s9, s5
	s_ashr_i32 s9, s5, 5
	s_mul_i32 s5, s4, s6
	s_mul_hi_i32 s14, s5, 20
	s_mul_i32 s5, s5, 20
	s_waitcnt lgkmcnt(0)
	s_add_u32 s0, s0, s5
	s_addc_u32 s1, s1, s14
	v_mul_lo_u32 v12, s4, v61
	s_lshl_b32 s14, s4, 3
	v_add_u32_e32 v14, s14, v12
	v_add_u32_e32 v16, s14, v14
	v_add_u32_e32 v18, s14, v16
	v_add_u32_e32 v20, s14, v18
	v_add_u32_e32 v22, s14, v20
	v_add_u32_e32 v24, s14, v22
	v_add_u32_e32 v26, s14, v24
	v_add_u32_e32 v28, s14, v26
	v_add_u32_e32 v30, s14, v28
	v_add_u32_e32 v32, s14, v30
	v_add_u32_e32 v34, s14, v32
	v_and_b32_e32 v60, 0x3ff, v0
	v_add_u32_e32 v36, s14, v34
	v_add_u32_e32 v38, s14, v36
	v_lshrrev_b32_e32 v87, 3, v60
	v_add_u32_e32 v40, s14, v38
	v_and_b32_e32 v44, 7, v60
	v_lshl_add_u32 v0, v61, 2, v87
	v_add_u32_e32 v42, s14, v40
	v_and_b32_e32 v1, 0x7fc, v0
	v_lshlrev_b32_e32 v3, 2, v44
	s_movk_i32 s14, 0x6200
	v_add3_u32 v4, v1, v3, s14
	v_add_u32_e32 v1, 32, v0
	v_mul_lo_u32 v46, s4, v0
	v_lshlrev_b32_e32 v5, 5, v0
	v_and_b32_e32 v6, 0xffc, v1
	v_lshlrev_b32_e32 v7, 5, v1
	v_add_u32_e32 v1, 64, v0
	v_add_u32_e32 v0, 0x60, v0
	v_mov_b32_e32 v11, 0
	v_lshlrev_b32_e32 v2, 2, v60
	s_movk_i32 s16, 0x84
	v_and_b32_e32 v9, 0xffc, v1
	v_lshlrev_b32_e32 v13, 5, v1
	v_and_b32_e32 v1, 0xffc, v0
	v_lshrrev_b32_e32 v8, 2, v60
	v_and_b32_e32 v10, 12, v2
	v_mad_u32_u24 v69, v61, s16, v2
	s_andn2_b32 s7, s7, 31
	v_add3_u32 v6, v6, v3, s14
	v_add3_u32 v9, v9, v3, s14
	;; [unrolled: 1-line block ×3, first 2 shown]
	v_and_b32_e32 v2, 28, v2
	v_mov_b32_e32 v3, v11
	v_add_u32_e32 v48, s7, v46
	v_lshl_add_u64 v[54:55], s[2:3], 0, v[2:3]
	v_lshl_add_u32 v2, v61, 3, v8
	v_add_u32_e32 v50, s7, v48
	v_and_b32_e32 v3, 63, v2
	v_add_u32_e32 v52, s7, v50
	s_add_i32 s7, s8, -1
	v_or_b32_e32 v21, s11, v3
	v_and_b32_e32 v2, 3, v60
	v_min_i32_e32 v21, s7, v21
	v_mad_u64_u32 v[56:57], s[14:15], v21, s9, v[2:3]
	v_lshlrev_b32_e32 v2, 2, v2
	v_add_u32_e32 v65, s11, v61
	v_lshl_or_b32 v2, v3, 4, v2
	v_lshlrev_b32_e32 v17, 5, v0
	v_cvt_f64_i32_e32 v[0:1], s7
	v_add_u32_e32 v89, 0x7280, v2
	v_cvt_f64_u32_e32 v[2:3], v65
	v_min_f64 v[2:3], v[2:3], v[0:1]
	v_cvt_i32_f64_e32 v2, v[2:3]
	v_mul_lo_u32 v90, s9, v2
	v_add_u32_e32 v2, 8, v65
	v_cvt_f64_u32_e32 v[2:3], v2
	v_min_f64 v[2:3], v[2:3], v[0:1]
	v_cvt_i32_f64_e32 v2, v[2:3]
	v_mul_lo_u32 v92, s9, v2
	;; [unrolled: 5-line block ×7, first 2 shown]
	v_add_u32_e32 v2, 56, v65
	v_cvt_f64_u32_e32 v[2:3], v2
	v_min_f64 v[0:1], v[2:3], v[0:1]
	v_and_b32_e32 v19, 31, v60
	v_lshlrev_b32_e32 v21, 7, v61
	v_cvt_i32_f64_e32 v0, v[0:1]
	v_lshl_or_b32 v19, v19, 2, v21
	v_mul_lo_u32 v104, s9, v0
	v_add_u32_e32 v0, 32, v60
	v_add_u32_e32 v1, 64, v60
	;; [unrolled: 1-line block ×11, first 2 shown]
	v_lshlrev_b32_e32 v3, 5, v60
	v_lshrrev_b32_e32 v107, 3, v0
	v_and_b32_e32 v2, 0x1fc, v2
	v_and_b32_e32 v1, 0x1fc, v1
	;; [unrolled: 1-line block ×4, first 2 shown]
	v_add_u32_e32 v2, v3, v2
	v_add_u32_e32 v1, v3, v1
	;; [unrolled: 1-line block ×4, first 2 shown]
	v_mov_b32_e32 v19, 0x7280
	s_mov_b32 s5, 0
	v_add_u32_e32 v70, 0x420, v69
	v_add_u32_e32 v71, 0x840, v69
	;; [unrolled: 1-line block ×15, first 2 shown]
	v_mul_u32_u24_e32 v106, 0x84, v60
	v_add_u32_e32 v108, 0x6e00, v2
	v_add_u32_e32 v109, 0x6a00, v1
	;; [unrolled: 1-line block ×5, first 2 shown]
	v_lshl_add_u32 v113, v61, 4, v19
	v_add_u32_e32 v114, 0x6e10, v2
	v_add_u32_e32 v115, 0x6a10, v1
	v_add_u32_e32 v116, 0x6610, v0
	v_add_u32_e32 v117, 0x6210, v3
	v_mad_u32_u24 v118, v60, s16, 64
	v_add_u32_e32 v119, v4, v5
	v_add_u32_e32 v120, v6, v7
	;; [unrolled: 1-line block ×4, first 2 shown]
	v_mov_b32_e32 v88, v11
	v_mov_b32_e32 v67, v11
	v_mov_b32_e32 v62, v11
	v_mov_b32_e32 v49, v11
	v_mov_b32_e32 v41, v11
	v_mov_b32_e32 v33, v11
	v_mov_b32_e32 v25, v11
	v_mov_b32_e32 v17, v11
	v_mov_b32_e32 v86, v11
	v_mov_b32_e32 v66, v11
	v_mov_b32_e32 v57, v11
	v_mov_b32_e32 v47, v11
	v_mov_b32_e32 v39, v11
	v_mov_b32_e32 v31, v11
	v_mov_b32_e32 v23, v11
	v_mov_b32_e32 v15, v11
	v_mov_b32_e32 v77, v11
	v_mov_b32_e32 v64, v11
	v_mov_b32_e32 v53, v11
	v_mov_b32_e32 v45, v11
	v_mov_b32_e32 v37, v11
	v_mov_b32_e32 v29, v11
	v_mov_b32_e32 v21, v11
	v_mov_b32_e32 v13, v11
	v_mov_b32_e32 v68, v11
	v_mov_b32_e32 v63, v11
	v_mov_b32_e32 v51, v11
	v_mov_b32_e32 v43, v11
	v_mov_b32_e32 v35, v11
	v_mov_b32_e32 v27, v11
	v_mov_b32_e32 v19, v11
	v_mov_b32_e32 v9, v11
	s_branch .LBB159_6
.LBB159_5:                              ;   in Loop: Header=BB159_6 Depth=1
	s_add_i32 s5, s5, 8
	s_cmp_ge_i32 s5, s4
	s_cbranch_scc1 .LBB159_12
.LBB159_6:                              ; =>This Loop Header: Depth=1
                                        ;     Child Loop BB159_7 Depth 2
                                        ;     Child Loop BB159_10 Depth 2
	s_mul_i32 s9, s5, 20
	s_mul_hi_u32 s7, s5, 20
	s_add_u32 s14, s0, s9
	s_addc_u32 s15, s1, s7
	v_mad_u64_u32 v[0:1], s[16:17], v8, 20, s[14:15]
	v_lshl_add_u64 v[0:1], v[0:1], 0, v[10:11]
	v_lshl_add_u64 v[0:1], v[0:1], 0, 4
	v_mad_u64_u32 v[2:3], s[16:17], v12, 20, v[0:1]
	v_mad_u64_u32 v[4:5], s[16:17], v14, 20, v[0:1]
	;; [unrolled: 1-line block ×8, first 2 shown]
	global_load_dword v132, v[2:3], off
	global_load_dword v133, v[4:5], off
	;; [unrolled: 1-line block ×7, first 2 shown]
                                        ; kill: killed $vgpr128_vgpr129
                                        ; kill: killed $vgpr126_vgpr127
	s_nop 0
	global_load_dword v130, v[130:131], off
	v_mad_u64_u32 v[2:3], s[16:17], v28, 20, v[0:1]
	v_mad_u64_u32 v[4:5], s[16:17], v30, 20, v[0:1]
	;; [unrolled: 1-line block ×8, first 2 shown]
	global_load_dword v131, v[2:3], off
	global_load_dword v139, v[4:5], off
	;; [unrolled: 1-line block ×8, first 2 shown]
	v_mad_u64_u32 v[0:1], s[14:15], v44, 20, s[14:15]
	v_mad_u64_u32 v[2:3], s[14:15], v46, 20, v[0:1]
	;; [unrolled: 1-line block ×5, first 2 shown]
	v_add_u32_e32 v128, s5, v87
	global_load_dword v146, v[2:3], off
	global_load_dword v147, v[4:5], off
	;; [unrolled: 1-line block ×4, first 2 shown]
	v_add_u32_e32 v0, v128, v90
	v_add_u32_e32 v2, v128, v92
	;; [unrolled: 1-line block ×5, first 2 shown]
	v_mad_i64_i32 v[0:1], s[14:15], v0, 36, v[54:55]
	v_mad_i64_i32 v[2:3], s[14:15], v2, 36, v[54:55]
	;; [unrolled: 1-line block ×5, first 2 shown]
	v_add_u32_e32 v124, v128, v100
	v_add_u32_e32 v126, v128, v102
	;; [unrolled: 1-line block ×3, first 2 shown]
	v_mad_i64_i32 v[124:125], s[14:15], v124, 36, v[54:55]
	v_mad_i64_i32 v[126:127], s[14:15], v126, 36, v[54:55]
	;; [unrolled: 1-line block ×3, first 2 shown]
	global_load_dword v150, v[0:1], off offset:4
	s_nop 0
	global_load_dword v2, v[2:3], off offset:4
	s_nop 0
	;; [unrolled: 2-line block ×3, first 2 shown]
	global_load_dword v4, v[6:7], off offset:4
	global_load_dword v5, v[58:59], off offset:4
	s_nop 0
	global_load_dword v6, v[124:125], off offset:4
	global_load_dword v7, v[126:127], off offset:4
	;; [unrolled: 1-line block ×3, first 2 shown]
	v_add_u32_e32 v123, s5, v56
	v_mad_u64_u32 v[0:1], s[14:15], v123, 36, s[2:3]
	global_load_dword v0, v[0:1], off
	s_mov_b32 s7, -4
	v_mov_b32_e32 v124, v113
	v_mov_b32_e32 v125, v112
	;; [unrolled: 1-line block ×6, first 2 shown]
	s_waitcnt vmcnt(28)
	ds_write_b32 v69, v132
	s_waitcnt vmcnt(27)
	ds_write_b32 v70, v133
	;; [unrolled: 2-line block ×29, first 2 shown]
	v_mov_b32_e32 v130, v108
	s_waitcnt lgkmcnt(0)
	s_barrier
.LBB159_7:                              ;   Parent Loop BB159_6 Depth=1
                                        ; =>  This Inner Loop Header: Depth=2
	ds_read_b128 v[0:3], v125
	ds_read_b128 v[4:7], v125 offset:16
	ds_read2_b32 v[58:59], v124 offset1:32
	ds_read_b32 v131, v127
	ds_read2_b32 v[134:135], v126 offset1:1
	ds_read2_b32 v[138:139], v126 offset0:2 offset1:3
	v_mov_b32_e32 v140, 0
	v_mov_b32_e32 v150, 0
	s_waitcnt lgkmcnt(2)
	v_pk_mul_f16 v141, v58, v131
	s_waitcnt lgkmcnt(1)
	v_and_b32_e32 v132, 0xf0f0f0f, v134
	v_lshrrev_b32_e32 v133, 4, v134
	v_and_b32_e32 v133, 0xf0f0f0f, v133
	v_dot4c_i32_i8_e32 v140, v132, v0
	v_dot4c_i32_i8_e32 v140, v133, v4
	v_and_b32_e32 v134, 0xf0f0f0f, v135
	v_lshrrev_b32_e32 v135, 4, v135
	v_and_b32_e32 v135, 0xf0f0f0f, v135
	v_dot4c_i32_i8_e32 v140, v134, v1
	v_dot4c_i32_i8_e32 v140, v135, v5
	s_waitcnt lgkmcnt(0)
	v_and_b32_e32 v136, 0xf0f0f0f, v138
	v_lshrrev_b32_e32 v137, 4, v138
	v_and_b32_e32 v137, 0xf0f0f0f, v137
	v_dot4c_i32_i8_e32 v140, v136, v2
	v_dot4c_i32_i8_e32 v140, v137, v6
	v_and_b32_e32 v138, 0xf0f0f0f, v139
	v_lshrrev_b32_e32 v139, 4, v139
	v_and_b32_e32 v139, 0xf0f0f0f, v139
	v_dot4c_i32_i8_e32 v140, v138, v3
	v_dot4c_i32_i8_e32 v140, v139, v7
	v_add_u32_e32 v154, 0x2108, v126
	v_mov_b32_e32 v156, 0
	v_mov_b32_e32 v163, 0
	v_cvt_f32_i32_e32 v140, v140
	s_add_i32 s7, s7, 4
	v_add_u32_e32 v127, 4, v127
	s_cmp_lt_u32 s7, 12
	v_fma_mix_f32 v140, v141, v140, v141 op_sel:[0,0,1] op_sel_hi:[1,0,1]
	v_add_u32_e32 v141, 0x1080, v126
	v_add_f32_e32 v88, v88, v140
	ds_read_b32 v140, v128
	ds_read2_b32 v[144:145], v141 offset1:1
	v_add_u32_e32 v128, 4, v128
	s_waitcnt lgkmcnt(0)
	v_and_b32_e32 v141, 0xf0f0f0f, v144
	v_lshrrev_b32_e32 v142, 4, v144
	v_and_b32_e32 v143, 0xf0f0f0f, v145
	v_lshrrev_b32_e32 v144, 4, v145
	v_add_u32_e32 v145, 0x1088, v126
	ds_read2_b32 v[146:147], v145 offset1:1
	v_and_b32_e32 v142, 0xf0f0f0f, v142
	v_dot4c_i32_i8_e32 v150, v141, v0
	v_dot4c_i32_i8_e32 v150, v142, v4
	v_and_b32_e32 v144, 0xf0f0f0f, v144
	v_dot4c_i32_i8_e32 v150, v143, v1
	v_dot4c_i32_i8_e32 v150, v144, v5
	s_waitcnt lgkmcnt(0)
	v_and_b32_e32 v145, 0xf0f0f0f, v146
	v_lshrrev_b32_e32 v146, 4, v146
	v_and_b32_e32 v146, 0xf0f0f0f, v146
	v_dot4c_i32_i8_e32 v150, v145, v2
	v_dot4c_i32_i8_e32 v150, v146, v6
	v_and_b32_e32 v148, 0xf0f0f0f, v147
	v_lshrrev_b32_e32 v147, 4, v147
	v_and_b32_e32 v149, 0xf0f0f0f, v147
	v_dot4c_i32_i8_e32 v150, v148, v3
	v_dot4c_i32_i8_e32 v150, v149, v7
	v_pk_mul_f16 v147, v58, v140
	s_nop 1
	v_cvt_f32_i32_e32 v150, v150
	v_fma_mix_f32 v147, v147, v150, v147 op_sel:[0,0,1] op_sel_hi:[1,0,1]
	s_nop 0
	v_add_f32_e32 v86, v86, v147
	v_add_u32_e32 v150, 0x2100, v126
	ds_read_b32 v147, v129
	ds_read2_b32 v[152:153], v150 offset1:1
	ds_read2_b32 v[158:159], v154 offset1:1
	v_add_u32_e32 v129, 4, v129
	s_waitcnt lgkmcnt(1)
	v_and_b32_e32 v150, 0xf0f0f0f, v152
	v_lshrrev_b32_e32 v151, 4, v152
	v_and_b32_e32 v151, 0xf0f0f0f, v151
	v_dot4c_i32_i8_e32 v156, v150, v0
	v_dot4c_i32_i8_e32 v156, v151, v4
	v_and_b32_e32 v152, 0xf0f0f0f, v153
	v_lshrrev_b32_e32 v153, 4, v153
	v_and_b32_e32 v153, 0xf0f0f0f, v153
	v_dot4c_i32_i8_e32 v156, v152, v1
	v_dot4c_i32_i8_e32 v156, v153, v5
	s_waitcnt lgkmcnt(0)
	v_and_b32_e32 v154, 0xf0f0f0f, v158
	v_lshrrev_b32_e32 v155, 4, v158
	v_and_b32_e32 v155, 0xf0f0f0f, v155
	v_dot4c_i32_i8_e32 v156, v154, v2
	v_dot4c_i32_i8_e32 v156, v155, v6
	v_and_b32_e32 v157, 0xf0f0f0f, v159
	v_lshrrev_b32_e32 v158, 4, v159
	v_and_b32_e32 v158, 0xf0f0f0f, v158
	v_dot4c_i32_i8_e32 v156, v157, v3
	v_dot4c_i32_i8_e32 v156, v158, v7
	v_pk_mul_f16 v159, v58, v147
	s_nop 1
	v_cvt_f32_i32_e32 v156, v156
	v_fma_mix_f32 v156, v159, v156, v159 op_sel:[0,0,1] op_sel_hi:[1,0,1]
	s_nop 0
	v_add_f32_e32 v77, v77, v156
	v_add_u32_e32 v159, 0x3180, v126
	ds_read_b32 v156, v130
	ds_read2_b32 v[160:161], v159 offset1:1
	v_add_u32_e32 v130, 4, v130
	s_waitcnt lgkmcnt(0)
	v_and_b32_e32 v159, 0xf0f0f0f, v160
	v_lshrrev_b32_e32 v160, 4, v160
	v_and_b32_e32 v160, 0xf0f0f0f, v160
	v_dot4c_i32_i8_e32 v163, v159, v0
	v_lshrrev_b32_e32 v0, 4, v161
	v_dot4c_i32_i8_e32 v163, v160, v4
	v_and_b32_e32 v4, 0xf0f0f0f, v161
	v_and_b32_e32 v161, 0xf0f0f0f, v0
	v_add_u32_e32 v0, 0x3188, v126
	v_dot4c_i32_i8_e32 v163, v4, v1
	ds_read2_b32 v[0:1], v0 offset1:1
	v_dot4c_i32_i8_e32 v163, v161, v5
	ds_read_b128 v[164:167], v125 offset:1024
	ds_read_b128 v[168:171], v125 offset:1040
	v_add_u32_e32 v126, 16, v126
	s_waitcnt lgkmcnt(2)
	v_and_b32_e32 v5, 0xf0f0f0f, v0
	v_lshrrev_b32_e32 v0, 4, v0
	v_and_b32_e32 v162, 0xf0f0f0f, v0
	v_dot4c_i32_i8_e32 v163, v5, v2
	v_dot4c_i32_i8_e32 v163, v162, v6
	v_and_b32_e32 v2, 0xf0f0f0f, v1
	v_lshrrev_b32_e32 v0, 4, v1
	v_and_b32_e32 v6, 0xf0f0f0f, v0
	v_dot4c_i32_i8_e32 v163, v2, v3
	v_dot4c_i32_i8_e32 v163, v6, v7
	v_pk_mul_f16 v0, v58, v156
	v_mov_b32_e32 v3, 0
	s_nop 0
	v_cvt_f32_i32_e32 v1, v163
	v_fma_mix_f32 v0, v0, v1, v0 op_sel:[0,0,1] op_sel_hi:[1,0,1]
	s_nop 0
	v_add_f32_e32 v68, v68, v0
	v_mov_b32_e32 v0, 0
	s_waitcnt lgkmcnt(1)
	v_dot4c_i32_i8_e32 v0, v132, v164
	s_waitcnt lgkmcnt(0)
	v_dot4c_i32_i8_e32 v0, v133, v168
	v_dot4c_i32_i8_e32 v0, v134, v165
	v_dot4c_i32_i8_e32 v0, v135, v169
	v_dot4c_i32_i8_e32 v0, v136, v166
	v_dot4c_i32_i8_e32 v0, v137, v170
	v_dot4c_i32_i8_e32 v0, v138, v167
	v_dot4c_i32_i8_e32 v0, v139, v171
	v_pk_mul_f16 v1, v131, v59
	s_nop 1
	v_cvt_f32_i32_e32 v0, v0
	v_fma_mix_f32 v0, v0, v1, v1 op_sel:[0,0,1] op_sel_hi:[0,1,1]
	v_add_f32_e32 v67, v67, v0
	v_mov_b32_e32 v0, 0
	v_dot4c_i32_i8_e32 v0, v141, v164
	v_dot4c_i32_i8_e32 v0, v142, v168
	v_dot4c_i32_i8_e32 v0, v143, v165
	v_dot4c_i32_i8_e32 v0, v144, v169
	v_dot4c_i32_i8_e32 v0, v145, v166
	v_dot4c_i32_i8_e32 v0, v146, v170
	v_dot4c_i32_i8_e32 v0, v148, v167
	v_dot4c_i32_i8_e32 v0, v149, v171
	v_pk_mul_f16 v1, v140, v59
	s_nop 1
	v_cvt_f32_i32_e32 v0, v0
	v_fma_mix_f32 v0, v0, v1, v1 op_sel:[0,0,1] op_sel_hi:[0,1,1]
	v_add_f32_e32 v66, v66, v0
	v_mov_b32_e32 v0, 0
	v_dot4c_i32_i8_e32 v0, v150, v164
	;; [unrolled: 14-line block ×3, first 2 shown]
	v_dot4c_i32_i8_e32 v0, v160, v168
	v_dot4c_i32_i8_e32 v0, v4, v165
	;; [unrolled: 1-line block ×7, first 2 shown]
	v_pk_mul_f16 v1, v156, v59
	s_nop 1
	v_cvt_f32_i32_e32 v0, v0
	v_fma_mix_f32 v0, v0, v1, v1 op_sel:[0,0,1] op_sel_hi:[0,1,1]
	v_add_f32_e32 v63, v63, v0
	ds_read_b128 v[164:167], v125 offset:2048
	ds_read_b128 v[168:171], v125 offset:2064
	ds_read2_b32 v[0:1], v124 offset0:64 offset1:96
	s_waitcnt lgkmcnt(2)
	v_dot4c_i32_i8_e32 v3, v132, v164
	s_waitcnt lgkmcnt(1)
	v_dot4c_i32_i8_e32 v3, v133, v168
	v_dot4c_i32_i8_e32 v3, v134, v165
	;; [unrolled: 1-line block ×7, first 2 shown]
	s_waitcnt lgkmcnt(0)
	v_pk_mul_f16 v7, v131, v0
	s_nop 0
	v_cvt_f32_i32_e32 v3, v3
	v_fma_mix_f32 v3, v3, v7, v7 op_sel:[0,0,1] op_sel_hi:[0,1,1]
	v_add_f32_e32 v62, v62, v3
	v_mov_b32_e32 v3, 0
	v_dot4c_i32_i8_e32 v3, v141, v164
	v_dot4c_i32_i8_e32 v3, v142, v168
	;; [unrolled: 1-line block ×8, first 2 shown]
	v_pk_mul_f16 v7, v140, v0
	s_nop 1
	v_cvt_f32_i32_e32 v3, v3
	v_fma_mix_f32 v3, v3, v7, v7 op_sel:[0,0,1] op_sel_hi:[0,1,1]
	v_add_f32_e32 v57, v57, v3
	v_mov_b32_e32 v3, 0
	v_dot4c_i32_i8_e32 v3, v150, v164
	v_dot4c_i32_i8_e32 v3, v151, v168
	;; [unrolled: 1-line block ×8, first 2 shown]
	v_pk_mul_f16 v7, v147, v0
	v_pk_mul_f16 v0, v156, v0
	s_nop 0
	v_cvt_f32_i32_e32 v3, v3
	v_fma_mix_f32 v3, v3, v7, v7 op_sel:[0,0,1] op_sel_hi:[0,1,1]
	v_add_f32_e32 v53, v53, v3
	v_mov_b32_e32 v3, 0
	v_dot4c_i32_i8_e32 v3, v159, v164
	v_dot4c_i32_i8_e32 v3, v160, v168
	;; [unrolled: 1-line block ×8, first 2 shown]
	ds_read_b128 v[164:167], v125 offset:3072
	ds_read_b128 v[168:171], v125 offset:3088
	s_nop 0
	v_cvt_f32_i32_e32 v3, v3
	v_fma_mix_f32 v0, v3, v0, v0 op_sel:[0,0,1] op_sel_hi:[0,1,1]
	v_add_f32_e32 v51, v51, v0
	v_mov_b32_e32 v0, 0
	s_waitcnt lgkmcnt(1)
	v_dot4c_i32_i8_e32 v0, v132, v164
	s_waitcnt lgkmcnt(0)
	v_dot4c_i32_i8_e32 v0, v133, v168
	v_dot4c_i32_i8_e32 v0, v134, v165
	;; [unrolled: 1-line block ×7, first 2 shown]
	v_pk_mul_f16 v3, v131, v1
	s_nop 1
	v_cvt_f32_i32_e32 v0, v0
	v_fma_mix_f32 v0, v0, v3, v3 op_sel:[0,0,1] op_sel_hi:[0,1,1]
	v_add_f32_e32 v49, v49, v0
	v_mov_b32_e32 v0, 0
	v_dot4c_i32_i8_e32 v0, v141, v164
	v_dot4c_i32_i8_e32 v0, v142, v168
	;; [unrolled: 1-line block ×8, first 2 shown]
	v_pk_mul_f16 v3, v140, v1
	s_nop 1
	v_cvt_f32_i32_e32 v0, v0
	v_fma_mix_f32 v0, v0, v3, v3 op_sel:[0,0,1] op_sel_hi:[0,1,1]
	v_add_f32_e32 v47, v47, v0
	v_mov_b32_e32 v0, 0
	v_dot4c_i32_i8_e32 v0, v150, v164
	v_dot4c_i32_i8_e32 v0, v151, v168
	;; [unrolled: 1-line block ×8, first 2 shown]
	v_pk_mul_f16 v3, v147, v1
	v_pk_mul_f16 v1, v156, v1
	s_nop 0
	v_cvt_f32_i32_e32 v0, v0
	v_fma_mix_f32 v0, v0, v3, v3 op_sel:[0,0,1] op_sel_hi:[0,1,1]
	v_add_f32_e32 v45, v45, v0
	v_mov_b32_e32 v0, 0
	v_dot4c_i32_i8_e32 v0, v159, v164
	v_dot4c_i32_i8_e32 v0, v160, v168
	;; [unrolled: 1-line block ×8, first 2 shown]
	v_mov_b32_e32 v3, 0
	s_nop 1
	v_cvt_f32_i32_e32 v0, v0
	v_fma_mix_f32 v0, v0, v1, v1 op_sel:[0,0,1] op_sel_hi:[0,1,1]
	v_add_f32_e32 v43, v43, v0
	ds_read_b128 v[164:167], v125 offset:4096
	ds_read_b128 v[168:171], v125 offset:4112
	ds_read2_b32 v[0:1], v124 offset0:128 offset1:160
	s_waitcnt lgkmcnt(2)
	v_dot4c_i32_i8_e32 v3, v132, v164
	s_waitcnt lgkmcnt(1)
	v_dot4c_i32_i8_e32 v3, v133, v168
	v_dot4c_i32_i8_e32 v3, v134, v165
	;; [unrolled: 1-line block ×7, first 2 shown]
	s_waitcnt lgkmcnt(0)
	v_pk_mul_f16 v7, v131, v0
	s_nop 0
	v_cvt_f32_i32_e32 v3, v3
	v_fma_mix_f32 v3, v3, v7, v7 op_sel:[0,0,1] op_sel_hi:[0,1,1]
	v_add_f32_e32 v41, v41, v3
	v_mov_b32_e32 v3, 0
	v_dot4c_i32_i8_e32 v3, v141, v164
	v_dot4c_i32_i8_e32 v3, v142, v168
	;; [unrolled: 1-line block ×8, first 2 shown]
	v_pk_mul_f16 v7, v140, v0
	s_nop 1
	v_cvt_f32_i32_e32 v3, v3
	v_fma_mix_f32 v3, v3, v7, v7 op_sel:[0,0,1] op_sel_hi:[0,1,1]
	v_add_f32_e32 v39, v39, v3
	v_mov_b32_e32 v3, 0
	v_dot4c_i32_i8_e32 v3, v150, v164
	v_dot4c_i32_i8_e32 v3, v151, v168
	v_dot4c_i32_i8_e32 v3, v152, v165
	v_dot4c_i32_i8_e32 v3, v153, v169
	v_dot4c_i32_i8_e32 v3, v154, v166
	v_dot4c_i32_i8_e32 v3, v155, v170
	v_dot4c_i32_i8_e32 v3, v157, v167
	v_dot4c_i32_i8_e32 v3, v158, v171
	v_pk_mul_f16 v7, v147, v0
	v_pk_mul_f16 v0, v156, v0
	s_nop 0
	v_cvt_f32_i32_e32 v3, v3
	v_fma_mix_f32 v3, v3, v7, v7 op_sel:[0,0,1] op_sel_hi:[0,1,1]
	v_add_f32_e32 v37, v37, v3
	v_mov_b32_e32 v3, 0
	v_dot4c_i32_i8_e32 v3, v159, v164
	v_dot4c_i32_i8_e32 v3, v160, v168
	;; [unrolled: 1-line block ×8, first 2 shown]
	ds_read_b128 v[164:167], v125 offset:5120
	ds_read_b128 v[168:171], v125 offset:5136
	s_nop 0
	v_cvt_f32_i32_e32 v3, v3
	v_fma_mix_f32 v0, v3, v0, v0 op_sel:[0,0,1] op_sel_hi:[0,1,1]
	v_add_f32_e32 v35, v35, v0
	v_mov_b32_e32 v0, 0
	s_waitcnt lgkmcnt(1)
	v_dot4c_i32_i8_e32 v0, v132, v164
	s_waitcnt lgkmcnt(0)
	v_dot4c_i32_i8_e32 v0, v133, v168
	v_dot4c_i32_i8_e32 v0, v134, v165
	;; [unrolled: 1-line block ×7, first 2 shown]
	v_pk_mul_f16 v3, v131, v1
	s_nop 1
	v_cvt_f32_i32_e32 v0, v0
	v_fma_mix_f32 v0, v0, v3, v3 op_sel:[0,0,1] op_sel_hi:[0,1,1]
	v_add_f32_e32 v33, v33, v0
	v_mov_b32_e32 v0, 0
	v_dot4c_i32_i8_e32 v0, v141, v164
	v_dot4c_i32_i8_e32 v0, v142, v168
	;; [unrolled: 1-line block ×8, first 2 shown]
	v_pk_mul_f16 v3, v140, v1
	s_nop 1
	v_cvt_f32_i32_e32 v0, v0
	v_fma_mix_f32 v0, v0, v3, v3 op_sel:[0,0,1] op_sel_hi:[0,1,1]
	v_add_f32_e32 v31, v31, v0
	v_mov_b32_e32 v0, 0
	v_dot4c_i32_i8_e32 v0, v150, v164
	v_dot4c_i32_i8_e32 v0, v151, v168
	;; [unrolled: 1-line block ×8, first 2 shown]
	v_pk_mul_f16 v3, v147, v1
	v_pk_mul_f16 v1, v156, v1
	s_nop 0
	v_cvt_f32_i32_e32 v0, v0
	v_fma_mix_f32 v0, v0, v3, v3 op_sel:[0,0,1] op_sel_hi:[0,1,1]
	v_add_f32_e32 v29, v29, v0
	v_mov_b32_e32 v0, 0
	v_dot4c_i32_i8_e32 v0, v159, v164
	v_dot4c_i32_i8_e32 v0, v160, v168
	;; [unrolled: 1-line block ×8, first 2 shown]
	v_mov_b32_e32 v3, 0
	s_nop 1
	v_cvt_f32_i32_e32 v0, v0
	v_fma_mix_f32 v0, v0, v1, v1 op_sel:[0,0,1] op_sel_hi:[0,1,1]
	v_add_f32_e32 v27, v27, v0
	ds_read_b128 v[164:167], v125 offset:6144
	ds_read_b128 v[168:171], v125 offset:6160
	ds_read2_b32 v[0:1], v124 offset0:192 offset1:224
	v_add_u32_e32 v124, 4, v124
	s_waitcnt lgkmcnt(2)
	v_dot4c_i32_i8_e32 v3, v132, v164
	s_waitcnt lgkmcnt(1)
	v_dot4c_i32_i8_e32 v3, v133, v168
	v_dot4c_i32_i8_e32 v3, v134, v165
	;; [unrolled: 1-line block ×7, first 2 shown]
	s_waitcnt lgkmcnt(0)
	v_pk_mul_f16 v7, v131, v0
	s_nop 0
	v_cvt_f32_i32_e32 v3, v3
	v_fma_mix_f32 v3, v3, v7, v7 op_sel:[0,0,1] op_sel_hi:[0,1,1]
	v_add_f32_e32 v25, v25, v3
	v_mov_b32_e32 v3, 0
	v_dot4c_i32_i8_e32 v3, v141, v164
	v_dot4c_i32_i8_e32 v3, v142, v168
	;; [unrolled: 1-line block ×8, first 2 shown]
	v_pk_mul_f16 v7, v140, v0
	s_nop 1
	v_cvt_f32_i32_e32 v3, v3
	v_fma_mix_f32 v3, v3, v7, v7 op_sel:[0,0,1] op_sel_hi:[0,1,1]
	v_add_f32_e32 v23, v23, v3
	v_mov_b32_e32 v3, 0
	v_dot4c_i32_i8_e32 v3, v150, v164
	v_dot4c_i32_i8_e32 v3, v151, v168
	;; [unrolled: 1-line block ×8, first 2 shown]
	v_pk_mul_f16 v7, v147, v0
	v_pk_mul_f16 v0, v156, v0
	s_nop 0
	v_cvt_f32_i32_e32 v3, v3
	v_fma_mix_f32 v3, v3, v7, v7 op_sel:[0,0,1] op_sel_hi:[0,1,1]
	v_add_f32_e32 v21, v21, v3
	v_mov_b32_e32 v3, 0
	v_dot4c_i32_i8_e32 v3, v159, v164
	v_dot4c_i32_i8_e32 v3, v160, v168
	;; [unrolled: 1-line block ×8, first 2 shown]
	ds_read_b128 v[164:167], v125 offset:7168
	ds_read_b128 v[168:171], v125 offset:7184
	v_add_u32_e32 v125, 32, v125
	v_cvt_f32_i32_e32 v3, v3
	v_fma_mix_f32 v0, v3, v0, v0 op_sel:[0,0,1] op_sel_hi:[0,1,1]
	v_add_f32_e32 v19, v19, v0
	v_mov_b32_e32 v0, 0
	s_waitcnt lgkmcnt(1)
	v_dot4c_i32_i8_e32 v0, v132, v164
	s_waitcnt lgkmcnt(0)
	v_dot4c_i32_i8_e32 v0, v133, v168
	v_dot4c_i32_i8_e32 v0, v134, v165
	;; [unrolled: 1-line block ×7, first 2 shown]
	v_pk_mul_f16 v3, v131, v1
	s_nop 1
	v_cvt_f32_i32_e32 v0, v0
	v_fma_mix_f32 v0, v0, v3, v3 op_sel:[0,0,1] op_sel_hi:[0,1,1]
	v_add_f32_e32 v17, v17, v0
	v_mov_b32_e32 v0, 0
	v_dot4c_i32_i8_e32 v0, v141, v164
	v_dot4c_i32_i8_e32 v0, v142, v168
	;; [unrolled: 1-line block ×8, first 2 shown]
	v_pk_mul_f16 v3, v140, v1
	s_nop 1
	v_cvt_f32_i32_e32 v0, v0
	v_fma_mix_f32 v0, v0, v3, v3 op_sel:[0,0,1] op_sel_hi:[0,1,1]
	v_add_f32_e32 v15, v15, v0
	v_mov_b32_e32 v0, 0
	v_dot4c_i32_i8_e32 v0, v150, v164
	v_dot4c_i32_i8_e32 v0, v151, v168
	v_dot4c_i32_i8_e32 v0, v152, v165
	v_dot4c_i32_i8_e32 v0, v153, v169
	v_dot4c_i32_i8_e32 v0, v154, v166
	v_dot4c_i32_i8_e32 v0, v155, v170
	v_dot4c_i32_i8_e32 v0, v157, v167
	v_dot4c_i32_i8_e32 v0, v158, v171
	v_pk_mul_f16 v3, v147, v1
	v_pk_mul_f16 v1, v156, v1
	s_nop 0
	v_cvt_f32_i32_e32 v0, v0
	v_fma_mix_f32 v0, v0, v3, v3 op_sel:[0,0,1] op_sel_hi:[0,1,1]
	v_add_f32_e32 v13, v13, v0
	v_mov_b32_e32 v0, 0
	v_dot4c_i32_i8_e32 v0, v159, v164
	v_dot4c_i32_i8_e32 v0, v160, v168
	;; [unrolled: 1-line block ×8, first 2 shown]
	s_nop 2
	v_cvt_f32_i32_e32 v0, v0
	v_fma_mix_f32 v0, v0, v1, v1 op_sel:[0,0,1] op_sel_hi:[0,1,1]
	v_add_f32_e32 v9, v9, v0
	s_cbranch_scc1 .LBB159_7
; %bb.8:                                ;   in Loop: Header=BB159_6 Depth=1
	s_or_b32 s7, s5, 4
	s_cmp_ge_i32 s7, s4
	s_barrier
	s_cbranch_scc1 .LBB159_5
; %bb.9:                                ;   in Loop: Header=BB159_6 Depth=1
	v_add_u32_e32 v128, s5, v107
	v_add_u32_e32 v0, v128, v90
	v_add_u32_e32 v2, v128, v92
	v_add_u32_e32 v4, v128, v94
	v_add_u32_e32 v6, v128, v96
	v_add_u32_e32 v58, v128, v98
	v_mad_i64_i32 v[0:1], s[14:15], v0, 36, v[54:55]
	v_mad_i64_i32 v[2:3], s[14:15], v2, 36, v[54:55]
	;; [unrolled: 1-line block ×5, first 2 shown]
	v_add_u32_e32 v124, v128, v100
	v_add_u32_e32 v126, v128, v102
	v_add_u32_e32 v128, v128, v104
	v_mad_i64_i32 v[124:125], s[14:15], v124, 36, v[54:55]
	v_mad_i64_i32 v[126:127], s[14:15], v126, 36, v[54:55]
	;; [unrolled: 1-line block ×3, first 2 shown]
	global_load_dword v130, v[0:1], off offset:4
	s_nop 0
	global_load_dword v2, v[2:3], off offset:4
	s_nop 0
	;; [unrolled: 2-line block ×3, first 2 shown]
	global_load_dword v4, v[6:7], off offset:4
	global_load_dword v5, v[58:59], off offset:4
	s_nop 0
	global_load_dword v6, v[124:125], off offset:4
                                        ; kill: killed $vgpr124_vgpr125
                                        ; kill: killed $vgpr58_vgpr59
	global_load_dword v7, v[126:127], off offset:4
	global_load_dword v58, v[128:129], off offset:4
	v_add_u32_e32 v0, 4, v123
	v_mad_u64_u32 v[0:1], s[14:15], v0, 36, s[2:3]
	global_load_dword v0, v[0:1], off
	s_mov_b32 s7, 12
	v_mov_b32_e32 v123, v113
	v_mov_b32_e32 v124, v112
	;; [unrolled: 1-line block ×7, first 2 shown]
	s_waitcnt vmcnt(8)
	ds_write_b32 v91, v130
	s_waitcnt vmcnt(7)
	ds_write_b32 v93, v2
	;; [unrolled: 2-line block ×9, first 2 shown]
	s_waitcnt lgkmcnt(0)
	s_barrier
.LBB159_10:                             ;   Parent Loop BB159_6 Depth=1
                                        ; =>  This Inner Loop Header: Depth=2
	ds_read_b128 v[0:3], v124
	ds_read_b128 v[4:7], v124 offset:16
	ds_read2_b32 v[58:59], v123 offset1:32
	ds_read_b32 v130, v126
	ds_read2_b32 v[134:135], v125 offset1:1
	ds_read2_b32 v[138:139], v125 offset0:2 offset1:3
	v_mov_b32_e32 v140, 0
	v_add_u32_e32 v144, 0x1088, v125
	v_mov_b32_e32 v146, 0
	s_waitcnt lgkmcnt(1)
	v_and_b32_e32 v131, 0xf0f0f0f, v134
	v_lshrrev_b32_e32 v132, 4, v134
	v_and_b32_e32 v132, 0xf0f0f0f, v132
	v_dot4c_i32_i8_e32 v140, v131, v0
	v_dot4c_i32_i8_e32 v140, v132, v4
	v_and_b32_e32 v133, 0xf0f0f0f, v135
	v_lshrrev_b32_e32 v134, 4, v135
	v_and_b32_e32 v134, 0xf0f0f0f, v134
	v_dot4c_i32_i8_e32 v140, v133, v1
	v_dot4c_i32_i8_e32 v140, v134, v5
	s_waitcnt lgkmcnt(0)
	v_and_b32_e32 v135, 0xf0f0f0f, v138
	v_lshrrev_b32_e32 v136, 4, v138
	v_and_b32_e32 v136, 0xf0f0f0f, v136
	v_dot4c_i32_i8_e32 v140, v135, v2
	v_dot4c_i32_i8_e32 v140, v136, v6
	v_and_b32_e32 v137, 0xf0f0f0f, v139
	v_lshrrev_b32_e32 v138, 4, v139
	v_and_b32_e32 v138, 0xf0f0f0f, v138
	v_dot4c_i32_i8_e32 v140, v137, v3
	v_dot4c_i32_i8_e32 v140, v138, v7
	v_pk_mul_f16 v139, v58, v130
	v_mov_b32_e32 v158, 0
	v_mov_b32_e32 v162, 0
	v_cvt_f32_i32_e32 v140, v140
	s_add_i32 s7, s7, 4
	v_add_u32_e32 v126, 4, v126
	s_cmp_lt_u32 s7, 28
	v_fma_mix_f32 v139, v139, v140, v139 op_sel:[0,0,1] op_sel_hi:[1,0,1]
	v_add_u32_e32 v140, 0x1080, v125
	v_add_f32_e32 v88, v88, v139
	ds_read_b32 v139, v127
	ds_read2_b32 v[142:143], v140 offset1:1
	ds_read2_b32 v[148:149], v144 offset1:1
	v_add_u32_e32 v127, 4, v127
	s_waitcnt lgkmcnt(1)
	v_and_b32_e32 v140, 0xf0f0f0f, v142
	v_lshrrev_b32_e32 v141, 4, v142
	v_and_b32_e32 v141, 0xf0f0f0f, v141
	v_dot4c_i32_i8_e32 v146, v140, v0
	v_dot4c_i32_i8_e32 v146, v141, v4
	v_and_b32_e32 v142, 0xf0f0f0f, v143
	v_lshrrev_b32_e32 v143, 4, v143
	v_and_b32_e32 v143, 0xf0f0f0f, v143
	v_dot4c_i32_i8_e32 v146, v142, v1
	v_dot4c_i32_i8_e32 v146, v143, v5
	s_waitcnt lgkmcnt(0)
	v_and_b32_e32 v144, 0xf0f0f0f, v148
	v_lshrrev_b32_e32 v145, 4, v148
	v_and_b32_e32 v145, 0xf0f0f0f, v145
	v_dot4c_i32_i8_e32 v146, v144, v2
	v_dot4c_i32_i8_e32 v146, v145, v6
	v_and_b32_e32 v147, 0xf0f0f0f, v149
	v_lshrrev_b32_e32 v148, 4, v149
	v_and_b32_e32 v148, 0xf0f0f0f, v148
	v_dot4c_i32_i8_e32 v146, v147, v3
	v_dot4c_i32_i8_e32 v146, v148, v7
	v_pk_mul_f16 v149, v58, v139
	s_nop 1
	v_cvt_f32_i32_e32 v146, v146
	v_fma_mix_f32 v146, v149, v146, v149 op_sel:[0,0,1] op_sel_hi:[1,0,1]
	s_nop 0
	v_add_f32_e32 v86, v86, v146
	v_add_u32_e32 v149, 0x2100, v125
	ds_read_b32 v146, v128
	ds_read2_b32 v[152:153], v149 offset1:1
	v_add_u32_e32 v128, 4, v128
	s_waitcnt lgkmcnt(0)
	v_and_b32_e32 v149, 0xf0f0f0f, v152
	v_lshrrev_b32_e32 v150, 4, v152
	v_and_b32_e32 v151, 0xf0f0f0f, v153
	v_lshrrev_b32_e32 v152, 4, v153
	v_add_u32_e32 v153, 0x2108, v125
	ds_read2_b32 v[154:155], v153 offset1:1
	v_and_b32_e32 v150, 0xf0f0f0f, v150
	v_dot4c_i32_i8_e32 v158, v149, v0
	v_dot4c_i32_i8_e32 v158, v150, v4
	v_and_b32_e32 v152, 0xf0f0f0f, v152
	v_dot4c_i32_i8_e32 v158, v151, v1
	v_dot4c_i32_i8_e32 v158, v152, v5
	s_waitcnt lgkmcnt(0)
	v_and_b32_e32 v153, 0xf0f0f0f, v154
	v_lshrrev_b32_e32 v154, 4, v154
	v_and_b32_e32 v154, 0xf0f0f0f, v154
	v_dot4c_i32_i8_e32 v158, v153, v2
	v_dot4c_i32_i8_e32 v158, v154, v6
	v_and_b32_e32 v156, 0xf0f0f0f, v155
	v_lshrrev_b32_e32 v155, 4, v155
	v_and_b32_e32 v157, 0xf0f0f0f, v155
	v_dot4c_i32_i8_e32 v158, v156, v3
	v_dot4c_i32_i8_e32 v158, v157, v7
	v_pk_mul_f16 v155, v58, v146
	s_nop 1
	v_cvt_f32_i32_e32 v158, v158
	v_fma_mix_f32 v155, v155, v158, v155 op_sel:[0,0,1] op_sel_hi:[1,0,1]
	s_nop 0
	v_add_f32_e32 v77, v77, v155
	v_add_u32_e32 v158, 0x3180, v125
	ds_read_b32 v155, v129
	ds_read2_b32 v[160:161], v158 offset1:1
	v_add_u32_e32 v129, 4, v129
	s_waitcnt lgkmcnt(0)
	v_and_b32_e32 v158, 0xf0f0f0f, v160
	v_lshrrev_b32_e32 v159, 4, v160
	v_and_b32_e32 v159, 0xf0f0f0f, v159
	v_dot4c_i32_i8_e32 v162, v158, v0
	v_lshrrev_b32_e32 v0, 4, v161
	v_dot4c_i32_i8_e32 v162, v159, v4
	v_and_b32_e32 v4, 0xf0f0f0f, v161
	v_and_b32_e32 v160, 0xf0f0f0f, v0
	v_add_u32_e32 v0, 0x3188, v125
	v_dot4c_i32_i8_e32 v162, v4, v1
	ds_read2_b32 v[0:1], v0 offset1:1
	v_dot4c_i32_i8_e32 v162, v160, v5
	v_add_u32_e32 v125, 16, v125
	s_waitcnt lgkmcnt(0)
	v_and_b32_e32 v5, 0xf0f0f0f, v0
	v_lshrrev_b32_e32 v0, 4, v0
	v_and_b32_e32 v161, 0xf0f0f0f, v0
	v_dot4c_i32_i8_e32 v162, v5, v2
	v_dot4c_i32_i8_e32 v162, v161, v6
	v_and_b32_e32 v2, 0xf0f0f0f, v1
	v_lshrrev_b32_e32 v0, 4, v1
	v_and_b32_e32 v6, 0xf0f0f0f, v0
	v_dot4c_i32_i8_e32 v162, v2, v3
	v_dot4c_i32_i8_e32 v162, v6, v7
	v_pk_mul_f16 v0, v58, v155
	v_mov_b32_e32 v3, 0
	s_nop 0
	v_cvt_f32_i32_e32 v1, v162
	ds_read_b128 v[162:165], v124 offset:1024
	ds_read_b128 v[166:169], v124 offset:1040
	v_fma_mix_f32 v0, v0, v1, v0 op_sel:[0,0,1] op_sel_hi:[1,0,1]
	s_nop 0
	v_add_f32_e32 v68, v68, v0
	v_mov_b32_e32 v0, 0
	s_waitcnt lgkmcnt(1)
	v_dot4c_i32_i8_e32 v0, v131, v162
	s_waitcnt lgkmcnt(0)
	v_dot4c_i32_i8_e32 v0, v132, v166
	v_dot4c_i32_i8_e32 v0, v133, v163
	v_dot4c_i32_i8_e32 v0, v134, v167
	v_dot4c_i32_i8_e32 v0, v135, v164
	v_dot4c_i32_i8_e32 v0, v136, v168
	v_dot4c_i32_i8_e32 v0, v137, v165
	v_dot4c_i32_i8_e32 v0, v138, v169
	v_pk_mul_f16 v1, v130, v59
	s_nop 1
	v_cvt_f32_i32_e32 v0, v0
	v_fma_mix_f32 v0, v0, v1, v1 op_sel:[0,0,1] op_sel_hi:[0,1,1]
	v_add_f32_e32 v67, v67, v0
	v_mov_b32_e32 v0, 0
	v_dot4c_i32_i8_e32 v0, v140, v162
	v_dot4c_i32_i8_e32 v0, v141, v166
	v_dot4c_i32_i8_e32 v0, v142, v163
	v_dot4c_i32_i8_e32 v0, v143, v167
	v_dot4c_i32_i8_e32 v0, v144, v164
	v_dot4c_i32_i8_e32 v0, v145, v168
	v_dot4c_i32_i8_e32 v0, v147, v165
	v_dot4c_i32_i8_e32 v0, v148, v169
	v_pk_mul_f16 v1, v139, v59
	s_nop 1
	v_cvt_f32_i32_e32 v0, v0
	v_fma_mix_f32 v0, v0, v1, v1 op_sel:[0,0,1] op_sel_hi:[0,1,1]
	v_add_f32_e32 v66, v66, v0
	v_mov_b32_e32 v0, 0
	v_dot4c_i32_i8_e32 v0, v149, v162
	;; [unrolled: 14-line block ×3, first 2 shown]
	v_dot4c_i32_i8_e32 v0, v159, v166
	v_dot4c_i32_i8_e32 v0, v4, v163
	v_dot4c_i32_i8_e32 v0, v160, v167
	v_dot4c_i32_i8_e32 v0, v5, v164
	v_dot4c_i32_i8_e32 v0, v161, v168
	v_dot4c_i32_i8_e32 v0, v2, v165
	v_dot4c_i32_i8_e32 v0, v6, v169
	v_pk_mul_f16 v1, v155, v59
	s_nop 1
	v_cvt_f32_i32_e32 v0, v0
	v_fma_mix_f32 v0, v0, v1, v1 op_sel:[0,0,1] op_sel_hi:[0,1,1]
	v_add_f32_e32 v63, v63, v0
	ds_read_b128 v[162:165], v124 offset:2048
	ds_read_b128 v[166:169], v124 offset:2064
	ds_read2_b32 v[0:1], v123 offset0:64 offset1:96
	s_waitcnt lgkmcnt(2)
	v_dot4c_i32_i8_e32 v3, v131, v162
	s_waitcnt lgkmcnt(1)
	v_dot4c_i32_i8_e32 v3, v132, v166
	v_dot4c_i32_i8_e32 v3, v133, v163
	;; [unrolled: 1-line block ×7, first 2 shown]
	s_waitcnt lgkmcnt(0)
	v_pk_mul_f16 v7, v130, v0
	s_nop 0
	v_cvt_f32_i32_e32 v3, v3
	v_fma_mix_f32 v3, v3, v7, v7 op_sel:[0,0,1] op_sel_hi:[0,1,1]
	v_add_f32_e32 v62, v62, v3
	v_mov_b32_e32 v3, 0
	v_dot4c_i32_i8_e32 v3, v140, v162
	v_dot4c_i32_i8_e32 v3, v141, v166
	;; [unrolled: 1-line block ×8, first 2 shown]
	v_pk_mul_f16 v7, v139, v0
	s_nop 1
	v_cvt_f32_i32_e32 v3, v3
	v_fma_mix_f32 v3, v3, v7, v7 op_sel:[0,0,1] op_sel_hi:[0,1,1]
	v_add_f32_e32 v57, v57, v3
	v_mov_b32_e32 v3, 0
	v_dot4c_i32_i8_e32 v3, v149, v162
	v_dot4c_i32_i8_e32 v3, v150, v166
	;; [unrolled: 1-line block ×8, first 2 shown]
	v_pk_mul_f16 v7, v146, v0
	v_pk_mul_f16 v0, v155, v0
	s_nop 0
	v_cvt_f32_i32_e32 v3, v3
	v_fma_mix_f32 v3, v3, v7, v7 op_sel:[0,0,1] op_sel_hi:[0,1,1]
	v_add_f32_e32 v53, v53, v3
	v_mov_b32_e32 v3, 0
	v_dot4c_i32_i8_e32 v3, v158, v162
	v_dot4c_i32_i8_e32 v3, v159, v166
	;; [unrolled: 1-line block ×8, first 2 shown]
	ds_read_b128 v[162:165], v124 offset:3072
	ds_read_b128 v[166:169], v124 offset:3088
	s_nop 0
	v_cvt_f32_i32_e32 v3, v3
	v_fma_mix_f32 v0, v3, v0, v0 op_sel:[0,0,1] op_sel_hi:[0,1,1]
	v_add_f32_e32 v51, v51, v0
	v_mov_b32_e32 v0, 0
	s_waitcnt lgkmcnt(1)
	v_dot4c_i32_i8_e32 v0, v131, v162
	s_waitcnt lgkmcnt(0)
	v_dot4c_i32_i8_e32 v0, v132, v166
	v_dot4c_i32_i8_e32 v0, v133, v163
	;; [unrolled: 1-line block ×7, first 2 shown]
	v_pk_mul_f16 v3, v130, v1
	s_nop 1
	v_cvt_f32_i32_e32 v0, v0
	v_fma_mix_f32 v0, v0, v3, v3 op_sel:[0,0,1] op_sel_hi:[0,1,1]
	v_add_f32_e32 v49, v49, v0
	v_mov_b32_e32 v0, 0
	v_dot4c_i32_i8_e32 v0, v140, v162
	v_dot4c_i32_i8_e32 v0, v141, v166
	v_dot4c_i32_i8_e32 v0, v142, v163
	v_dot4c_i32_i8_e32 v0, v143, v167
	v_dot4c_i32_i8_e32 v0, v144, v164
	v_dot4c_i32_i8_e32 v0, v145, v168
	v_dot4c_i32_i8_e32 v0, v147, v165
	v_dot4c_i32_i8_e32 v0, v148, v169
	v_pk_mul_f16 v3, v139, v1
	s_nop 1
	v_cvt_f32_i32_e32 v0, v0
	v_fma_mix_f32 v0, v0, v3, v3 op_sel:[0,0,1] op_sel_hi:[0,1,1]
	v_add_f32_e32 v47, v47, v0
	v_mov_b32_e32 v0, 0
	v_dot4c_i32_i8_e32 v0, v149, v162
	v_dot4c_i32_i8_e32 v0, v150, v166
	;; [unrolled: 1-line block ×8, first 2 shown]
	v_pk_mul_f16 v3, v146, v1
	v_pk_mul_f16 v1, v155, v1
	s_nop 0
	v_cvt_f32_i32_e32 v0, v0
	v_fma_mix_f32 v0, v0, v3, v3 op_sel:[0,0,1] op_sel_hi:[0,1,1]
	v_add_f32_e32 v45, v45, v0
	v_mov_b32_e32 v0, 0
	v_dot4c_i32_i8_e32 v0, v158, v162
	v_dot4c_i32_i8_e32 v0, v159, v166
	;; [unrolled: 1-line block ×8, first 2 shown]
	v_mov_b32_e32 v3, 0
	s_nop 1
	v_cvt_f32_i32_e32 v0, v0
	v_fma_mix_f32 v0, v0, v1, v1 op_sel:[0,0,1] op_sel_hi:[0,1,1]
	v_add_f32_e32 v43, v43, v0
	ds_read_b128 v[162:165], v124 offset:4096
	ds_read_b128 v[166:169], v124 offset:4112
	ds_read2_b32 v[0:1], v123 offset0:128 offset1:160
	s_waitcnt lgkmcnt(2)
	v_dot4c_i32_i8_e32 v3, v131, v162
	s_waitcnt lgkmcnt(1)
	v_dot4c_i32_i8_e32 v3, v132, v166
	v_dot4c_i32_i8_e32 v3, v133, v163
	;; [unrolled: 1-line block ×7, first 2 shown]
	s_waitcnt lgkmcnt(0)
	v_pk_mul_f16 v7, v130, v0
	s_nop 0
	v_cvt_f32_i32_e32 v3, v3
	v_fma_mix_f32 v3, v3, v7, v7 op_sel:[0,0,1] op_sel_hi:[0,1,1]
	v_add_f32_e32 v41, v41, v3
	v_mov_b32_e32 v3, 0
	v_dot4c_i32_i8_e32 v3, v140, v162
	v_dot4c_i32_i8_e32 v3, v141, v166
	;; [unrolled: 1-line block ×8, first 2 shown]
	v_pk_mul_f16 v7, v139, v0
	s_nop 1
	v_cvt_f32_i32_e32 v3, v3
	v_fma_mix_f32 v3, v3, v7, v7 op_sel:[0,0,1] op_sel_hi:[0,1,1]
	v_add_f32_e32 v39, v39, v3
	v_mov_b32_e32 v3, 0
	v_dot4c_i32_i8_e32 v3, v149, v162
	v_dot4c_i32_i8_e32 v3, v150, v166
	;; [unrolled: 1-line block ×8, first 2 shown]
	v_pk_mul_f16 v7, v146, v0
	v_pk_mul_f16 v0, v155, v0
	s_nop 0
	v_cvt_f32_i32_e32 v3, v3
	v_fma_mix_f32 v3, v3, v7, v7 op_sel:[0,0,1] op_sel_hi:[0,1,1]
	v_add_f32_e32 v37, v37, v3
	v_mov_b32_e32 v3, 0
	v_dot4c_i32_i8_e32 v3, v158, v162
	v_dot4c_i32_i8_e32 v3, v159, v166
	v_dot4c_i32_i8_e32 v3, v4, v163
	v_dot4c_i32_i8_e32 v3, v160, v167
	v_dot4c_i32_i8_e32 v3, v5, v164
	v_dot4c_i32_i8_e32 v3, v161, v168
	v_dot4c_i32_i8_e32 v3, v2, v165
	v_dot4c_i32_i8_e32 v3, v6, v169
	ds_read_b128 v[162:165], v124 offset:5120
	ds_read_b128 v[166:169], v124 offset:5136
	s_nop 0
	v_cvt_f32_i32_e32 v3, v3
	v_fma_mix_f32 v0, v3, v0, v0 op_sel:[0,0,1] op_sel_hi:[0,1,1]
	v_add_f32_e32 v35, v35, v0
	v_mov_b32_e32 v0, 0
	s_waitcnt lgkmcnt(1)
	v_dot4c_i32_i8_e32 v0, v131, v162
	s_waitcnt lgkmcnt(0)
	v_dot4c_i32_i8_e32 v0, v132, v166
	v_dot4c_i32_i8_e32 v0, v133, v163
	;; [unrolled: 1-line block ×7, first 2 shown]
	v_pk_mul_f16 v3, v130, v1
	s_nop 1
	v_cvt_f32_i32_e32 v0, v0
	v_fma_mix_f32 v0, v0, v3, v3 op_sel:[0,0,1] op_sel_hi:[0,1,1]
	v_add_f32_e32 v33, v33, v0
	v_mov_b32_e32 v0, 0
	v_dot4c_i32_i8_e32 v0, v140, v162
	v_dot4c_i32_i8_e32 v0, v141, v166
	;; [unrolled: 1-line block ×8, first 2 shown]
	v_pk_mul_f16 v3, v139, v1
	s_nop 1
	v_cvt_f32_i32_e32 v0, v0
	v_fma_mix_f32 v0, v0, v3, v3 op_sel:[0,0,1] op_sel_hi:[0,1,1]
	v_add_f32_e32 v31, v31, v0
	v_mov_b32_e32 v0, 0
	v_dot4c_i32_i8_e32 v0, v149, v162
	v_dot4c_i32_i8_e32 v0, v150, v166
	;; [unrolled: 1-line block ×8, first 2 shown]
	v_pk_mul_f16 v3, v146, v1
	v_pk_mul_f16 v1, v155, v1
	s_nop 0
	v_cvt_f32_i32_e32 v0, v0
	v_fma_mix_f32 v0, v0, v3, v3 op_sel:[0,0,1] op_sel_hi:[0,1,1]
	v_add_f32_e32 v29, v29, v0
	v_mov_b32_e32 v0, 0
	v_dot4c_i32_i8_e32 v0, v158, v162
	v_dot4c_i32_i8_e32 v0, v159, v166
	v_dot4c_i32_i8_e32 v0, v4, v163
	v_dot4c_i32_i8_e32 v0, v160, v167
	v_dot4c_i32_i8_e32 v0, v5, v164
	v_dot4c_i32_i8_e32 v0, v161, v168
	v_dot4c_i32_i8_e32 v0, v2, v165
	v_dot4c_i32_i8_e32 v0, v6, v169
	v_mov_b32_e32 v3, 0
	s_nop 1
	v_cvt_f32_i32_e32 v0, v0
	v_fma_mix_f32 v0, v0, v1, v1 op_sel:[0,0,1] op_sel_hi:[0,1,1]
	v_add_f32_e32 v27, v27, v0
	ds_read_b128 v[162:165], v124 offset:6144
	ds_read_b128 v[166:169], v124 offset:6160
	ds_read2_b32 v[0:1], v123 offset0:192 offset1:224
	v_add_u32_e32 v123, 4, v123
	s_waitcnt lgkmcnt(2)
	v_dot4c_i32_i8_e32 v3, v131, v162
	s_waitcnt lgkmcnt(1)
	v_dot4c_i32_i8_e32 v3, v132, v166
	v_dot4c_i32_i8_e32 v3, v133, v163
	;; [unrolled: 1-line block ×7, first 2 shown]
	s_waitcnt lgkmcnt(0)
	v_pk_mul_f16 v7, v130, v0
	s_nop 0
	v_cvt_f32_i32_e32 v3, v3
	v_fma_mix_f32 v3, v3, v7, v7 op_sel:[0,0,1] op_sel_hi:[0,1,1]
	v_add_f32_e32 v25, v25, v3
	v_mov_b32_e32 v3, 0
	v_dot4c_i32_i8_e32 v3, v140, v162
	v_dot4c_i32_i8_e32 v3, v141, v166
	;; [unrolled: 1-line block ×8, first 2 shown]
	v_pk_mul_f16 v7, v139, v0
	s_nop 1
	v_cvt_f32_i32_e32 v3, v3
	v_fma_mix_f32 v3, v3, v7, v7 op_sel:[0,0,1] op_sel_hi:[0,1,1]
	v_add_f32_e32 v23, v23, v3
	v_mov_b32_e32 v3, 0
	v_dot4c_i32_i8_e32 v3, v149, v162
	v_dot4c_i32_i8_e32 v3, v150, v166
	;; [unrolled: 1-line block ×8, first 2 shown]
	v_pk_mul_f16 v7, v146, v0
	v_pk_mul_f16 v0, v155, v0
	s_nop 0
	v_cvt_f32_i32_e32 v3, v3
	v_fma_mix_f32 v3, v3, v7, v7 op_sel:[0,0,1] op_sel_hi:[0,1,1]
	v_add_f32_e32 v21, v21, v3
	v_mov_b32_e32 v3, 0
	v_dot4c_i32_i8_e32 v3, v158, v162
	v_dot4c_i32_i8_e32 v3, v159, v166
	;; [unrolled: 1-line block ×8, first 2 shown]
	ds_read_b128 v[162:165], v124 offset:7168
	ds_read_b128 v[166:169], v124 offset:7184
	v_add_u32_e32 v124, 32, v124
	v_cvt_f32_i32_e32 v3, v3
	v_fma_mix_f32 v0, v3, v0, v0 op_sel:[0,0,1] op_sel_hi:[0,1,1]
	v_add_f32_e32 v19, v19, v0
	v_mov_b32_e32 v0, 0
	s_waitcnt lgkmcnt(1)
	v_dot4c_i32_i8_e32 v0, v131, v162
	s_waitcnt lgkmcnt(0)
	v_dot4c_i32_i8_e32 v0, v132, v166
	v_dot4c_i32_i8_e32 v0, v133, v163
	;; [unrolled: 1-line block ×7, first 2 shown]
	v_pk_mul_f16 v3, v130, v1
	s_nop 1
	v_cvt_f32_i32_e32 v0, v0
	v_fma_mix_f32 v0, v0, v3, v3 op_sel:[0,0,1] op_sel_hi:[0,1,1]
	v_add_f32_e32 v17, v17, v0
	v_mov_b32_e32 v0, 0
	v_dot4c_i32_i8_e32 v0, v140, v162
	v_dot4c_i32_i8_e32 v0, v141, v166
	;; [unrolled: 1-line block ×8, first 2 shown]
	v_pk_mul_f16 v3, v139, v1
	s_nop 1
	v_cvt_f32_i32_e32 v0, v0
	v_fma_mix_f32 v0, v0, v3, v3 op_sel:[0,0,1] op_sel_hi:[0,1,1]
	v_add_f32_e32 v15, v15, v0
	v_mov_b32_e32 v0, 0
	v_dot4c_i32_i8_e32 v0, v149, v162
	v_dot4c_i32_i8_e32 v0, v150, v166
	;; [unrolled: 1-line block ×8, first 2 shown]
	v_pk_mul_f16 v3, v146, v1
	v_pk_mul_f16 v1, v155, v1
	s_nop 0
	v_cvt_f32_i32_e32 v0, v0
	v_fma_mix_f32 v0, v0, v3, v3 op_sel:[0,0,1] op_sel_hi:[0,1,1]
	v_add_f32_e32 v13, v13, v0
	v_mov_b32_e32 v0, 0
	v_dot4c_i32_i8_e32 v0, v158, v162
	v_dot4c_i32_i8_e32 v0, v159, v166
	;; [unrolled: 1-line block ×8, first 2 shown]
	s_nop 2
	v_cvt_f32_i32_e32 v0, v0
	v_fma_mix_f32 v0, v0, v1, v1 op_sel:[0,0,1] op_sel_hi:[0,1,1]
	v_add_f32_e32 v9, v9, v0
	s_cbranch_scc1 .LBB159_10
; %bb.11:                               ;   in Loop: Header=BB159_6 Depth=1
	s_barrier
	s_branch .LBB159_5
.LBB159_12:
	v_mov_b32_e32 v1, v61
.LBB159_13:
	v_cmp_gt_u32_e32 vcc, s8, v65
	s_and_saveexec_b64 s[0:1], vcc
	s_cbranch_execz .LBB159_64
; %bb.14:
	v_add_u32_e32 v0, s6, v60
	v_mul_lo_u32 v5, v65, s10
	v_cmp_gt_u32_e32 vcc, s10, v0
	s_and_saveexec_b64 s[2:3], vcc
	s_cbranch_execz .LBB159_16
; %bb.15:
	v_bfe_u32 v2, v88, 16, 1
	s_movk_i32 s0, 0x7fff
	v_add3_u32 v2, v88, v2, s0
	v_lshrrev_b32_e32 v2, 16, v2
	v_mov_b32_e32 v3, 0x7fc0
	v_cmp_o_f32_e64 s[0:1], v88, v88
	s_nop 1
	v_cndmask_b32_e64 v4, v3, v2, s[0:1]
	v_add_u32_e32 v2, v0, v5
	v_mov_b32_e32 v3, 0
	s_waitcnt lgkmcnt(0)
	v_lshl_add_u64 v[2:3], v[2:3], 1, s[12:13]
	global_store_short v[2:3], v4, off
.LBB159_16:
	s_or_b64 exec, exec, s[2:3]
	v_add_u32_e32 v2, 32, v0
	v_cmp_gt_u32_e64 s[0:1], s10, v2
	s_and_saveexec_b64 s[4:5], s[0:1]
	s_cbranch_execz .LBB159_18
; %bb.17:
	v_bfe_u32 v3, v86, 16, 1
	s_movk_i32 s2, 0x7fff
	v_add3_u32 v3, v86, v3, s2
	v_lshrrev_b32_e32 v3, 16, v3
	v_mov_b32_e32 v4, 0x7fc0
	v_cmp_o_f32_e64 s[2:3], v86, v86
	v_add_u32_e32 v6, v2, v5
	v_mov_b32_e32 v7, 0
	v_cndmask_b32_e64 v3, v4, v3, s[2:3]
	s_waitcnt lgkmcnt(0)
	v_lshl_add_u64 v[6:7], v[6:7], 1, s[12:13]
	global_store_short v[6:7], v3, off
.LBB159_18:
	s_or_b64 exec, exec, s[4:5]
	v_add_u32_e32 v3, 64, v0
	v_cmp_gt_u32_e64 s[2:3], s10, v3
	s_and_saveexec_b64 s[6:7], s[2:3]
	s_cbranch_execz .LBB159_20
; %bb.19:
	v_bfe_u32 v4, v77, 16, 1
	s_movk_i32 s4, 0x7fff
	v_add3_u32 v4, v77, v4, s4
	v_lshrrev_b32_e32 v4, 16, v4
	v_mov_b32_e32 v6, 0x7fc0
	v_cmp_o_f32_e64 s[4:5], v77, v77
	v_mov_b32_e32 v7, 0
	s_nop 0
	v_cndmask_b32_e64 v4, v6, v4, s[4:5]
	v_add_u32_e32 v6, v3, v5
	s_waitcnt lgkmcnt(0)
	v_lshl_add_u64 v[6:7], v[6:7], 1, s[12:13]
	global_store_short v[6:7], v4, off
.LBB159_20:
	s_or_b64 exec, exec, s[6:7]
	v_add_u32_e32 v4, 0x60, v0
	v_cmp_gt_u32_e64 s[4:5], s10, v4
	s_and_saveexec_b64 s[14:15], s[4:5]
	s_cbranch_execz .LBB159_22
; %bb.21:
	v_bfe_u32 v6, v68, 16, 1
	s_movk_i32 s6, 0x7fff
	v_add3_u32 v6, v68, v6, s6
	v_lshrrev_b32_e32 v6, 16, v6
	v_mov_b32_e32 v7, 0x7fc0
	v_cmp_o_f32_e64 s[6:7], v68, v68
	s_nop 1
	v_cndmask_b32_e64 v8, v7, v6, s[6:7]
	v_add_u32_e32 v6, v4, v5
	v_mov_b32_e32 v7, 0
	s_waitcnt lgkmcnt(0)
	v_lshl_add_u64 v[6:7], v[6:7], 1, s[12:13]
	global_store_short v[6:7], v8, off
.LBB159_22:
	s_or_b64 exec, exec, s[14:15]
	v_add3_u32 v5, v1, s11, 8
	v_cmp_gt_u32_e64 s[6:7], s8, v5
	s_and_b64 exec, exec, s[6:7]
	s_cbranch_execz .LBB159_64
; %bb.23:
	v_mul_lo_u32 v5, v5, s10
	s_and_saveexec_b64 s[14:15], vcc
	s_cbranch_execnz .LBB159_65
; %bb.24:
	s_or_b64 exec, exec, s[14:15]
	s_and_saveexec_b64 s[14:15], s[0:1]
	s_cbranch_execnz .LBB159_66
.LBB159_25:
	s_or_b64 exec, exec, s[14:15]
	s_and_saveexec_b64 s[14:15], s[2:3]
	s_cbranch_execnz .LBB159_67
.LBB159_26:
	s_or_b64 exec, exec, s[14:15]
	s_and_saveexec_b64 s[14:15], s[4:5]
	s_cbranch_execz .LBB159_28
.LBB159_27:
	v_bfe_u32 v6, v63, 16, 1
	s_movk_i32 s6, 0x7fff
	v_add3_u32 v6, v63, v6, s6
	v_lshrrev_b32_e32 v6, 16, v6
	v_mov_b32_e32 v7, 0x7fc0
	v_cmp_o_f32_e64 s[6:7], v63, v63
	s_nop 1
	v_cndmask_b32_e64 v8, v7, v6, s[6:7]
	v_add_u32_e32 v6, v5, v4
	v_mov_b32_e32 v7, 0
	s_waitcnt lgkmcnt(0)
	v_lshl_add_u64 v[6:7], v[6:7], 1, s[12:13]
	global_store_short v[6:7], v8, off
.LBB159_28:
	s_or_b64 exec, exec, s[14:15]
	v_add3_u32 v5, v1, s11, 16
	v_cmp_gt_u32_e64 s[6:7], s8, v5
	s_and_b64 exec, exec, s[6:7]
	s_cbranch_execz .LBB159_64
; %bb.29:
	v_mul_lo_u32 v5, v5, s10
	s_and_saveexec_b64 s[14:15], vcc
	s_cbranch_execnz .LBB159_68
; %bb.30:
	s_or_b64 exec, exec, s[14:15]
	s_and_saveexec_b64 s[14:15], s[0:1]
	s_cbranch_execnz .LBB159_69
.LBB159_31:
	s_or_b64 exec, exec, s[14:15]
	s_and_saveexec_b64 s[14:15], s[2:3]
	s_cbranch_execnz .LBB159_70
.LBB159_32:
	s_or_b64 exec, exec, s[14:15]
	s_and_saveexec_b64 s[14:15], s[4:5]
	s_cbranch_execz .LBB159_34
.LBB159_33:
	v_bfe_u32 v6, v51, 16, 1
	s_movk_i32 s6, 0x7fff
	v_add3_u32 v6, v51, v6, s6
	v_lshrrev_b32_e32 v6, 16, v6
	v_mov_b32_e32 v7, 0x7fc0
	v_cmp_o_f32_e64 s[6:7], v51, v51
	s_nop 1
	v_cndmask_b32_e64 v8, v7, v6, s[6:7]
	v_add_u32_e32 v6, v5, v4
	v_mov_b32_e32 v7, 0
	s_waitcnt lgkmcnt(0)
	v_lshl_add_u64 v[6:7], v[6:7], 1, s[12:13]
	global_store_short v[6:7], v8, off
.LBB159_34:
	s_or_b64 exec, exec, s[14:15]
	v_add3_u32 v5, v1, s11, 24
	v_cmp_gt_u32_e64 s[6:7], s8, v5
	s_and_b64 exec, exec, s[6:7]
	s_cbranch_execz .LBB159_64
; %bb.35:
	v_mul_lo_u32 v5, v5, s10
	s_and_saveexec_b64 s[14:15], vcc
	s_cbranch_execnz .LBB159_71
; %bb.36:
	s_or_b64 exec, exec, s[14:15]
	s_and_saveexec_b64 s[14:15], s[0:1]
	s_cbranch_execnz .LBB159_72
.LBB159_37:
	s_or_b64 exec, exec, s[14:15]
	s_and_saveexec_b64 s[14:15], s[2:3]
	s_cbranch_execnz .LBB159_73
.LBB159_38:
	s_or_b64 exec, exec, s[14:15]
	s_and_saveexec_b64 s[14:15], s[4:5]
	s_cbranch_execz .LBB159_40
.LBB159_39:
	v_bfe_u32 v6, v43, 16, 1
	s_movk_i32 s6, 0x7fff
	v_add3_u32 v6, v43, v6, s6
	v_lshrrev_b32_e32 v6, 16, v6
	v_mov_b32_e32 v7, 0x7fc0
	v_cmp_o_f32_e64 s[6:7], v43, v43
	s_nop 1
	v_cndmask_b32_e64 v8, v7, v6, s[6:7]
	v_add_u32_e32 v6, v5, v4
	v_mov_b32_e32 v7, 0
	s_waitcnt lgkmcnt(0)
	v_lshl_add_u64 v[6:7], v[6:7], 1, s[12:13]
	global_store_short v[6:7], v8, off
.LBB159_40:
	s_or_b64 exec, exec, s[14:15]
	v_add3_u32 v5, v1, s11, 32
	v_cmp_gt_u32_e64 s[6:7], s8, v5
	s_and_b64 exec, exec, s[6:7]
	s_cbranch_execz .LBB159_64
; %bb.41:
	v_mul_lo_u32 v5, v5, s10
	s_and_saveexec_b64 s[14:15], vcc
	s_cbranch_execnz .LBB159_74
; %bb.42:
	s_or_b64 exec, exec, s[14:15]
	s_and_saveexec_b64 s[14:15], s[0:1]
	s_cbranch_execnz .LBB159_75
.LBB159_43:
	s_or_b64 exec, exec, s[14:15]
	s_and_saveexec_b64 s[14:15], s[2:3]
	s_cbranch_execnz .LBB159_76
.LBB159_44:
	s_or_b64 exec, exec, s[14:15]
	s_and_saveexec_b64 s[14:15], s[4:5]
	s_cbranch_execz .LBB159_46
.LBB159_45:
	v_bfe_u32 v6, v35, 16, 1
	s_movk_i32 s6, 0x7fff
	v_add3_u32 v6, v35, v6, s6
	v_lshrrev_b32_e32 v6, 16, v6
	v_mov_b32_e32 v7, 0x7fc0
	v_cmp_o_f32_e64 s[6:7], v35, v35
	s_nop 1
	v_cndmask_b32_e64 v8, v7, v6, s[6:7]
	v_add_u32_e32 v6, v5, v4
	v_mov_b32_e32 v7, 0
	s_waitcnt lgkmcnt(0)
	v_lshl_add_u64 v[6:7], v[6:7], 1, s[12:13]
	global_store_short v[6:7], v8, off
.LBB159_46:
	s_or_b64 exec, exec, s[14:15]
	v_add3_u32 v5, v1, s11, 40
	v_cmp_gt_u32_e64 s[6:7], s8, v5
	s_and_b64 exec, exec, s[6:7]
	s_cbranch_execz .LBB159_64
; %bb.47:
	v_mul_lo_u32 v5, v5, s10
	s_and_saveexec_b64 s[14:15], vcc
	s_cbranch_execnz .LBB159_77
; %bb.48:
	s_or_b64 exec, exec, s[14:15]
	s_and_saveexec_b64 s[14:15], s[0:1]
	s_cbranch_execnz .LBB159_78
.LBB159_49:
	s_or_b64 exec, exec, s[14:15]
	s_and_saveexec_b64 s[14:15], s[2:3]
	s_cbranch_execnz .LBB159_79
.LBB159_50:
	s_or_b64 exec, exec, s[14:15]
	s_and_saveexec_b64 s[14:15], s[4:5]
	s_cbranch_execz .LBB159_52
.LBB159_51:
	v_bfe_u32 v6, v27, 16, 1
	s_movk_i32 s6, 0x7fff
	v_add3_u32 v6, v27, v6, s6
	v_lshrrev_b32_e32 v6, 16, v6
	v_mov_b32_e32 v7, 0x7fc0
	v_cmp_o_f32_e64 s[6:7], v27, v27
	s_nop 1
	v_cndmask_b32_e64 v8, v7, v6, s[6:7]
	v_add_u32_e32 v6, v5, v4
	v_mov_b32_e32 v7, 0
	s_waitcnt lgkmcnt(0)
	v_lshl_add_u64 v[6:7], v[6:7], 1, s[12:13]
	global_store_short v[6:7], v8, off
.LBB159_52:
	s_or_b64 exec, exec, s[14:15]
	v_add3_u32 v5, v1, s11, 48
	v_cmp_gt_u32_e64 s[6:7], s8, v5
	s_and_b64 exec, exec, s[6:7]
	s_cbranch_execz .LBB159_64
; %bb.53:
	v_mul_lo_u32 v5, v5, s10
	s_and_saveexec_b64 s[14:15], vcc
	s_cbranch_execnz .LBB159_80
; %bb.54:
	s_or_b64 exec, exec, s[14:15]
	s_and_saveexec_b64 s[14:15], s[0:1]
	s_cbranch_execnz .LBB159_81
.LBB159_55:
	s_or_b64 exec, exec, s[14:15]
	s_and_saveexec_b64 s[14:15], s[2:3]
	s_cbranch_execnz .LBB159_82
.LBB159_56:
	s_or_b64 exec, exec, s[14:15]
	s_and_saveexec_b64 s[14:15], s[4:5]
	s_cbranch_execz .LBB159_58
.LBB159_57:
	v_bfe_u32 v6, v19, 16, 1
	s_movk_i32 s6, 0x7fff
	v_add3_u32 v6, v19, v6, s6
	v_lshrrev_b32_e32 v6, 16, v6
	v_mov_b32_e32 v7, 0x7fc0
	v_cmp_o_f32_e64 s[6:7], v19, v19
	s_nop 1
	v_cndmask_b32_e64 v8, v7, v6, s[6:7]
	v_add_u32_e32 v6, v5, v4
	v_mov_b32_e32 v7, 0
	s_waitcnt lgkmcnt(0)
	v_lshl_add_u64 v[6:7], v[6:7], 1, s[12:13]
	global_store_short v[6:7], v8, off
.LBB159_58:
	s_or_b64 exec, exec, s[14:15]
	v_add3_u32 v1, v1, s11, 56
	v_cmp_gt_u32_e64 s[6:7], s8, v1
	s_and_b64 exec, exec, s[6:7]
	s_cbranch_execz .LBB159_64
; %bb.59:
	v_mul_lo_u32 v1, v1, s10
	s_and_saveexec_b64 s[6:7], vcc
	s_cbranch_execnz .LBB159_83
; %bb.60:
	s_or_b64 exec, exec, s[6:7]
	s_and_saveexec_b64 s[6:7], s[0:1]
	s_cbranch_execnz .LBB159_84
.LBB159_61:
	s_or_b64 exec, exec, s[6:7]
	s_and_saveexec_b64 s[0:1], s[2:3]
	s_cbranch_execnz .LBB159_85
.LBB159_62:
	s_or_b64 exec, exec, s[0:1]
	s_and_b64 exec, exec, s[4:5]
	s_cbranch_execz .LBB159_64
.LBB159_63:
	v_bfe_u32 v0, v9, 16, 1
	s_movk_i32 s0, 0x7fff
	v_add3_u32 v0, v9, v0, s0
	v_lshrrev_b32_e32 v0, 16, v0
	v_mov_b32_e32 v2, 0x7fc0
	v_cmp_o_f32_e32 vcc, v9, v9
	s_nop 1
	v_cndmask_b32_e32 v2, v2, v0, vcc
	v_add_u32_e32 v0, v1, v4
	v_mov_b32_e32 v1, 0
	s_waitcnt lgkmcnt(0)
	v_lshl_add_u64 v[0:1], v[0:1], 1, s[12:13]
	global_store_short v[0:1], v2, off
.LBB159_64:
	s_endpgm
.LBB159_65:
	v_bfe_u32 v6, v67, 16, 1
	s_movk_i32 s6, 0x7fff
	v_add3_u32 v6, v67, v6, s6
	v_lshrrev_b32_e32 v6, 16, v6
	v_mov_b32_e32 v7, 0x7fc0
	v_cmp_o_f32_e64 s[6:7], v67, v67
	s_nop 1
	v_cndmask_b32_e64 v8, v7, v6, s[6:7]
	v_add_u32_e32 v6, v5, v0
	v_mov_b32_e32 v7, 0
	s_waitcnt lgkmcnt(0)
	v_lshl_add_u64 v[6:7], v[6:7], 1, s[12:13]
	global_store_short v[6:7], v8, off
	s_or_b64 exec, exec, s[14:15]
	s_and_saveexec_b64 s[14:15], s[0:1]
	s_cbranch_execz .LBB159_25
.LBB159_66:
	v_bfe_u32 v6, v66, 16, 1
	s_movk_i32 s6, 0x7fff
	v_add3_u32 v6, v66, v6, s6
	v_lshrrev_b32_e32 v6, 16, v6
	v_mov_b32_e32 v7, 0x7fc0
	v_cmp_o_f32_e64 s[6:7], v66, v66
	s_nop 1
	v_cndmask_b32_e64 v8, v7, v6, s[6:7]
	v_add_u32_e32 v6, v5, v2
	v_mov_b32_e32 v7, 0
	s_waitcnt lgkmcnt(0)
	v_lshl_add_u64 v[6:7], v[6:7], 1, s[12:13]
	global_store_short v[6:7], v8, off
	s_or_b64 exec, exec, s[14:15]
	s_and_saveexec_b64 s[14:15], s[2:3]
	s_cbranch_execz .LBB159_26
.LBB159_67:
	v_bfe_u32 v6, v64, 16, 1
	s_movk_i32 s6, 0x7fff
	v_add3_u32 v6, v64, v6, s6
	v_lshrrev_b32_e32 v6, 16, v6
	v_mov_b32_e32 v7, 0x7fc0
	v_cmp_o_f32_e64 s[6:7], v64, v64
	s_nop 1
	v_cndmask_b32_e64 v8, v7, v6, s[6:7]
	v_add_u32_e32 v6, v5, v3
	v_mov_b32_e32 v7, 0
	s_waitcnt lgkmcnt(0)
	v_lshl_add_u64 v[6:7], v[6:7], 1, s[12:13]
	global_store_short v[6:7], v8, off
	s_or_b64 exec, exec, s[14:15]
	s_and_saveexec_b64 s[14:15], s[4:5]
	s_cbranch_execnz .LBB159_27
	s_branch .LBB159_28
.LBB159_68:
	v_bfe_u32 v6, v62, 16, 1
	s_movk_i32 s6, 0x7fff
	v_add3_u32 v6, v62, v6, s6
	v_lshrrev_b32_e32 v6, 16, v6
	v_mov_b32_e32 v7, 0x7fc0
	v_cmp_o_f32_e64 s[6:7], v62, v62
	s_nop 1
	v_cndmask_b32_e64 v8, v7, v6, s[6:7]
	v_add_u32_e32 v6, v5, v0
	v_mov_b32_e32 v7, 0
	s_waitcnt lgkmcnt(0)
	v_lshl_add_u64 v[6:7], v[6:7], 1, s[12:13]
	global_store_short v[6:7], v8, off
	s_or_b64 exec, exec, s[14:15]
	s_and_saveexec_b64 s[14:15], s[0:1]
	s_cbranch_execz .LBB159_31
.LBB159_69:
	v_bfe_u32 v6, v57, 16, 1
	s_movk_i32 s6, 0x7fff
	v_add3_u32 v6, v57, v6, s6
	v_lshrrev_b32_e32 v6, 16, v6
	v_mov_b32_e32 v7, 0x7fc0
	v_cmp_o_f32_e64 s[6:7], v57, v57
	s_nop 1
	v_cndmask_b32_e64 v8, v7, v6, s[6:7]
	v_add_u32_e32 v6, v5, v2
	v_mov_b32_e32 v7, 0
	s_waitcnt lgkmcnt(0)
	v_lshl_add_u64 v[6:7], v[6:7], 1, s[12:13]
	global_store_short v[6:7], v8, off
	s_or_b64 exec, exec, s[14:15]
	s_and_saveexec_b64 s[14:15], s[2:3]
	s_cbranch_execz .LBB159_32
.LBB159_70:
	v_bfe_u32 v6, v53, 16, 1
	s_movk_i32 s6, 0x7fff
	v_add3_u32 v6, v53, v6, s6
	v_lshrrev_b32_e32 v6, 16, v6
	v_mov_b32_e32 v7, 0x7fc0
	v_cmp_o_f32_e64 s[6:7], v53, v53
	s_nop 1
	v_cndmask_b32_e64 v8, v7, v6, s[6:7]
	v_add_u32_e32 v6, v5, v3
	v_mov_b32_e32 v7, 0
	s_waitcnt lgkmcnt(0)
	v_lshl_add_u64 v[6:7], v[6:7], 1, s[12:13]
	global_store_short v[6:7], v8, off
	s_or_b64 exec, exec, s[14:15]
	s_and_saveexec_b64 s[14:15], s[4:5]
	s_cbranch_execnz .LBB159_33
	s_branch .LBB159_34
.LBB159_71:
	v_bfe_u32 v6, v49, 16, 1
	s_movk_i32 s6, 0x7fff
	v_add3_u32 v6, v49, v6, s6
	v_lshrrev_b32_e32 v6, 16, v6
	v_mov_b32_e32 v7, 0x7fc0
	v_cmp_o_f32_e64 s[6:7], v49, v49
	s_nop 1
	v_cndmask_b32_e64 v8, v7, v6, s[6:7]
	v_add_u32_e32 v6, v5, v0
	v_mov_b32_e32 v7, 0
	s_waitcnt lgkmcnt(0)
	v_lshl_add_u64 v[6:7], v[6:7], 1, s[12:13]
	global_store_short v[6:7], v8, off
	s_or_b64 exec, exec, s[14:15]
	s_and_saveexec_b64 s[14:15], s[0:1]
	s_cbranch_execz .LBB159_37
.LBB159_72:
	v_bfe_u32 v6, v47, 16, 1
	s_movk_i32 s6, 0x7fff
	v_add3_u32 v6, v47, v6, s6
	v_lshrrev_b32_e32 v6, 16, v6
	v_mov_b32_e32 v7, 0x7fc0
	v_cmp_o_f32_e64 s[6:7], v47, v47
	s_nop 1
	v_cndmask_b32_e64 v8, v7, v6, s[6:7]
	v_add_u32_e32 v6, v5, v2
	v_mov_b32_e32 v7, 0
	s_waitcnt lgkmcnt(0)
	v_lshl_add_u64 v[6:7], v[6:7], 1, s[12:13]
	global_store_short v[6:7], v8, off
	s_or_b64 exec, exec, s[14:15]
	s_and_saveexec_b64 s[14:15], s[2:3]
	s_cbranch_execz .LBB159_38
.LBB159_73:
	v_bfe_u32 v6, v45, 16, 1
	s_movk_i32 s6, 0x7fff
	v_add3_u32 v6, v45, v6, s6
	v_lshrrev_b32_e32 v6, 16, v6
	v_mov_b32_e32 v7, 0x7fc0
	v_cmp_o_f32_e64 s[6:7], v45, v45
	s_nop 1
	v_cndmask_b32_e64 v8, v7, v6, s[6:7]
	v_add_u32_e32 v6, v5, v3
	v_mov_b32_e32 v7, 0
	s_waitcnt lgkmcnt(0)
	v_lshl_add_u64 v[6:7], v[6:7], 1, s[12:13]
	global_store_short v[6:7], v8, off
	s_or_b64 exec, exec, s[14:15]
	s_and_saveexec_b64 s[14:15], s[4:5]
	s_cbranch_execnz .LBB159_39
	s_branch .LBB159_40
.LBB159_74:
	v_bfe_u32 v6, v41, 16, 1
	s_movk_i32 s6, 0x7fff
	v_add3_u32 v6, v41, v6, s6
	v_lshrrev_b32_e32 v6, 16, v6
	v_mov_b32_e32 v7, 0x7fc0
	v_cmp_o_f32_e64 s[6:7], v41, v41
	s_nop 1
	v_cndmask_b32_e64 v8, v7, v6, s[6:7]
	v_add_u32_e32 v6, v5, v0
	v_mov_b32_e32 v7, 0
	s_waitcnt lgkmcnt(0)
	v_lshl_add_u64 v[6:7], v[6:7], 1, s[12:13]
	global_store_short v[6:7], v8, off
	s_or_b64 exec, exec, s[14:15]
	s_and_saveexec_b64 s[14:15], s[0:1]
	s_cbranch_execz .LBB159_43
.LBB159_75:
	v_bfe_u32 v6, v39, 16, 1
	s_movk_i32 s6, 0x7fff
	v_add3_u32 v6, v39, v6, s6
	v_lshrrev_b32_e32 v6, 16, v6
	v_mov_b32_e32 v7, 0x7fc0
	v_cmp_o_f32_e64 s[6:7], v39, v39
	s_nop 1
	v_cndmask_b32_e64 v8, v7, v6, s[6:7]
	v_add_u32_e32 v6, v5, v2
	v_mov_b32_e32 v7, 0
	s_waitcnt lgkmcnt(0)
	v_lshl_add_u64 v[6:7], v[6:7], 1, s[12:13]
	global_store_short v[6:7], v8, off
	s_or_b64 exec, exec, s[14:15]
	s_and_saveexec_b64 s[14:15], s[2:3]
	s_cbranch_execz .LBB159_44
.LBB159_76:
	v_bfe_u32 v6, v37, 16, 1
	s_movk_i32 s6, 0x7fff
	v_add3_u32 v6, v37, v6, s6
	v_lshrrev_b32_e32 v6, 16, v6
	v_mov_b32_e32 v7, 0x7fc0
	v_cmp_o_f32_e64 s[6:7], v37, v37
	s_nop 1
	v_cndmask_b32_e64 v8, v7, v6, s[6:7]
	v_add_u32_e32 v6, v5, v3
	v_mov_b32_e32 v7, 0
	s_waitcnt lgkmcnt(0)
	v_lshl_add_u64 v[6:7], v[6:7], 1, s[12:13]
	global_store_short v[6:7], v8, off
	s_or_b64 exec, exec, s[14:15]
	s_and_saveexec_b64 s[14:15], s[4:5]
	s_cbranch_execnz .LBB159_45
	s_branch .LBB159_46
.LBB159_77:
	v_bfe_u32 v6, v33, 16, 1
	s_movk_i32 s6, 0x7fff
	v_add3_u32 v6, v33, v6, s6
	v_lshrrev_b32_e32 v6, 16, v6
	v_mov_b32_e32 v7, 0x7fc0
	v_cmp_o_f32_e64 s[6:7], v33, v33
	s_nop 1
	v_cndmask_b32_e64 v8, v7, v6, s[6:7]
	v_add_u32_e32 v6, v5, v0
	v_mov_b32_e32 v7, 0
	s_waitcnt lgkmcnt(0)
	v_lshl_add_u64 v[6:7], v[6:7], 1, s[12:13]
	global_store_short v[6:7], v8, off
	s_or_b64 exec, exec, s[14:15]
	s_and_saveexec_b64 s[14:15], s[0:1]
	s_cbranch_execz .LBB159_49
.LBB159_78:
	v_bfe_u32 v6, v31, 16, 1
	s_movk_i32 s6, 0x7fff
	v_add3_u32 v6, v31, v6, s6
	v_lshrrev_b32_e32 v6, 16, v6
	v_mov_b32_e32 v7, 0x7fc0
	v_cmp_o_f32_e64 s[6:7], v31, v31
	s_nop 1
	v_cndmask_b32_e64 v8, v7, v6, s[6:7]
	v_add_u32_e32 v6, v5, v2
	v_mov_b32_e32 v7, 0
	s_waitcnt lgkmcnt(0)
	v_lshl_add_u64 v[6:7], v[6:7], 1, s[12:13]
	global_store_short v[6:7], v8, off
	s_or_b64 exec, exec, s[14:15]
	s_and_saveexec_b64 s[14:15], s[2:3]
	s_cbranch_execz .LBB159_50
.LBB159_79:
	v_bfe_u32 v6, v29, 16, 1
	s_movk_i32 s6, 0x7fff
	v_add3_u32 v6, v29, v6, s6
	v_lshrrev_b32_e32 v6, 16, v6
	v_mov_b32_e32 v7, 0x7fc0
	v_cmp_o_f32_e64 s[6:7], v29, v29
	s_nop 1
	v_cndmask_b32_e64 v8, v7, v6, s[6:7]
	v_add_u32_e32 v6, v5, v3
	v_mov_b32_e32 v7, 0
	s_waitcnt lgkmcnt(0)
	v_lshl_add_u64 v[6:7], v[6:7], 1, s[12:13]
	global_store_short v[6:7], v8, off
	s_or_b64 exec, exec, s[14:15]
	s_and_saveexec_b64 s[14:15], s[4:5]
	s_cbranch_execnz .LBB159_51
	s_branch .LBB159_52
.LBB159_80:
	v_bfe_u32 v6, v25, 16, 1
	s_movk_i32 s6, 0x7fff
	v_add3_u32 v6, v25, v6, s6
	v_lshrrev_b32_e32 v6, 16, v6
	v_mov_b32_e32 v7, 0x7fc0
	v_cmp_o_f32_e64 s[6:7], v25, v25
	s_nop 1
	v_cndmask_b32_e64 v8, v7, v6, s[6:7]
	v_add_u32_e32 v6, v5, v0
	v_mov_b32_e32 v7, 0
	s_waitcnt lgkmcnt(0)
	v_lshl_add_u64 v[6:7], v[6:7], 1, s[12:13]
	global_store_short v[6:7], v8, off
	s_or_b64 exec, exec, s[14:15]
	s_and_saveexec_b64 s[14:15], s[0:1]
	s_cbranch_execz .LBB159_55
.LBB159_81:
	v_bfe_u32 v6, v23, 16, 1
	s_movk_i32 s6, 0x7fff
	v_add3_u32 v6, v23, v6, s6
	v_lshrrev_b32_e32 v6, 16, v6
	v_mov_b32_e32 v7, 0x7fc0
	v_cmp_o_f32_e64 s[6:7], v23, v23
	s_nop 1
	v_cndmask_b32_e64 v8, v7, v6, s[6:7]
	v_add_u32_e32 v6, v5, v2
	v_mov_b32_e32 v7, 0
	s_waitcnt lgkmcnt(0)
	v_lshl_add_u64 v[6:7], v[6:7], 1, s[12:13]
	global_store_short v[6:7], v8, off
	s_or_b64 exec, exec, s[14:15]
	s_and_saveexec_b64 s[14:15], s[2:3]
	s_cbranch_execz .LBB159_56
.LBB159_82:
	v_bfe_u32 v6, v21, 16, 1
	s_movk_i32 s6, 0x7fff
	v_add3_u32 v6, v21, v6, s6
	v_lshrrev_b32_e32 v6, 16, v6
	v_mov_b32_e32 v7, 0x7fc0
	v_cmp_o_f32_e64 s[6:7], v21, v21
	s_nop 1
	v_cndmask_b32_e64 v8, v7, v6, s[6:7]
	v_add_u32_e32 v6, v5, v3
	v_mov_b32_e32 v7, 0
	s_waitcnt lgkmcnt(0)
	v_lshl_add_u64 v[6:7], v[6:7], 1, s[12:13]
	global_store_short v[6:7], v8, off
	s_or_b64 exec, exec, s[14:15]
	s_and_saveexec_b64 s[14:15], s[4:5]
	s_cbranch_execnz .LBB159_57
	s_branch .LBB159_58
.LBB159_83:
	v_bfe_u32 v5, v17, 16, 1
	s_movk_i32 s8, 0x7fff
	v_add3_u32 v5, v17, v5, s8
	v_lshrrev_b32_e32 v5, 16, v5
	v_mov_b32_e32 v6, 0x7fc0
	v_cmp_o_f32_e32 vcc, v17, v17
	v_mov_b32_e32 v7, 0
	s_nop 0
	v_cndmask_b32_e32 v5, v6, v5, vcc
	v_add_u32_e32 v6, v1, v0
	s_waitcnt lgkmcnt(0)
	v_lshl_add_u64 v[6:7], v[6:7], 1, s[12:13]
	global_store_short v[6:7], v5, off
	s_or_b64 exec, exec, s[6:7]
	s_and_saveexec_b64 s[6:7], s[0:1]
	s_cbranch_execz .LBB159_61
.LBB159_84:
	v_bfe_u32 v0, v15, 16, 1
	s_movk_i32 s0, 0x7fff
	v_add3_u32 v0, v15, v0, s0
	v_lshrrev_b32_e32 v0, 16, v0
	v_mov_b32_e32 v5, 0x7fc0
	v_cmp_o_f32_e32 vcc, v15, v15
	v_add_u32_e32 v6, v1, v2
	v_mov_b32_e32 v7, 0
	v_cndmask_b32_e32 v0, v5, v0, vcc
	s_waitcnt lgkmcnt(0)
	v_lshl_add_u64 v[6:7], v[6:7], 1, s[12:13]
	global_store_short v[6:7], v0, off
	s_or_b64 exec, exec, s[6:7]
	s_and_saveexec_b64 s[0:1], s[2:3]
	s_cbranch_execz .LBB159_62
.LBB159_85:
	v_bfe_u32 v0, v13, 16, 1
	s_movk_i32 s2, 0x7fff
	v_add3_u32 v0, v13, v0, s2
	v_lshrrev_b32_e32 v0, 16, v0
	v_mov_b32_e32 v2, 0x7fc0
	v_cmp_o_f32_e32 vcc, v13, v13
	s_nop 1
	v_cndmask_b32_e32 v0, v2, v0, vcc
	v_add_u32_e32 v2, v1, v3
	v_mov_b32_e32 v3, 0
	s_waitcnt lgkmcnt(0)
	v_lshl_add_u64 v[2:3], v[2:3], 1, s[12:13]
	global_store_short v[2:3], v0, off
	s_or_b64 exec, exec, s[0:1]
	s_and_b64 exec, exec, s[4:5]
	s_cbranch_execnz .LBB159_63
	s_branch .LBB159_64
	.section	.rodata,"a",@progbits
	.p2align	6, 0x0
	.amdhsa_kernel _ZL12mul_mat_q4_1IN3c108BFloat16ELb0EEvPKvS3_PT_iiiii
		.amdhsa_group_segment_fixed_size 30336
		.amdhsa_private_segment_fixed_size 0
		.amdhsa_kernarg_size 44
		.amdhsa_user_sgpr_count 2
		.amdhsa_user_sgpr_dispatch_ptr 0
		.amdhsa_user_sgpr_queue_ptr 0
		.amdhsa_user_sgpr_kernarg_segment_ptr 1
		.amdhsa_user_sgpr_dispatch_id 0
		.amdhsa_user_sgpr_kernarg_preload_length 0
		.amdhsa_user_sgpr_kernarg_preload_offset 0
		.amdhsa_user_sgpr_private_segment_size 0
		.amdhsa_uses_dynamic_stack 0
		.amdhsa_enable_private_segment 0
		.amdhsa_system_sgpr_workgroup_id_x 1
		.amdhsa_system_sgpr_workgroup_id_y 1
		.amdhsa_system_sgpr_workgroup_id_z 0
		.amdhsa_system_sgpr_workgroup_info 0
		.amdhsa_system_vgpr_workitem_id 1
		.amdhsa_next_free_vgpr 172
		.amdhsa_next_free_sgpr 18
		.amdhsa_accum_offset 172
		.amdhsa_reserve_vcc 1
		.amdhsa_float_round_mode_32 0
		.amdhsa_float_round_mode_16_64 0
		.amdhsa_float_denorm_mode_32 3
		.amdhsa_float_denorm_mode_16_64 3
		.amdhsa_dx10_clamp 1
		.amdhsa_ieee_mode 1
		.amdhsa_fp16_overflow 0
		.amdhsa_tg_split 0
		.amdhsa_exception_fp_ieee_invalid_op 0
		.amdhsa_exception_fp_denorm_src 0
		.amdhsa_exception_fp_ieee_div_zero 0
		.amdhsa_exception_fp_ieee_overflow 0
		.amdhsa_exception_fp_ieee_underflow 0
		.amdhsa_exception_fp_ieee_inexact 0
		.amdhsa_exception_int_div_zero 0
	.end_amdhsa_kernel
	.section	.text._ZL12mul_mat_q4_1IN3c108BFloat16ELb0EEvPKvS3_PT_iiiii,"axG",@progbits,_ZL12mul_mat_q4_1IN3c108BFloat16ELb0EEvPKvS3_PT_iiiii,comdat
.Lfunc_end159:
	.size	_ZL12mul_mat_q4_1IN3c108BFloat16ELb0EEvPKvS3_PT_iiiii, .Lfunc_end159-_ZL12mul_mat_q4_1IN3c108BFloat16ELb0EEvPKvS3_PT_iiiii
                                        ; -- End function
	.section	.AMDGPU.csdata,"",@progbits
; Kernel info:
; codeLenInByte = 11828
; NumSgprs: 24
; NumVgprs: 172
; NumAgprs: 0
; TotalNumVgprs: 172
; ScratchSize: 0
; MemoryBound: 0
; FloatMode: 240
; IeeeMode: 1
; LDSByteSize: 30336 bytes/workgroup (compile time only)
; SGPRBlocks: 2
; VGPRBlocks: 21
; NumSGPRsForWavesPerEU: 24
; NumVGPRsForWavesPerEU: 172
; AccumOffset: 172
; Occupancy: 2
; WaveLimiterHint : 0
; COMPUTE_PGM_RSRC2:SCRATCH_EN: 0
; COMPUTE_PGM_RSRC2:USER_SGPR: 2
; COMPUTE_PGM_RSRC2:TRAP_HANDLER: 0
; COMPUTE_PGM_RSRC2:TGID_X_EN: 1
; COMPUTE_PGM_RSRC2:TGID_Y_EN: 1
; COMPUTE_PGM_RSRC2:TGID_Z_EN: 0
; COMPUTE_PGM_RSRC2:TIDIG_COMP_CNT: 1
; COMPUTE_PGM_RSRC3_GFX90A:ACCUM_OFFSET: 42
; COMPUTE_PGM_RSRC3_GFX90A:TG_SPLIT: 0
	.section	.text._ZL12mul_mat_q4_1IN3c108BFloat16ELb1EEvPKvS3_PT_iiiii,"axG",@progbits,_ZL12mul_mat_q4_1IN3c108BFloat16ELb1EEvPKvS3_PT_iiiii,comdat
	.globl	_ZL12mul_mat_q4_1IN3c108BFloat16ELb1EEvPKvS3_PT_iiiii ; -- Begin function _ZL12mul_mat_q4_1IN3c108BFloat16ELb1EEvPKvS3_PT_iiiii
	.p2align	8
	.type	_ZL12mul_mat_q4_1IN3c108BFloat16ELb1EEvPKvS3_PT_iiiii,@function
_ZL12mul_mat_q4_1IN3c108BFloat16ELb1EEvPKvS3_PT_iiiii: ; @_ZL12mul_mat_q4_1IN3c108BFloat16ELb1EEvPKvS3_PT_iiiii
; %bb.0:
	s_load_dwordx4 s[8:11], s[0:1], 0x18
	s_load_dword s14, s[0:1], 0x28
	s_lshl_b32 s15, s3, 6
	v_bfe_u32 v57, v0, 10, 10
	s_waitcnt lgkmcnt(0)
	s_cmp_gt_i32 s8, 31
	s_cbranch_scc1 .LBB160_2
; %bb.1:
	v_bfe_u32 v1, v0, 10, 10
	v_and_b32_e32 v53, 0x3ff, v0
	v_add_u32_e32 v67, s15, v1
	s_mov_b64 s[4:5], 0
	s_mov_b32 s3, 0
	s_branch .LBB160_3
.LBB160_2:
	s_mov_b64 s[4:5], -1
                                        ; implicit-def: $sgpr3
                                        ; implicit-def: $vgpr1
                                        ; implicit-def: $vgpr53
                                        ; implicit-def: $vgpr67
.LBB160_3:
	s_load_dwordx2 s[12:13], s[0:1], 0x10
	s_lshl_b32 s6, s2, 7
	s_andn2_b64 vcc, exec, s[4:5]
	v_mov_b32_e32 v9, s3
	v_mov_b32_e32 v19, s3
	;; [unrolled: 1-line block ×32, first 2 shown]
	s_cbranch_vccnz .LBB160_13
; %bb.4:
	s_ashr_i32 s4, s8, 31
	s_load_dwordx4 s[0:3], s[0:1], 0x0
	s_lshr_b32 s4, s4, 27
	s_ashr_i32 s5, s11, 31
	s_add_i32 s4, s8, s4
	s_lshr_b32 s5, s5, 27
	s_ashr_i32 s4, s4, 5
	s_add_i32 s5, s11, s5
	s_ashr_i32 s8, s5, 5
	s_mul_i32 s5, s4, s6
	s_mul_hi_i32 s7, s5, 20
	s_mul_i32 s5, s5, 20
	s_waitcnt lgkmcnt(0)
	s_add_u32 s0, s0, s5
	s_addc_u32 s1, s1, s7
	s_not_b32 s5, s6
	s_add_i32 s9, s5, s9
	v_and_b32_e32 v53, 0x3ff, v0
	v_lshlrev_b32_e32 v0, 2, v53
	v_min_i32_e32 v1, s9, v57
	s_movk_i32 s7, 0x84
	v_add_u32_e32 v4, 8, v57
	v_mul_lo_u32 v12, v1, s4
	v_mad_u64_u32 v[14:15], s[16:17], v1, s7, v[0:1]
	v_min_i32_e32 v1, s9, v4
	v_add_u32_e32 v5, 16, v57
	v_mul_lo_u32 v16, v1, s4
	v_mad_u64_u32 v[18:19], s[16:17], v1, s7, v[0:1]
	v_min_i32_e32 v1, s9, v5
	v_add_u32_e32 v6, 24, v57
	v_mul_lo_u32 v20, v1, s4
	v_mad_u64_u32 v[22:23], s[16:17], v1, s7, v[0:1]
	v_min_i32_e32 v1, s9, v6
	v_add_u32_e32 v7, 32, v57
	v_mul_lo_u32 v24, v1, s4
	v_mad_u64_u32 v[26:27], s[16:17], v1, s7, v[0:1]
	v_min_i32_e32 v1, s9, v7
	v_add_u32_e32 v9, 40, v57
	v_mul_lo_u32 v28, v1, s4
	v_mad_u64_u32 v[30:31], s[16:17], v1, s7, v[0:1]
	v_min_i32_e32 v1, s9, v9
	v_add_u32_e32 v13, 48, v57
	v_mul_lo_u32 v32, v1, s4
	v_mad_u64_u32 v[34:35], s[16:17], v1, s7, v[0:1]
	v_min_i32_e32 v1, s9, v13
	v_add_u32_e32 v15, 56, v57
	v_mul_lo_u32 v36, v1, s4
	v_mad_u64_u32 v[38:39], s[16:17], v1, s7, v[0:1]
	v_min_i32_e32 v1, s9, v15
	v_mul_lo_u32 v40, v1, s4
	v_mad_u64_u32 v[42:43], s[16:17], v1, s7, v[0:1]
	v_add_u32_e32 v1, 64, v57
	v_min_i32_e32 v1, s9, v1
	v_mul_lo_u32 v44, v1, s4
	v_mad_u64_u32 v[46:47], s[16:17], v1, s7, v[0:1]
	v_add_u32_e32 v1, 0x48, v57
	v_min_i32_e32 v1, s9, v1
	;; [unrolled: 4-line block ×8, first 2 shown]
	v_lshrrev_b32_e32 v77, 3, v53
	v_mul_lo_u32 v72, v1, s4
	v_mad_u64_u32 v[74:75], s[16:17], v1, s7, v[0:1]
	v_lshl_add_u32 v1, v57, 2, v77
	v_min_i32_e32 v2, s9, v1
	v_ashrrev_i32_e32 v3, 31, v2
	v_lshrrev_b32_e32 v3, 30, v3
	v_and_b32_e32 v76, 7, v53
	v_mul_lo_u32 v78, v2, s4
	v_add_u32_e32 v3, v2, v3
	v_lshlrev_b32_e32 v21, 5, v2
	v_add_u32_e32 v2, 32, v1
	v_and_b32_e32 v3, -4, v3
	v_lshlrev_b32_e32 v17, 2, v76
	s_movk_i32 s11, 0x6200
	v_min_i32_e32 v2, s9, v2
	v_add3_u32 v19, v3, v17, s11
	v_ashrrev_i32_e32 v3, 31, v2
	v_lshrrev_b32_e32 v3, 30, v3
	v_mul_lo_u32 v80, v2, s4
	v_add_u32_e32 v3, v2, v3
	v_lshlrev_b32_e32 v25, 5, v2
	v_add_u32_e32 v2, 64, v1
	v_and_b32_e32 v3, -4, v3
	v_min_i32_e32 v2, s9, v2
	v_add3_u32 v23, v3, v17, s11
	v_ashrrev_i32_e32 v3, 31, v2
	v_add_u32_e32 v1, 0x60, v1
	v_lshrrev_b32_e32 v3, 30, v3
	v_min_i32_e32 v1, s9, v1
	v_mul_lo_u32 v82, v2, s4
	v_add_u32_e32 v3, v2, v3
	v_lshlrev_b32_e32 v29, 5, v2
	v_ashrrev_i32_e32 v2, 31, v1
	v_mov_b32_e32 v11, 0
	v_lshrrev_b32_e32 v2, 30, v2
	v_lshrrev_b32_e32 v8, 2, v53
	v_and_b32_e32 v10, 12, v0
	v_mul_lo_u32 v84, v1, s4
	v_add_u32_e32 v2, v1, v2
	v_lshlrev_b32_e32 v31, 5, v1
	v_and_b32_e32 v0, 28, v0
	v_mov_b32_e32 v1, v11
	v_lshl_add_u64 v[86:87], s[2:3], 0, v[0:1]
	v_lshl_add_u32 v0, v57, 3, v8
	v_and_b32_e32 v1, 63, v0
	s_add_i32 s9, s10, -1
	v_or_b32_e32 v35, s15, v1
	v_and_b32_e32 v0, 3, v53
	v_min_i32_e32 v35, s9, v35
	v_mad_u64_u32 v[88:89], s[16:17], v35, s8, v[0:1]
	v_lshlrev_b32_e32 v0, 2, v0
	v_and_b32_e32 v3, -4, v3
	v_and_b32_e32 v2, -4, v2
	v_add_u32_e32 v67, s15, v57
	v_lshl_or_b32 v0, v1, 4, v0
	v_add3_u32 v27, v3, v17, s11
	v_add3_u32 v17, v2, v17, s11
	v_cvt_f64_i32_e32 v[2:3], s9
	v_add_u32_e32 v83, 0x7280, v0
	v_cvt_f64_u32_e32 v[0:1], v67
	v_and_b32_e32 v33, 31, v53
	v_min_f64 v[0:1], v[0:1], v[2:3]
	v_cvt_i32_f64_e32 v0, v[0:1]
	v_lshlrev_b32_e32 v33, 2, v33
	v_lshlrev_b32_e32 v35, 7, v57
	v_mul_lo_u32 v85, s8, v0
	v_or_b32_e32 v0, v35, v33
	v_add_u32_e32 v89, 0x4200, v0
	v_add_u32_e32 v0, 8, v67
	v_cvt_f64_u32_e32 v[0:1], v0
	v_min_f64 v[0:1], v[0:1], v[2:3]
	v_cvt_i32_f64_e32 v0, v[0:1]
	v_mul_lo_u32 v92, s8, v0
	v_lshl_or_b32 v0, v4, 7, v33
	v_add_u32_e32 v93, 0x4200, v0
	v_add_u32_e32 v0, 16, v67
	v_cvt_f64_u32_e32 v[0:1], v0
	v_min_f64 v[0:1], v[0:1], v[2:3]
	v_cvt_i32_f64_e32 v0, v[0:1]
	v_mul_lo_u32 v94, s8, v0
	v_lshl_or_b32 v0, v5, 7, v33
	;; [unrolled: 7-line block ×7, first 2 shown]
	v_add_u32_e32 v105, 0x4200, v0
	v_add_u32_e32 v0, 32, v53
	;; [unrolled: 1-line block ×4, first 2 shown]
	v_lshlrev_b32_e32 v3, 5, v53
	v_lshrrev_b32_e32 v107, 3, v0
	v_and_b32_e32 v2, 0x1fc, v2
	v_and_b32_e32 v1, 0x1fc, v1
	;; [unrolled: 1-line block ×4, first 2 shown]
	v_add_u32_e32 v2, v3, v2
	v_add_u32_e32 v1, v3, v1
	;; [unrolled: 1-line block ×4, first 2 shown]
	v_mov_b32_e32 v4, 0x7280
	s_mov_b32 s5, 0
	v_mul_u32_u24_e32 v106, 0x84, v53
	v_add_u32_e32 v108, 0x6e00, v2
	v_add_u32_e32 v109, 0x6a00, v1
	;; [unrolled: 1-line block ×5, first 2 shown]
	v_lshl_add_u32 v113, v57, 4, v4
	v_add_u32_e32 v114, 0x6e10, v2
	v_add_u32_e32 v115, 0x6a10, v1
	;; [unrolled: 1-line block ×4, first 2 shown]
	v_mad_u32_u24 v118, v53, s7, 64
	v_add_u32_e32 v119, v19, v21
	v_add_u32_e32 v120, v23, v25
	;; [unrolled: 1-line block ×4, first 2 shown]
	v_mov_b32_e32 v81, v11
	v_mov_b32_e32 v71, v11
	;; [unrolled: 1-line block ×32, first 2 shown]
	s_branch .LBB160_6
.LBB160_5:                              ;   in Loop: Header=BB160_6 Depth=1
	s_add_i32 s5, s5, 8
	s_cmp_ge_i32 s5, s4
	s_cbranch_scc1 .LBB160_12
.LBB160_6:                              ; =>This Loop Header: Depth=1
                                        ;     Child Loop BB160_7 Depth 2
                                        ;     Child Loop BB160_10 Depth 2
	s_mul_i32 s8, s5, 20
	s_mul_hi_u32 s7, s5, 20
	s_add_u32 s8, s0, s8
	s_addc_u32 s9, s1, s7
	v_mad_u64_u32 v[0:1], s[16:17], v8, 20, s[8:9]
	v_lshl_add_u64 v[0:1], v[0:1], 0, v[10:11]
	v_lshl_add_u64 v[0:1], v[0:1], 0, 4
	v_mad_i64_i32 v[2:3], s[16:17], v12, 20, v[0:1]
	v_mad_i64_i32 v[4:5], s[16:17], v16, 20, v[0:1]
	;; [unrolled: 1-line block ×8, first 2 shown]
	global_load_dword v132, v[2:3], off
	global_load_dword v133, v[4:5], off
	;; [unrolled: 1-line block ×7, first 2 shown]
                                        ; kill: killed $vgpr128_vgpr129
                                        ; kill: killed $vgpr126_vgpr127
	s_nop 0
	global_load_dword v130, v[130:131], off
	v_mad_i64_i32 v[2:3], s[16:17], v44, 20, v[0:1]
	v_mad_i64_i32 v[4:5], s[16:17], v48, 20, v[0:1]
	;; [unrolled: 1-line block ×8, first 2 shown]
	global_load_dword v131, v[2:3], off
	global_load_dword v139, v[4:5], off
	;; [unrolled: 1-line block ×8, first 2 shown]
	v_mad_u64_u32 v[0:1], s[8:9], v76, 20, s[8:9]
	v_mad_i64_i32 v[2:3], s[8:9], v78, 20, v[0:1]
	v_mad_i64_i32 v[4:5], s[8:9], v80, 20, v[0:1]
	;; [unrolled: 1-line block ×4, first 2 shown]
	v_add_u32_e32 v128, s5, v77
	global_load_dword v146, v[2:3], off
	global_load_dword v147, v[4:5], off
	;; [unrolled: 1-line block ×4, first 2 shown]
	v_add_u32_e32 v0, v128, v85
	v_add_u32_e32 v2, v128, v92
	;; [unrolled: 1-line block ×5, first 2 shown]
	v_mad_i64_i32 v[0:1], s[8:9], v0, 36, v[86:87]
	v_mad_i64_i32 v[2:3], s[8:9], v2, 36, v[86:87]
	;; [unrolled: 1-line block ×5, first 2 shown]
	v_add_u32_e32 v124, v128, v100
	v_add_u32_e32 v126, v128, v102
	v_add_u32_e32 v128, v128, v104
	v_mad_i64_i32 v[124:125], s[8:9], v124, 36, v[86:87]
	v_mad_i64_i32 v[126:127], s[8:9], v126, 36, v[86:87]
	;; [unrolled: 1-line block ×3, first 2 shown]
	global_load_dword v150, v[0:1], off offset:4
	s_nop 0
	global_load_dword v2, v[2:3], off offset:4
	s_nop 0
	;; [unrolled: 2-line block ×3, first 2 shown]
	global_load_dword v4, v[6:7], off offset:4
	global_load_dword v5, v[90:91], off offset:4
	s_nop 0
	global_load_dword v6, v[124:125], off offset:4
	global_load_dword v7, v[126:127], off offset:4
	;; [unrolled: 1-line block ×3, first 2 shown]
	v_add_u32_e32 v123, s5, v88
	v_mad_u64_u32 v[0:1], s[8:9], v123, 36, s[2:3]
	global_load_dword v0, v[0:1], off
	v_mov_b32_e32 v124, v113
	v_mov_b32_e32 v125, v112
	s_mov_b32 s7, -4
	v_mov_b32_e32 v126, v106
	v_mov_b32_e32 v127, v111
	;; [unrolled: 1-line block ×4, first 2 shown]
	s_waitcnt vmcnt(28)
	ds_write_b32 v14, v132
	s_waitcnt vmcnt(27)
	ds_write_b32 v18, v133
	;; [unrolled: 2-line block ×29, first 2 shown]
	v_mov_b32_e32 v130, v108
	s_waitcnt lgkmcnt(0)
	s_barrier
.LBB160_7:                              ;   Parent Loop BB160_6 Depth=1
                                        ; =>  This Inner Loop Header: Depth=2
	ds_read_b128 v[0:3], v125
	ds_read_b128 v[4:7], v125 offset:16
	ds_read2_b32 v[90:91], v124 offset1:32
	ds_read_b32 v131, v127
	ds_read2_b32 v[134:135], v126 offset1:1
	ds_read2_b32 v[138:139], v126 offset0:2 offset1:3
	v_mov_b32_e32 v140, 0
	v_mov_b32_e32 v150, 0
	s_waitcnt lgkmcnt(2)
	v_pk_mul_f16 v141, v90, v131
	s_waitcnt lgkmcnt(1)
	v_and_b32_e32 v132, 0xf0f0f0f, v134
	v_lshrrev_b32_e32 v133, 4, v134
	v_and_b32_e32 v133, 0xf0f0f0f, v133
	v_dot4c_i32_i8_e32 v140, v132, v0
	v_dot4c_i32_i8_e32 v140, v133, v4
	v_and_b32_e32 v134, 0xf0f0f0f, v135
	v_lshrrev_b32_e32 v135, 4, v135
	v_and_b32_e32 v135, 0xf0f0f0f, v135
	v_dot4c_i32_i8_e32 v140, v134, v1
	v_dot4c_i32_i8_e32 v140, v135, v5
	s_waitcnt lgkmcnt(0)
	v_and_b32_e32 v136, 0xf0f0f0f, v138
	v_lshrrev_b32_e32 v137, 4, v138
	v_and_b32_e32 v137, 0xf0f0f0f, v137
	v_dot4c_i32_i8_e32 v140, v136, v2
	v_dot4c_i32_i8_e32 v140, v137, v6
	v_and_b32_e32 v138, 0xf0f0f0f, v139
	v_lshrrev_b32_e32 v139, 4, v139
	v_and_b32_e32 v139, 0xf0f0f0f, v139
	v_dot4c_i32_i8_e32 v140, v138, v3
	v_dot4c_i32_i8_e32 v140, v139, v7
	v_add_u32_e32 v154, 0x2108, v126
	v_mov_b32_e32 v156, 0
	v_mov_b32_e32 v163, 0
	v_cvt_f32_i32_e32 v140, v140
	s_add_i32 s7, s7, 4
	v_add_u32_e32 v127, 4, v127
	s_cmp_lt_u32 s7, 12
	v_fma_mix_f32 v140, v141, v140, v141 op_sel:[0,0,1] op_sel_hi:[1,0,1]
	v_add_u32_e32 v141, 0x1080, v126
	v_add_f32_e32 v81, v81, v140
	ds_read_b32 v140, v128
	ds_read2_b32 v[144:145], v141 offset1:1
	v_add_u32_e32 v128, 4, v128
	s_waitcnt lgkmcnt(0)
	v_and_b32_e32 v141, 0xf0f0f0f, v144
	v_lshrrev_b32_e32 v142, 4, v144
	v_and_b32_e32 v143, 0xf0f0f0f, v145
	v_lshrrev_b32_e32 v144, 4, v145
	v_add_u32_e32 v145, 0x1088, v126
	ds_read2_b32 v[146:147], v145 offset1:1
	v_and_b32_e32 v142, 0xf0f0f0f, v142
	v_dot4c_i32_i8_e32 v150, v141, v0
	v_dot4c_i32_i8_e32 v150, v142, v4
	v_and_b32_e32 v144, 0xf0f0f0f, v144
	v_dot4c_i32_i8_e32 v150, v143, v1
	v_dot4c_i32_i8_e32 v150, v144, v5
	s_waitcnt lgkmcnt(0)
	v_and_b32_e32 v145, 0xf0f0f0f, v146
	v_lshrrev_b32_e32 v146, 4, v146
	v_and_b32_e32 v146, 0xf0f0f0f, v146
	v_dot4c_i32_i8_e32 v150, v145, v2
	v_dot4c_i32_i8_e32 v150, v146, v6
	v_and_b32_e32 v148, 0xf0f0f0f, v147
	v_lshrrev_b32_e32 v147, 4, v147
	v_and_b32_e32 v149, 0xf0f0f0f, v147
	v_dot4c_i32_i8_e32 v150, v148, v3
	v_dot4c_i32_i8_e32 v150, v149, v7
	v_pk_mul_f16 v147, v90, v140
	s_nop 1
	v_cvt_f32_i32_e32 v150, v150
	v_fma_mix_f32 v147, v147, v150, v147 op_sel:[0,0,1] op_sel_hi:[1,0,1]
	s_nop 0
	v_add_f32_e32 v79, v79, v147
	v_add_u32_e32 v150, 0x2100, v126
	ds_read_b32 v147, v129
	ds_read2_b32 v[152:153], v150 offset1:1
	ds_read2_b32 v[158:159], v154 offset1:1
	v_add_u32_e32 v129, 4, v129
	s_waitcnt lgkmcnt(1)
	v_and_b32_e32 v150, 0xf0f0f0f, v152
	v_lshrrev_b32_e32 v151, 4, v152
	v_and_b32_e32 v151, 0xf0f0f0f, v151
	v_dot4c_i32_i8_e32 v156, v150, v0
	v_dot4c_i32_i8_e32 v156, v151, v4
	v_and_b32_e32 v152, 0xf0f0f0f, v153
	v_lshrrev_b32_e32 v153, 4, v153
	v_and_b32_e32 v153, 0xf0f0f0f, v153
	v_dot4c_i32_i8_e32 v156, v152, v1
	v_dot4c_i32_i8_e32 v156, v153, v5
	s_waitcnt lgkmcnt(0)
	v_and_b32_e32 v154, 0xf0f0f0f, v158
	v_lshrrev_b32_e32 v155, 4, v158
	v_and_b32_e32 v155, 0xf0f0f0f, v155
	v_dot4c_i32_i8_e32 v156, v154, v2
	v_dot4c_i32_i8_e32 v156, v155, v6
	v_and_b32_e32 v157, 0xf0f0f0f, v159
	v_lshrrev_b32_e32 v158, 4, v159
	v_and_b32_e32 v158, 0xf0f0f0f, v158
	v_dot4c_i32_i8_e32 v156, v157, v3
	v_dot4c_i32_i8_e32 v156, v158, v7
	v_pk_mul_f16 v159, v90, v147
	s_nop 1
	v_cvt_f32_i32_e32 v156, v156
	v_fma_mix_f32 v156, v159, v156, v159 op_sel:[0,0,1] op_sel_hi:[1,0,1]
	s_nop 0
	v_add_f32_e32 v75, v75, v156
	v_add_u32_e32 v159, 0x3180, v126
	ds_read_b32 v156, v130
	ds_read2_b32 v[160:161], v159 offset1:1
	v_add_u32_e32 v130, 4, v130
	s_waitcnt lgkmcnt(0)
	v_and_b32_e32 v159, 0xf0f0f0f, v160
	v_lshrrev_b32_e32 v160, 4, v160
	v_and_b32_e32 v160, 0xf0f0f0f, v160
	v_dot4c_i32_i8_e32 v163, v159, v0
	v_lshrrev_b32_e32 v0, 4, v161
	v_dot4c_i32_i8_e32 v163, v160, v4
	v_and_b32_e32 v4, 0xf0f0f0f, v161
	v_and_b32_e32 v161, 0xf0f0f0f, v0
	v_add_u32_e32 v0, 0x3188, v126
	v_dot4c_i32_i8_e32 v163, v4, v1
	ds_read2_b32 v[0:1], v0 offset1:1
	v_dot4c_i32_i8_e32 v163, v161, v5
	ds_read_b128 v[164:167], v125 offset:1024
	ds_read_b128 v[168:171], v125 offset:1040
	v_add_u32_e32 v126, 16, v126
	s_waitcnt lgkmcnt(2)
	v_and_b32_e32 v5, 0xf0f0f0f, v0
	v_lshrrev_b32_e32 v0, 4, v0
	v_and_b32_e32 v162, 0xf0f0f0f, v0
	v_dot4c_i32_i8_e32 v163, v5, v2
	v_dot4c_i32_i8_e32 v163, v162, v6
	v_and_b32_e32 v2, 0xf0f0f0f, v1
	v_lshrrev_b32_e32 v0, 4, v1
	v_and_b32_e32 v6, 0xf0f0f0f, v0
	v_dot4c_i32_i8_e32 v163, v2, v3
	v_dot4c_i32_i8_e32 v163, v6, v7
	v_pk_mul_f16 v0, v90, v156
	v_mov_b32_e32 v3, 0
	s_nop 0
	v_cvt_f32_i32_e32 v1, v163
	v_fma_mix_f32 v0, v0, v1, v0 op_sel:[0,0,1] op_sel_hi:[1,0,1]
	s_nop 0
	v_add_f32_e32 v73, v73, v0
	v_mov_b32_e32 v0, 0
	s_waitcnt lgkmcnt(1)
	v_dot4c_i32_i8_e32 v0, v132, v164
	s_waitcnt lgkmcnt(0)
	v_dot4c_i32_i8_e32 v0, v133, v168
	v_dot4c_i32_i8_e32 v0, v134, v165
	v_dot4c_i32_i8_e32 v0, v135, v169
	v_dot4c_i32_i8_e32 v0, v136, v166
	v_dot4c_i32_i8_e32 v0, v137, v170
	v_dot4c_i32_i8_e32 v0, v138, v167
	v_dot4c_i32_i8_e32 v0, v139, v171
	v_pk_mul_f16 v1, v131, v91
	s_nop 1
	v_cvt_f32_i32_e32 v0, v0
	v_fma_mix_f32 v0, v0, v1, v1 op_sel:[0,0,1] op_sel_hi:[0,1,1]
	v_add_f32_e32 v71, v71, v0
	v_mov_b32_e32 v0, 0
	v_dot4c_i32_i8_e32 v0, v141, v164
	v_dot4c_i32_i8_e32 v0, v142, v168
	v_dot4c_i32_i8_e32 v0, v143, v165
	v_dot4c_i32_i8_e32 v0, v144, v169
	v_dot4c_i32_i8_e32 v0, v145, v166
	v_dot4c_i32_i8_e32 v0, v146, v170
	v_dot4c_i32_i8_e32 v0, v148, v167
	v_dot4c_i32_i8_e32 v0, v149, v171
	v_pk_mul_f16 v1, v140, v91
	s_nop 1
	v_cvt_f32_i32_e32 v0, v0
	v_fma_mix_f32 v0, v0, v1, v1 op_sel:[0,0,1] op_sel_hi:[0,1,1]
	v_add_f32_e32 v69, v69, v0
	v_mov_b32_e32 v0, 0
	v_dot4c_i32_i8_e32 v0, v150, v164
	;; [unrolled: 14-line block ×3, first 2 shown]
	v_dot4c_i32_i8_e32 v0, v160, v168
	v_dot4c_i32_i8_e32 v0, v4, v165
	;; [unrolled: 1-line block ×7, first 2 shown]
	v_pk_mul_f16 v1, v156, v91
	s_nop 1
	v_cvt_f32_i32_e32 v0, v0
	v_fma_mix_f32 v0, v0, v1, v1 op_sel:[0,0,1] op_sel_hi:[0,1,1]
	v_add_f32_e32 v63, v63, v0
	ds_read_b128 v[164:167], v125 offset:2048
	ds_read_b128 v[168:171], v125 offset:2064
	ds_read2_b32 v[0:1], v124 offset0:64 offset1:96
	s_waitcnt lgkmcnt(2)
	v_dot4c_i32_i8_e32 v3, v132, v164
	s_waitcnt lgkmcnt(1)
	v_dot4c_i32_i8_e32 v3, v133, v168
	v_dot4c_i32_i8_e32 v3, v134, v165
	;; [unrolled: 1-line block ×7, first 2 shown]
	s_waitcnt lgkmcnt(0)
	v_pk_mul_f16 v7, v131, v0
	s_nop 0
	v_cvt_f32_i32_e32 v3, v3
	v_fma_mix_f32 v3, v3, v7, v7 op_sel:[0,0,1] op_sel_hi:[0,1,1]
	v_add_f32_e32 v61, v61, v3
	v_mov_b32_e32 v3, 0
	v_dot4c_i32_i8_e32 v3, v141, v164
	v_dot4c_i32_i8_e32 v3, v142, v168
	;; [unrolled: 1-line block ×8, first 2 shown]
	v_pk_mul_f16 v7, v140, v0
	s_nop 1
	v_cvt_f32_i32_e32 v3, v3
	v_fma_mix_f32 v3, v3, v7, v7 op_sel:[0,0,1] op_sel_hi:[0,1,1]
	v_add_f32_e32 v59, v59, v3
	v_mov_b32_e32 v3, 0
	v_dot4c_i32_i8_e32 v3, v150, v164
	v_dot4c_i32_i8_e32 v3, v151, v168
	;; [unrolled: 1-line block ×8, first 2 shown]
	v_pk_mul_f16 v7, v147, v0
	v_pk_mul_f16 v0, v156, v0
	s_nop 0
	v_cvt_f32_i32_e32 v3, v3
	v_fma_mix_f32 v3, v3, v7, v7 op_sel:[0,0,1] op_sel_hi:[0,1,1]
	v_add_f32_e32 v55, v55, v3
	v_mov_b32_e32 v3, 0
	v_dot4c_i32_i8_e32 v3, v159, v164
	v_dot4c_i32_i8_e32 v3, v160, v168
	;; [unrolled: 1-line block ×8, first 2 shown]
	ds_read_b128 v[164:167], v125 offset:3072
	ds_read_b128 v[168:171], v125 offset:3088
	s_nop 0
	v_cvt_f32_i32_e32 v3, v3
	v_fma_mix_f32 v0, v3, v0, v0 op_sel:[0,0,1] op_sel_hi:[0,1,1]
	v_add_f32_e32 v51, v51, v0
	v_mov_b32_e32 v0, 0
	s_waitcnt lgkmcnt(1)
	v_dot4c_i32_i8_e32 v0, v132, v164
	s_waitcnt lgkmcnt(0)
	v_dot4c_i32_i8_e32 v0, v133, v168
	v_dot4c_i32_i8_e32 v0, v134, v165
	;; [unrolled: 1-line block ×7, first 2 shown]
	v_pk_mul_f16 v3, v131, v1
	s_nop 1
	v_cvt_f32_i32_e32 v0, v0
	v_fma_mix_f32 v0, v0, v3, v3 op_sel:[0,0,1] op_sel_hi:[0,1,1]
	v_add_f32_e32 v49, v49, v0
	v_mov_b32_e32 v0, 0
	v_dot4c_i32_i8_e32 v0, v141, v164
	v_dot4c_i32_i8_e32 v0, v142, v168
	;; [unrolled: 1-line block ×8, first 2 shown]
	v_pk_mul_f16 v3, v140, v1
	s_nop 1
	v_cvt_f32_i32_e32 v0, v0
	v_fma_mix_f32 v0, v0, v3, v3 op_sel:[0,0,1] op_sel_hi:[0,1,1]
	v_add_f32_e32 v47, v47, v0
	v_mov_b32_e32 v0, 0
	v_dot4c_i32_i8_e32 v0, v150, v164
	v_dot4c_i32_i8_e32 v0, v151, v168
	;; [unrolled: 1-line block ×8, first 2 shown]
	v_pk_mul_f16 v3, v147, v1
	v_pk_mul_f16 v1, v156, v1
	s_nop 0
	v_cvt_f32_i32_e32 v0, v0
	v_fma_mix_f32 v0, v0, v3, v3 op_sel:[0,0,1] op_sel_hi:[0,1,1]
	v_add_f32_e32 v45, v45, v0
	v_mov_b32_e32 v0, 0
	v_dot4c_i32_i8_e32 v0, v159, v164
	v_dot4c_i32_i8_e32 v0, v160, v168
	;; [unrolled: 1-line block ×8, first 2 shown]
	v_mov_b32_e32 v3, 0
	s_nop 1
	v_cvt_f32_i32_e32 v0, v0
	v_fma_mix_f32 v0, v0, v1, v1 op_sel:[0,0,1] op_sel_hi:[0,1,1]
	v_add_f32_e32 v43, v43, v0
	ds_read_b128 v[164:167], v125 offset:4096
	ds_read_b128 v[168:171], v125 offset:4112
	ds_read2_b32 v[0:1], v124 offset0:128 offset1:160
	s_waitcnt lgkmcnt(2)
	v_dot4c_i32_i8_e32 v3, v132, v164
	s_waitcnt lgkmcnt(1)
	v_dot4c_i32_i8_e32 v3, v133, v168
	v_dot4c_i32_i8_e32 v3, v134, v165
	;; [unrolled: 1-line block ×7, first 2 shown]
	s_waitcnt lgkmcnt(0)
	v_pk_mul_f16 v7, v131, v0
	s_nop 0
	v_cvt_f32_i32_e32 v3, v3
	v_fma_mix_f32 v3, v3, v7, v7 op_sel:[0,0,1] op_sel_hi:[0,1,1]
	v_add_f32_e32 v41, v41, v3
	v_mov_b32_e32 v3, 0
	v_dot4c_i32_i8_e32 v3, v141, v164
	v_dot4c_i32_i8_e32 v3, v142, v168
	;; [unrolled: 1-line block ×8, first 2 shown]
	v_pk_mul_f16 v7, v140, v0
	s_nop 1
	v_cvt_f32_i32_e32 v3, v3
	v_fma_mix_f32 v3, v3, v7, v7 op_sel:[0,0,1] op_sel_hi:[0,1,1]
	v_add_f32_e32 v39, v39, v3
	v_mov_b32_e32 v3, 0
	v_dot4c_i32_i8_e32 v3, v150, v164
	v_dot4c_i32_i8_e32 v3, v151, v168
	;; [unrolled: 1-line block ×8, first 2 shown]
	v_pk_mul_f16 v7, v147, v0
	v_pk_mul_f16 v0, v156, v0
	s_nop 0
	v_cvt_f32_i32_e32 v3, v3
	v_fma_mix_f32 v3, v3, v7, v7 op_sel:[0,0,1] op_sel_hi:[0,1,1]
	v_add_f32_e32 v37, v37, v3
	v_mov_b32_e32 v3, 0
	v_dot4c_i32_i8_e32 v3, v159, v164
	v_dot4c_i32_i8_e32 v3, v160, v168
	v_dot4c_i32_i8_e32 v3, v4, v165
	v_dot4c_i32_i8_e32 v3, v161, v169
	v_dot4c_i32_i8_e32 v3, v5, v166
	v_dot4c_i32_i8_e32 v3, v162, v170
	v_dot4c_i32_i8_e32 v3, v2, v167
	v_dot4c_i32_i8_e32 v3, v6, v171
	ds_read_b128 v[164:167], v125 offset:5120
	ds_read_b128 v[168:171], v125 offset:5136
	s_nop 0
	v_cvt_f32_i32_e32 v3, v3
	v_fma_mix_f32 v0, v3, v0, v0 op_sel:[0,0,1] op_sel_hi:[0,1,1]
	v_add_f32_e32 v35, v35, v0
	v_mov_b32_e32 v0, 0
	s_waitcnt lgkmcnt(1)
	v_dot4c_i32_i8_e32 v0, v132, v164
	s_waitcnt lgkmcnt(0)
	v_dot4c_i32_i8_e32 v0, v133, v168
	v_dot4c_i32_i8_e32 v0, v134, v165
	;; [unrolled: 1-line block ×7, first 2 shown]
	v_pk_mul_f16 v3, v131, v1
	s_nop 1
	v_cvt_f32_i32_e32 v0, v0
	v_fma_mix_f32 v0, v0, v3, v3 op_sel:[0,0,1] op_sel_hi:[0,1,1]
	v_add_f32_e32 v33, v33, v0
	v_mov_b32_e32 v0, 0
	v_dot4c_i32_i8_e32 v0, v141, v164
	v_dot4c_i32_i8_e32 v0, v142, v168
	;; [unrolled: 1-line block ×8, first 2 shown]
	v_pk_mul_f16 v3, v140, v1
	s_nop 1
	v_cvt_f32_i32_e32 v0, v0
	v_fma_mix_f32 v0, v0, v3, v3 op_sel:[0,0,1] op_sel_hi:[0,1,1]
	v_add_f32_e32 v31, v31, v0
	v_mov_b32_e32 v0, 0
	v_dot4c_i32_i8_e32 v0, v150, v164
	v_dot4c_i32_i8_e32 v0, v151, v168
	;; [unrolled: 1-line block ×8, first 2 shown]
	v_pk_mul_f16 v3, v147, v1
	v_pk_mul_f16 v1, v156, v1
	s_nop 0
	v_cvt_f32_i32_e32 v0, v0
	v_fma_mix_f32 v0, v0, v3, v3 op_sel:[0,0,1] op_sel_hi:[0,1,1]
	v_add_f32_e32 v29, v29, v0
	v_mov_b32_e32 v0, 0
	v_dot4c_i32_i8_e32 v0, v159, v164
	v_dot4c_i32_i8_e32 v0, v160, v168
	;; [unrolled: 1-line block ×8, first 2 shown]
	v_mov_b32_e32 v3, 0
	s_nop 1
	v_cvt_f32_i32_e32 v0, v0
	v_fma_mix_f32 v0, v0, v1, v1 op_sel:[0,0,1] op_sel_hi:[0,1,1]
	v_add_f32_e32 v27, v27, v0
	ds_read_b128 v[164:167], v125 offset:6144
	ds_read_b128 v[168:171], v125 offset:6160
	ds_read2_b32 v[0:1], v124 offset0:192 offset1:224
	v_add_u32_e32 v124, 4, v124
	s_waitcnt lgkmcnt(2)
	v_dot4c_i32_i8_e32 v3, v132, v164
	s_waitcnt lgkmcnt(1)
	v_dot4c_i32_i8_e32 v3, v133, v168
	v_dot4c_i32_i8_e32 v3, v134, v165
	;; [unrolled: 1-line block ×7, first 2 shown]
	s_waitcnt lgkmcnt(0)
	v_pk_mul_f16 v7, v131, v0
	s_nop 0
	v_cvt_f32_i32_e32 v3, v3
	v_fma_mix_f32 v3, v3, v7, v7 op_sel:[0,0,1] op_sel_hi:[0,1,1]
	v_add_f32_e32 v25, v25, v3
	v_mov_b32_e32 v3, 0
	v_dot4c_i32_i8_e32 v3, v141, v164
	v_dot4c_i32_i8_e32 v3, v142, v168
	;; [unrolled: 1-line block ×8, first 2 shown]
	v_pk_mul_f16 v7, v140, v0
	s_nop 1
	v_cvt_f32_i32_e32 v3, v3
	v_fma_mix_f32 v3, v3, v7, v7 op_sel:[0,0,1] op_sel_hi:[0,1,1]
	v_add_f32_e32 v23, v23, v3
	v_mov_b32_e32 v3, 0
	v_dot4c_i32_i8_e32 v3, v150, v164
	v_dot4c_i32_i8_e32 v3, v151, v168
	v_dot4c_i32_i8_e32 v3, v152, v165
	v_dot4c_i32_i8_e32 v3, v153, v169
	v_dot4c_i32_i8_e32 v3, v154, v166
	v_dot4c_i32_i8_e32 v3, v155, v170
	v_dot4c_i32_i8_e32 v3, v157, v167
	v_dot4c_i32_i8_e32 v3, v158, v171
	v_pk_mul_f16 v7, v147, v0
	v_pk_mul_f16 v0, v156, v0
	s_nop 0
	v_cvt_f32_i32_e32 v3, v3
	v_fma_mix_f32 v3, v3, v7, v7 op_sel:[0,0,1] op_sel_hi:[0,1,1]
	v_add_f32_e32 v21, v21, v3
	v_mov_b32_e32 v3, 0
	v_dot4c_i32_i8_e32 v3, v159, v164
	v_dot4c_i32_i8_e32 v3, v160, v168
	;; [unrolled: 1-line block ×8, first 2 shown]
	ds_read_b128 v[164:167], v125 offset:7168
	ds_read_b128 v[168:171], v125 offset:7184
	v_add_u32_e32 v125, 32, v125
	v_cvt_f32_i32_e32 v3, v3
	v_fma_mix_f32 v0, v3, v0, v0 op_sel:[0,0,1] op_sel_hi:[0,1,1]
	v_add_f32_e32 v19, v19, v0
	v_mov_b32_e32 v0, 0
	s_waitcnt lgkmcnt(1)
	v_dot4c_i32_i8_e32 v0, v132, v164
	s_waitcnt lgkmcnt(0)
	v_dot4c_i32_i8_e32 v0, v133, v168
	v_dot4c_i32_i8_e32 v0, v134, v165
	;; [unrolled: 1-line block ×7, first 2 shown]
	v_pk_mul_f16 v3, v131, v1
	s_nop 1
	v_cvt_f32_i32_e32 v0, v0
	v_fma_mix_f32 v0, v0, v3, v3 op_sel:[0,0,1] op_sel_hi:[0,1,1]
	v_add_f32_e32 v17, v17, v0
	v_mov_b32_e32 v0, 0
	v_dot4c_i32_i8_e32 v0, v141, v164
	v_dot4c_i32_i8_e32 v0, v142, v168
	;; [unrolled: 1-line block ×8, first 2 shown]
	v_pk_mul_f16 v3, v140, v1
	s_nop 1
	v_cvt_f32_i32_e32 v0, v0
	v_fma_mix_f32 v0, v0, v3, v3 op_sel:[0,0,1] op_sel_hi:[0,1,1]
	v_add_f32_e32 v15, v15, v0
	v_mov_b32_e32 v0, 0
	v_dot4c_i32_i8_e32 v0, v150, v164
	v_dot4c_i32_i8_e32 v0, v151, v168
	;; [unrolled: 1-line block ×8, first 2 shown]
	v_pk_mul_f16 v3, v147, v1
	v_pk_mul_f16 v1, v156, v1
	s_nop 0
	v_cvt_f32_i32_e32 v0, v0
	v_fma_mix_f32 v0, v0, v3, v3 op_sel:[0,0,1] op_sel_hi:[0,1,1]
	v_add_f32_e32 v13, v13, v0
	v_mov_b32_e32 v0, 0
	v_dot4c_i32_i8_e32 v0, v159, v164
	v_dot4c_i32_i8_e32 v0, v160, v168
	v_dot4c_i32_i8_e32 v0, v4, v165
	v_dot4c_i32_i8_e32 v0, v161, v169
	v_dot4c_i32_i8_e32 v0, v5, v166
	v_dot4c_i32_i8_e32 v0, v162, v170
	v_dot4c_i32_i8_e32 v0, v2, v167
	v_dot4c_i32_i8_e32 v0, v6, v171
	s_nop 2
	v_cvt_f32_i32_e32 v0, v0
	v_fma_mix_f32 v0, v0, v1, v1 op_sel:[0,0,1] op_sel_hi:[0,1,1]
	v_add_f32_e32 v9, v9, v0
	s_cbranch_scc1 .LBB160_7
; %bb.8:                                ;   in Loop: Header=BB160_6 Depth=1
	s_or_b32 s7, s5, 4
	s_cmp_ge_i32 s7, s4
	s_barrier
	s_cbranch_scc1 .LBB160_5
; %bb.9:                                ;   in Loop: Header=BB160_6 Depth=1
	v_add_u32_e32 v128, s5, v107
	v_add_u32_e32 v0, v128, v85
	;; [unrolled: 1-line block ×6, first 2 shown]
	v_mad_i64_i32 v[0:1], s[8:9], v0, 36, v[86:87]
	v_mad_i64_i32 v[2:3], s[8:9], v2, 36, v[86:87]
	;; [unrolled: 1-line block ×5, first 2 shown]
	v_add_u32_e32 v124, v128, v100
	v_add_u32_e32 v126, v128, v102
	;; [unrolled: 1-line block ×3, first 2 shown]
	v_mad_i64_i32 v[124:125], s[8:9], v124, 36, v[86:87]
	v_mad_i64_i32 v[126:127], s[8:9], v126, 36, v[86:87]
	;; [unrolled: 1-line block ×3, first 2 shown]
	global_load_dword v130, v[0:1], off offset:4
	s_nop 0
	global_load_dword v2, v[2:3], off offset:4
	s_nop 0
	;; [unrolled: 2-line block ×3, first 2 shown]
	global_load_dword v4, v[6:7], off offset:4
	global_load_dword v5, v[90:91], off offset:4
	s_nop 0
	global_load_dword v6, v[124:125], off offset:4
                                        ; kill: killed $vgpr124_vgpr125
                                        ; kill: killed $vgpr90_vgpr91
	global_load_dword v7, v[126:127], off offset:4
	global_load_dword v90, v[128:129], off offset:4
	v_add_u32_e32 v0, 4, v123
	v_mad_u64_u32 v[0:1], s[8:9], v0, 36, s[2:3]
	global_load_dword v0, v[0:1], off
	s_mov_b32 s7, 12
	v_mov_b32_e32 v123, v113
	v_mov_b32_e32 v124, v112
	;; [unrolled: 1-line block ×7, first 2 shown]
	s_waitcnt vmcnt(8)
	ds_write_b32 v89, v130
	s_waitcnt vmcnt(7)
	ds_write_b32 v93, v2
	;; [unrolled: 2-line block ×9, first 2 shown]
	s_waitcnt lgkmcnt(0)
	s_barrier
.LBB160_10:                             ;   Parent Loop BB160_6 Depth=1
                                        ; =>  This Inner Loop Header: Depth=2
	ds_read_b128 v[0:3], v124
	ds_read_b128 v[4:7], v124 offset:16
	ds_read2_b32 v[90:91], v123 offset1:32
	ds_read_b32 v130, v126
	ds_read2_b32 v[134:135], v125 offset1:1
	ds_read2_b32 v[138:139], v125 offset0:2 offset1:3
	v_mov_b32_e32 v140, 0
	v_add_u32_e32 v144, 0x1088, v125
	v_mov_b32_e32 v146, 0
	s_waitcnt lgkmcnt(1)
	v_and_b32_e32 v131, 0xf0f0f0f, v134
	v_lshrrev_b32_e32 v132, 4, v134
	v_and_b32_e32 v132, 0xf0f0f0f, v132
	v_dot4c_i32_i8_e32 v140, v131, v0
	v_dot4c_i32_i8_e32 v140, v132, v4
	v_and_b32_e32 v133, 0xf0f0f0f, v135
	v_lshrrev_b32_e32 v134, 4, v135
	v_and_b32_e32 v134, 0xf0f0f0f, v134
	v_dot4c_i32_i8_e32 v140, v133, v1
	v_dot4c_i32_i8_e32 v140, v134, v5
	s_waitcnt lgkmcnt(0)
	v_and_b32_e32 v135, 0xf0f0f0f, v138
	v_lshrrev_b32_e32 v136, 4, v138
	v_and_b32_e32 v136, 0xf0f0f0f, v136
	v_dot4c_i32_i8_e32 v140, v135, v2
	v_dot4c_i32_i8_e32 v140, v136, v6
	v_and_b32_e32 v137, 0xf0f0f0f, v139
	v_lshrrev_b32_e32 v138, 4, v139
	v_and_b32_e32 v138, 0xf0f0f0f, v138
	v_dot4c_i32_i8_e32 v140, v137, v3
	v_dot4c_i32_i8_e32 v140, v138, v7
	v_pk_mul_f16 v139, v90, v130
	v_mov_b32_e32 v158, 0
	v_mov_b32_e32 v162, 0
	v_cvt_f32_i32_e32 v140, v140
	s_add_i32 s7, s7, 4
	v_add_u32_e32 v126, 4, v126
	s_cmp_lt_u32 s7, 28
	v_fma_mix_f32 v139, v139, v140, v139 op_sel:[0,0,1] op_sel_hi:[1,0,1]
	v_add_u32_e32 v140, 0x1080, v125
	v_add_f32_e32 v81, v81, v139
	ds_read_b32 v139, v127
	ds_read2_b32 v[142:143], v140 offset1:1
	ds_read2_b32 v[148:149], v144 offset1:1
	v_add_u32_e32 v127, 4, v127
	s_waitcnt lgkmcnt(1)
	v_and_b32_e32 v140, 0xf0f0f0f, v142
	v_lshrrev_b32_e32 v141, 4, v142
	v_and_b32_e32 v141, 0xf0f0f0f, v141
	v_dot4c_i32_i8_e32 v146, v140, v0
	v_dot4c_i32_i8_e32 v146, v141, v4
	v_and_b32_e32 v142, 0xf0f0f0f, v143
	v_lshrrev_b32_e32 v143, 4, v143
	v_and_b32_e32 v143, 0xf0f0f0f, v143
	v_dot4c_i32_i8_e32 v146, v142, v1
	v_dot4c_i32_i8_e32 v146, v143, v5
	s_waitcnt lgkmcnt(0)
	v_and_b32_e32 v144, 0xf0f0f0f, v148
	v_lshrrev_b32_e32 v145, 4, v148
	v_and_b32_e32 v145, 0xf0f0f0f, v145
	v_dot4c_i32_i8_e32 v146, v144, v2
	v_dot4c_i32_i8_e32 v146, v145, v6
	v_and_b32_e32 v147, 0xf0f0f0f, v149
	v_lshrrev_b32_e32 v148, 4, v149
	v_and_b32_e32 v148, 0xf0f0f0f, v148
	v_dot4c_i32_i8_e32 v146, v147, v3
	v_dot4c_i32_i8_e32 v146, v148, v7
	v_pk_mul_f16 v149, v90, v139
	s_nop 1
	v_cvt_f32_i32_e32 v146, v146
	v_fma_mix_f32 v146, v149, v146, v149 op_sel:[0,0,1] op_sel_hi:[1,0,1]
	s_nop 0
	v_add_f32_e32 v79, v79, v146
	v_add_u32_e32 v149, 0x2100, v125
	ds_read_b32 v146, v128
	ds_read2_b32 v[152:153], v149 offset1:1
	v_add_u32_e32 v128, 4, v128
	s_waitcnt lgkmcnt(0)
	v_and_b32_e32 v149, 0xf0f0f0f, v152
	v_lshrrev_b32_e32 v150, 4, v152
	v_and_b32_e32 v151, 0xf0f0f0f, v153
	v_lshrrev_b32_e32 v152, 4, v153
	v_add_u32_e32 v153, 0x2108, v125
	ds_read2_b32 v[154:155], v153 offset1:1
	v_and_b32_e32 v150, 0xf0f0f0f, v150
	v_dot4c_i32_i8_e32 v158, v149, v0
	v_dot4c_i32_i8_e32 v158, v150, v4
	v_and_b32_e32 v152, 0xf0f0f0f, v152
	v_dot4c_i32_i8_e32 v158, v151, v1
	v_dot4c_i32_i8_e32 v158, v152, v5
	s_waitcnt lgkmcnt(0)
	v_and_b32_e32 v153, 0xf0f0f0f, v154
	v_lshrrev_b32_e32 v154, 4, v154
	v_and_b32_e32 v154, 0xf0f0f0f, v154
	v_dot4c_i32_i8_e32 v158, v153, v2
	v_dot4c_i32_i8_e32 v158, v154, v6
	v_and_b32_e32 v156, 0xf0f0f0f, v155
	v_lshrrev_b32_e32 v155, 4, v155
	v_and_b32_e32 v157, 0xf0f0f0f, v155
	v_dot4c_i32_i8_e32 v158, v156, v3
	v_dot4c_i32_i8_e32 v158, v157, v7
	v_pk_mul_f16 v155, v90, v146
	s_nop 1
	v_cvt_f32_i32_e32 v158, v158
	v_fma_mix_f32 v155, v155, v158, v155 op_sel:[0,0,1] op_sel_hi:[1,0,1]
	s_nop 0
	v_add_f32_e32 v75, v75, v155
	v_add_u32_e32 v158, 0x3180, v125
	ds_read_b32 v155, v129
	ds_read2_b32 v[160:161], v158 offset1:1
	v_add_u32_e32 v129, 4, v129
	s_waitcnt lgkmcnt(0)
	v_and_b32_e32 v158, 0xf0f0f0f, v160
	v_lshrrev_b32_e32 v159, 4, v160
	v_and_b32_e32 v159, 0xf0f0f0f, v159
	v_dot4c_i32_i8_e32 v162, v158, v0
	v_lshrrev_b32_e32 v0, 4, v161
	v_dot4c_i32_i8_e32 v162, v159, v4
	v_and_b32_e32 v4, 0xf0f0f0f, v161
	v_and_b32_e32 v160, 0xf0f0f0f, v0
	v_add_u32_e32 v0, 0x3188, v125
	v_dot4c_i32_i8_e32 v162, v4, v1
	ds_read2_b32 v[0:1], v0 offset1:1
	v_dot4c_i32_i8_e32 v162, v160, v5
	v_add_u32_e32 v125, 16, v125
	s_waitcnt lgkmcnt(0)
	v_and_b32_e32 v5, 0xf0f0f0f, v0
	v_lshrrev_b32_e32 v0, 4, v0
	v_and_b32_e32 v161, 0xf0f0f0f, v0
	v_dot4c_i32_i8_e32 v162, v5, v2
	v_dot4c_i32_i8_e32 v162, v161, v6
	v_and_b32_e32 v2, 0xf0f0f0f, v1
	v_lshrrev_b32_e32 v0, 4, v1
	v_and_b32_e32 v6, 0xf0f0f0f, v0
	v_dot4c_i32_i8_e32 v162, v2, v3
	v_dot4c_i32_i8_e32 v162, v6, v7
	v_pk_mul_f16 v0, v90, v155
	v_mov_b32_e32 v3, 0
	s_nop 0
	v_cvt_f32_i32_e32 v1, v162
	ds_read_b128 v[162:165], v124 offset:1024
	ds_read_b128 v[166:169], v124 offset:1040
	v_fma_mix_f32 v0, v0, v1, v0 op_sel:[0,0,1] op_sel_hi:[1,0,1]
	s_nop 0
	v_add_f32_e32 v73, v73, v0
	v_mov_b32_e32 v0, 0
	s_waitcnt lgkmcnt(1)
	v_dot4c_i32_i8_e32 v0, v131, v162
	s_waitcnt lgkmcnt(0)
	v_dot4c_i32_i8_e32 v0, v132, v166
	v_dot4c_i32_i8_e32 v0, v133, v163
	v_dot4c_i32_i8_e32 v0, v134, v167
	v_dot4c_i32_i8_e32 v0, v135, v164
	v_dot4c_i32_i8_e32 v0, v136, v168
	v_dot4c_i32_i8_e32 v0, v137, v165
	v_dot4c_i32_i8_e32 v0, v138, v169
	v_pk_mul_f16 v1, v130, v91
	s_nop 1
	v_cvt_f32_i32_e32 v0, v0
	v_fma_mix_f32 v0, v0, v1, v1 op_sel:[0,0,1] op_sel_hi:[0,1,1]
	v_add_f32_e32 v71, v71, v0
	v_mov_b32_e32 v0, 0
	v_dot4c_i32_i8_e32 v0, v140, v162
	v_dot4c_i32_i8_e32 v0, v141, v166
	v_dot4c_i32_i8_e32 v0, v142, v163
	v_dot4c_i32_i8_e32 v0, v143, v167
	v_dot4c_i32_i8_e32 v0, v144, v164
	v_dot4c_i32_i8_e32 v0, v145, v168
	v_dot4c_i32_i8_e32 v0, v147, v165
	v_dot4c_i32_i8_e32 v0, v148, v169
	v_pk_mul_f16 v1, v139, v91
	s_nop 1
	v_cvt_f32_i32_e32 v0, v0
	v_fma_mix_f32 v0, v0, v1, v1 op_sel:[0,0,1] op_sel_hi:[0,1,1]
	v_add_f32_e32 v69, v69, v0
	v_mov_b32_e32 v0, 0
	v_dot4c_i32_i8_e32 v0, v149, v162
	;; [unrolled: 14-line block ×3, first 2 shown]
	v_dot4c_i32_i8_e32 v0, v159, v166
	v_dot4c_i32_i8_e32 v0, v4, v163
	v_dot4c_i32_i8_e32 v0, v160, v167
	v_dot4c_i32_i8_e32 v0, v5, v164
	v_dot4c_i32_i8_e32 v0, v161, v168
	v_dot4c_i32_i8_e32 v0, v2, v165
	v_dot4c_i32_i8_e32 v0, v6, v169
	v_pk_mul_f16 v1, v155, v91
	s_nop 1
	v_cvt_f32_i32_e32 v0, v0
	v_fma_mix_f32 v0, v0, v1, v1 op_sel:[0,0,1] op_sel_hi:[0,1,1]
	v_add_f32_e32 v63, v63, v0
	ds_read_b128 v[162:165], v124 offset:2048
	ds_read_b128 v[166:169], v124 offset:2064
	ds_read2_b32 v[0:1], v123 offset0:64 offset1:96
	s_waitcnt lgkmcnt(2)
	v_dot4c_i32_i8_e32 v3, v131, v162
	s_waitcnt lgkmcnt(1)
	v_dot4c_i32_i8_e32 v3, v132, v166
	v_dot4c_i32_i8_e32 v3, v133, v163
	;; [unrolled: 1-line block ×7, first 2 shown]
	s_waitcnt lgkmcnt(0)
	v_pk_mul_f16 v7, v130, v0
	s_nop 0
	v_cvt_f32_i32_e32 v3, v3
	v_fma_mix_f32 v3, v3, v7, v7 op_sel:[0,0,1] op_sel_hi:[0,1,1]
	v_add_f32_e32 v61, v61, v3
	v_mov_b32_e32 v3, 0
	v_dot4c_i32_i8_e32 v3, v140, v162
	v_dot4c_i32_i8_e32 v3, v141, v166
	;; [unrolled: 1-line block ×8, first 2 shown]
	v_pk_mul_f16 v7, v139, v0
	s_nop 1
	v_cvt_f32_i32_e32 v3, v3
	v_fma_mix_f32 v3, v3, v7, v7 op_sel:[0,0,1] op_sel_hi:[0,1,1]
	v_add_f32_e32 v59, v59, v3
	v_mov_b32_e32 v3, 0
	v_dot4c_i32_i8_e32 v3, v149, v162
	v_dot4c_i32_i8_e32 v3, v150, v166
	;; [unrolled: 1-line block ×8, first 2 shown]
	v_pk_mul_f16 v7, v146, v0
	v_pk_mul_f16 v0, v155, v0
	s_nop 0
	v_cvt_f32_i32_e32 v3, v3
	v_fma_mix_f32 v3, v3, v7, v7 op_sel:[0,0,1] op_sel_hi:[0,1,1]
	v_add_f32_e32 v55, v55, v3
	v_mov_b32_e32 v3, 0
	v_dot4c_i32_i8_e32 v3, v158, v162
	v_dot4c_i32_i8_e32 v3, v159, v166
	;; [unrolled: 1-line block ×8, first 2 shown]
	ds_read_b128 v[162:165], v124 offset:3072
	ds_read_b128 v[166:169], v124 offset:3088
	s_nop 0
	v_cvt_f32_i32_e32 v3, v3
	v_fma_mix_f32 v0, v3, v0, v0 op_sel:[0,0,1] op_sel_hi:[0,1,1]
	v_add_f32_e32 v51, v51, v0
	v_mov_b32_e32 v0, 0
	s_waitcnt lgkmcnt(1)
	v_dot4c_i32_i8_e32 v0, v131, v162
	s_waitcnt lgkmcnt(0)
	v_dot4c_i32_i8_e32 v0, v132, v166
	v_dot4c_i32_i8_e32 v0, v133, v163
	;; [unrolled: 1-line block ×7, first 2 shown]
	v_pk_mul_f16 v3, v130, v1
	s_nop 1
	v_cvt_f32_i32_e32 v0, v0
	v_fma_mix_f32 v0, v0, v3, v3 op_sel:[0,0,1] op_sel_hi:[0,1,1]
	v_add_f32_e32 v49, v49, v0
	v_mov_b32_e32 v0, 0
	v_dot4c_i32_i8_e32 v0, v140, v162
	v_dot4c_i32_i8_e32 v0, v141, v166
	;; [unrolled: 1-line block ×8, first 2 shown]
	v_pk_mul_f16 v3, v139, v1
	s_nop 1
	v_cvt_f32_i32_e32 v0, v0
	v_fma_mix_f32 v0, v0, v3, v3 op_sel:[0,0,1] op_sel_hi:[0,1,1]
	v_add_f32_e32 v47, v47, v0
	v_mov_b32_e32 v0, 0
	v_dot4c_i32_i8_e32 v0, v149, v162
	v_dot4c_i32_i8_e32 v0, v150, v166
	v_dot4c_i32_i8_e32 v0, v151, v163
	v_dot4c_i32_i8_e32 v0, v152, v167
	v_dot4c_i32_i8_e32 v0, v153, v164
	v_dot4c_i32_i8_e32 v0, v154, v168
	v_dot4c_i32_i8_e32 v0, v156, v165
	v_dot4c_i32_i8_e32 v0, v157, v169
	v_pk_mul_f16 v3, v146, v1
	v_pk_mul_f16 v1, v155, v1
	s_nop 0
	v_cvt_f32_i32_e32 v0, v0
	v_fma_mix_f32 v0, v0, v3, v3 op_sel:[0,0,1] op_sel_hi:[0,1,1]
	v_add_f32_e32 v45, v45, v0
	v_mov_b32_e32 v0, 0
	v_dot4c_i32_i8_e32 v0, v158, v162
	v_dot4c_i32_i8_e32 v0, v159, v166
	;; [unrolled: 1-line block ×8, first 2 shown]
	v_mov_b32_e32 v3, 0
	s_nop 1
	v_cvt_f32_i32_e32 v0, v0
	v_fma_mix_f32 v0, v0, v1, v1 op_sel:[0,0,1] op_sel_hi:[0,1,1]
	v_add_f32_e32 v43, v43, v0
	ds_read_b128 v[162:165], v124 offset:4096
	ds_read_b128 v[166:169], v124 offset:4112
	ds_read2_b32 v[0:1], v123 offset0:128 offset1:160
	s_waitcnt lgkmcnt(2)
	v_dot4c_i32_i8_e32 v3, v131, v162
	s_waitcnt lgkmcnt(1)
	v_dot4c_i32_i8_e32 v3, v132, v166
	v_dot4c_i32_i8_e32 v3, v133, v163
	;; [unrolled: 1-line block ×7, first 2 shown]
	s_waitcnt lgkmcnt(0)
	v_pk_mul_f16 v7, v130, v0
	s_nop 0
	v_cvt_f32_i32_e32 v3, v3
	v_fma_mix_f32 v3, v3, v7, v7 op_sel:[0,0,1] op_sel_hi:[0,1,1]
	v_add_f32_e32 v41, v41, v3
	v_mov_b32_e32 v3, 0
	v_dot4c_i32_i8_e32 v3, v140, v162
	v_dot4c_i32_i8_e32 v3, v141, v166
	v_dot4c_i32_i8_e32 v3, v142, v163
	v_dot4c_i32_i8_e32 v3, v143, v167
	v_dot4c_i32_i8_e32 v3, v144, v164
	v_dot4c_i32_i8_e32 v3, v145, v168
	v_dot4c_i32_i8_e32 v3, v147, v165
	v_dot4c_i32_i8_e32 v3, v148, v169
	v_pk_mul_f16 v7, v139, v0
	s_nop 1
	v_cvt_f32_i32_e32 v3, v3
	v_fma_mix_f32 v3, v3, v7, v7 op_sel:[0,0,1] op_sel_hi:[0,1,1]
	v_add_f32_e32 v39, v39, v3
	v_mov_b32_e32 v3, 0
	v_dot4c_i32_i8_e32 v3, v149, v162
	v_dot4c_i32_i8_e32 v3, v150, v166
	;; [unrolled: 1-line block ×8, first 2 shown]
	v_pk_mul_f16 v7, v146, v0
	v_pk_mul_f16 v0, v155, v0
	s_nop 0
	v_cvt_f32_i32_e32 v3, v3
	v_fma_mix_f32 v3, v3, v7, v7 op_sel:[0,0,1] op_sel_hi:[0,1,1]
	v_add_f32_e32 v37, v37, v3
	v_mov_b32_e32 v3, 0
	v_dot4c_i32_i8_e32 v3, v158, v162
	v_dot4c_i32_i8_e32 v3, v159, v166
	;; [unrolled: 1-line block ×8, first 2 shown]
	ds_read_b128 v[162:165], v124 offset:5120
	ds_read_b128 v[166:169], v124 offset:5136
	s_nop 0
	v_cvt_f32_i32_e32 v3, v3
	v_fma_mix_f32 v0, v3, v0, v0 op_sel:[0,0,1] op_sel_hi:[0,1,1]
	v_add_f32_e32 v35, v35, v0
	v_mov_b32_e32 v0, 0
	s_waitcnt lgkmcnt(1)
	v_dot4c_i32_i8_e32 v0, v131, v162
	s_waitcnt lgkmcnt(0)
	v_dot4c_i32_i8_e32 v0, v132, v166
	v_dot4c_i32_i8_e32 v0, v133, v163
	;; [unrolled: 1-line block ×7, first 2 shown]
	v_pk_mul_f16 v3, v130, v1
	s_nop 1
	v_cvt_f32_i32_e32 v0, v0
	v_fma_mix_f32 v0, v0, v3, v3 op_sel:[0,0,1] op_sel_hi:[0,1,1]
	v_add_f32_e32 v33, v33, v0
	v_mov_b32_e32 v0, 0
	v_dot4c_i32_i8_e32 v0, v140, v162
	v_dot4c_i32_i8_e32 v0, v141, v166
	v_dot4c_i32_i8_e32 v0, v142, v163
	v_dot4c_i32_i8_e32 v0, v143, v167
	v_dot4c_i32_i8_e32 v0, v144, v164
	v_dot4c_i32_i8_e32 v0, v145, v168
	v_dot4c_i32_i8_e32 v0, v147, v165
	v_dot4c_i32_i8_e32 v0, v148, v169
	v_pk_mul_f16 v3, v139, v1
	s_nop 1
	v_cvt_f32_i32_e32 v0, v0
	v_fma_mix_f32 v0, v0, v3, v3 op_sel:[0,0,1] op_sel_hi:[0,1,1]
	v_add_f32_e32 v31, v31, v0
	v_mov_b32_e32 v0, 0
	v_dot4c_i32_i8_e32 v0, v149, v162
	v_dot4c_i32_i8_e32 v0, v150, v166
	;; [unrolled: 1-line block ×8, first 2 shown]
	v_pk_mul_f16 v3, v146, v1
	v_pk_mul_f16 v1, v155, v1
	s_nop 0
	v_cvt_f32_i32_e32 v0, v0
	v_fma_mix_f32 v0, v0, v3, v3 op_sel:[0,0,1] op_sel_hi:[0,1,1]
	v_add_f32_e32 v29, v29, v0
	v_mov_b32_e32 v0, 0
	v_dot4c_i32_i8_e32 v0, v158, v162
	v_dot4c_i32_i8_e32 v0, v159, v166
	;; [unrolled: 1-line block ×8, first 2 shown]
	v_mov_b32_e32 v3, 0
	s_nop 1
	v_cvt_f32_i32_e32 v0, v0
	v_fma_mix_f32 v0, v0, v1, v1 op_sel:[0,0,1] op_sel_hi:[0,1,1]
	v_add_f32_e32 v27, v27, v0
	ds_read_b128 v[162:165], v124 offset:6144
	ds_read_b128 v[166:169], v124 offset:6160
	ds_read2_b32 v[0:1], v123 offset0:192 offset1:224
	v_add_u32_e32 v123, 4, v123
	s_waitcnt lgkmcnt(2)
	v_dot4c_i32_i8_e32 v3, v131, v162
	s_waitcnt lgkmcnt(1)
	v_dot4c_i32_i8_e32 v3, v132, v166
	v_dot4c_i32_i8_e32 v3, v133, v163
	;; [unrolled: 1-line block ×7, first 2 shown]
	s_waitcnt lgkmcnt(0)
	v_pk_mul_f16 v7, v130, v0
	s_nop 0
	v_cvt_f32_i32_e32 v3, v3
	v_fma_mix_f32 v3, v3, v7, v7 op_sel:[0,0,1] op_sel_hi:[0,1,1]
	v_add_f32_e32 v25, v25, v3
	v_mov_b32_e32 v3, 0
	v_dot4c_i32_i8_e32 v3, v140, v162
	v_dot4c_i32_i8_e32 v3, v141, v166
	;; [unrolled: 1-line block ×8, first 2 shown]
	v_pk_mul_f16 v7, v139, v0
	s_nop 1
	v_cvt_f32_i32_e32 v3, v3
	v_fma_mix_f32 v3, v3, v7, v7 op_sel:[0,0,1] op_sel_hi:[0,1,1]
	v_add_f32_e32 v23, v23, v3
	v_mov_b32_e32 v3, 0
	v_dot4c_i32_i8_e32 v3, v149, v162
	v_dot4c_i32_i8_e32 v3, v150, v166
	;; [unrolled: 1-line block ×8, first 2 shown]
	v_pk_mul_f16 v7, v146, v0
	v_pk_mul_f16 v0, v155, v0
	s_nop 0
	v_cvt_f32_i32_e32 v3, v3
	v_fma_mix_f32 v3, v3, v7, v7 op_sel:[0,0,1] op_sel_hi:[0,1,1]
	v_add_f32_e32 v21, v21, v3
	v_mov_b32_e32 v3, 0
	v_dot4c_i32_i8_e32 v3, v158, v162
	v_dot4c_i32_i8_e32 v3, v159, v166
	;; [unrolled: 1-line block ×8, first 2 shown]
	ds_read_b128 v[162:165], v124 offset:7168
	ds_read_b128 v[166:169], v124 offset:7184
	v_add_u32_e32 v124, 32, v124
	v_cvt_f32_i32_e32 v3, v3
	v_fma_mix_f32 v0, v3, v0, v0 op_sel:[0,0,1] op_sel_hi:[0,1,1]
	v_add_f32_e32 v19, v19, v0
	v_mov_b32_e32 v0, 0
	s_waitcnt lgkmcnt(1)
	v_dot4c_i32_i8_e32 v0, v131, v162
	s_waitcnt lgkmcnt(0)
	v_dot4c_i32_i8_e32 v0, v132, v166
	v_dot4c_i32_i8_e32 v0, v133, v163
	;; [unrolled: 1-line block ×7, first 2 shown]
	v_pk_mul_f16 v3, v130, v1
	s_nop 1
	v_cvt_f32_i32_e32 v0, v0
	v_fma_mix_f32 v0, v0, v3, v3 op_sel:[0,0,1] op_sel_hi:[0,1,1]
	v_add_f32_e32 v17, v17, v0
	v_mov_b32_e32 v0, 0
	v_dot4c_i32_i8_e32 v0, v140, v162
	v_dot4c_i32_i8_e32 v0, v141, v166
	;; [unrolled: 1-line block ×8, first 2 shown]
	v_pk_mul_f16 v3, v139, v1
	s_nop 1
	v_cvt_f32_i32_e32 v0, v0
	v_fma_mix_f32 v0, v0, v3, v3 op_sel:[0,0,1] op_sel_hi:[0,1,1]
	v_add_f32_e32 v15, v15, v0
	v_mov_b32_e32 v0, 0
	v_dot4c_i32_i8_e32 v0, v149, v162
	v_dot4c_i32_i8_e32 v0, v150, v166
	;; [unrolled: 1-line block ×8, first 2 shown]
	v_pk_mul_f16 v3, v146, v1
	v_pk_mul_f16 v1, v155, v1
	s_nop 0
	v_cvt_f32_i32_e32 v0, v0
	v_fma_mix_f32 v0, v0, v3, v3 op_sel:[0,0,1] op_sel_hi:[0,1,1]
	v_add_f32_e32 v13, v13, v0
	v_mov_b32_e32 v0, 0
	v_dot4c_i32_i8_e32 v0, v158, v162
	v_dot4c_i32_i8_e32 v0, v159, v166
	;; [unrolled: 1-line block ×8, first 2 shown]
	s_nop 2
	v_cvt_f32_i32_e32 v0, v0
	v_fma_mix_f32 v0, v0, v1, v1 op_sel:[0,0,1] op_sel_hi:[0,1,1]
	v_add_f32_e32 v9, v9, v0
	s_cbranch_scc1 .LBB160_10
; %bb.11:                               ;   in Loop: Header=BB160_6 Depth=1
	s_barrier
	s_branch .LBB160_5
.LBB160_12:
	v_mov_b32_e32 v1, v57
.LBB160_13:
	v_cmp_gt_u32_e32 vcc, s10, v67
	s_and_saveexec_b64 s[0:1], vcc
	s_cbranch_execz .LBB160_64
; %bb.14:
	v_add_u32_e32 v0, s6, v53
	v_mul_lo_u32 v5, v67, s14
	v_cmp_gt_u32_e32 vcc, s14, v0
	s_and_saveexec_b64 s[2:3], vcc
	s_cbranch_execz .LBB160_16
; %bb.15:
	v_bfe_u32 v2, v81, 16, 1
	s_movk_i32 s0, 0x7fff
	v_add3_u32 v2, v81, v2, s0
	v_lshrrev_b32_e32 v2, 16, v2
	v_mov_b32_e32 v3, 0x7fc0
	v_cmp_o_f32_e64 s[0:1], v81, v81
	s_nop 1
	v_cndmask_b32_e64 v4, v3, v2, s[0:1]
	v_add_u32_e32 v2, v0, v5
	v_mov_b32_e32 v3, 0
	s_waitcnt lgkmcnt(0)
	v_lshl_add_u64 v[2:3], v[2:3], 1, s[12:13]
	global_store_short v[2:3], v4, off
.LBB160_16:
	s_or_b64 exec, exec, s[2:3]
	v_add_u32_e32 v2, 32, v0
	v_cmp_gt_u32_e64 s[0:1], s14, v2
	s_and_saveexec_b64 s[4:5], s[0:1]
	s_cbranch_execz .LBB160_18
; %bb.17:
	v_bfe_u32 v3, v79, 16, 1
	s_movk_i32 s2, 0x7fff
	v_add3_u32 v3, v79, v3, s2
	v_lshrrev_b32_e32 v3, 16, v3
	v_mov_b32_e32 v4, 0x7fc0
	v_cmp_o_f32_e64 s[2:3], v79, v79
	v_add_u32_e32 v6, v2, v5
	v_mov_b32_e32 v7, 0
	v_cndmask_b32_e64 v3, v4, v3, s[2:3]
	s_waitcnt lgkmcnt(0)
	v_lshl_add_u64 v[6:7], v[6:7], 1, s[12:13]
	global_store_short v[6:7], v3, off
.LBB160_18:
	s_or_b64 exec, exec, s[4:5]
	v_add_u32_e32 v3, 64, v0
	v_cmp_gt_u32_e64 s[2:3], s14, v3
	s_and_saveexec_b64 s[6:7], s[2:3]
	s_cbranch_execz .LBB160_20
; %bb.19:
	v_bfe_u32 v4, v75, 16, 1
	s_movk_i32 s4, 0x7fff
	v_add3_u32 v4, v75, v4, s4
	v_lshrrev_b32_e32 v4, 16, v4
	v_mov_b32_e32 v6, 0x7fc0
	v_cmp_o_f32_e64 s[4:5], v75, v75
	v_mov_b32_e32 v7, 0
	s_nop 0
	v_cndmask_b32_e64 v4, v6, v4, s[4:5]
	v_add_u32_e32 v6, v3, v5
	s_waitcnt lgkmcnt(0)
	v_lshl_add_u64 v[6:7], v[6:7], 1, s[12:13]
	global_store_short v[6:7], v4, off
.LBB160_20:
	s_or_b64 exec, exec, s[6:7]
	v_add_u32_e32 v4, 0x60, v0
	v_cmp_gt_u32_e64 s[4:5], s14, v4
	s_and_saveexec_b64 s[8:9], s[4:5]
	s_cbranch_execz .LBB160_22
; %bb.21:
	v_bfe_u32 v6, v73, 16, 1
	s_movk_i32 s6, 0x7fff
	v_add3_u32 v6, v73, v6, s6
	v_lshrrev_b32_e32 v6, 16, v6
	v_mov_b32_e32 v7, 0x7fc0
	v_cmp_o_f32_e64 s[6:7], v73, v73
	s_nop 1
	v_cndmask_b32_e64 v8, v7, v6, s[6:7]
	v_add_u32_e32 v6, v4, v5
	v_mov_b32_e32 v7, 0
	s_waitcnt lgkmcnt(0)
	v_lshl_add_u64 v[6:7], v[6:7], 1, s[12:13]
	global_store_short v[6:7], v8, off
.LBB160_22:
	s_or_b64 exec, exec, s[8:9]
	v_add3_u32 v5, v1, s15, 8
	v_cmp_gt_u32_e64 s[6:7], s10, v5
	s_and_b64 exec, exec, s[6:7]
	s_cbranch_execz .LBB160_64
; %bb.23:
	v_mul_lo_u32 v5, v5, s14
	s_and_saveexec_b64 s[8:9], vcc
	s_cbranch_execnz .LBB160_65
; %bb.24:
	s_or_b64 exec, exec, s[8:9]
	s_and_saveexec_b64 s[8:9], s[0:1]
	s_cbranch_execnz .LBB160_66
.LBB160_25:
	s_or_b64 exec, exec, s[8:9]
	s_and_saveexec_b64 s[8:9], s[2:3]
	s_cbranch_execnz .LBB160_67
.LBB160_26:
	s_or_b64 exec, exec, s[8:9]
	s_and_saveexec_b64 s[8:9], s[4:5]
	s_cbranch_execz .LBB160_28
.LBB160_27:
	v_bfe_u32 v6, v63, 16, 1
	s_movk_i32 s6, 0x7fff
	v_add3_u32 v6, v63, v6, s6
	v_lshrrev_b32_e32 v6, 16, v6
	v_mov_b32_e32 v7, 0x7fc0
	v_cmp_o_f32_e64 s[6:7], v63, v63
	s_nop 1
	v_cndmask_b32_e64 v8, v7, v6, s[6:7]
	v_add_u32_e32 v6, v5, v4
	v_mov_b32_e32 v7, 0
	s_waitcnt lgkmcnt(0)
	v_lshl_add_u64 v[6:7], v[6:7], 1, s[12:13]
	global_store_short v[6:7], v8, off
.LBB160_28:
	s_or_b64 exec, exec, s[8:9]
	v_add3_u32 v5, v1, s15, 16
	v_cmp_gt_u32_e64 s[6:7], s10, v5
	s_and_b64 exec, exec, s[6:7]
	s_cbranch_execz .LBB160_64
; %bb.29:
	v_mul_lo_u32 v5, v5, s14
	s_and_saveexec_b64 s[8:9], vcc
	s_cbranch_execnz .LBB160_68
; %bb.30:
	s_or_b64 exec, exec, s[8:9]
	s_and_saveexec_b64 s[8:9], s[0:1]
	s_cbranch_execnz .LBB160_69
.LBB160_31:
	s_or_b64 exec, exec, s[8:9]
	s_and_saveexec_b64 s[8:9], s[2:3]
	s_cbranch_execnz .LBB160_70
.LBB160_32:
	s_or_b64 exec, exec, s[8:9]
	s_and_saveexec_b64 s[8:9], s[4:5]
	s_cbranch_execz .LBB160_34
.LBB160_33:
	v_bfe_u32 v6, v51, 16, 1
	s_movk_i32 s6, 0x7fff
	v_add3_u32 v6, v51, v6, s6
	v_lshrrev_b32_e32 v6, 16, v6
	v_mov_b32_e32 v7, 0x7fc0
	v_cmp_o_f32_e64 s[6:7], v51, v51
	s_nop 1
	v_cndmask_b32_e64 v8, v7, v6, s[6:7]
	v_add_u32_e32 v6, v5, v4
	v_mov_b32_e32 v7, 0
	s_waitcnt lgkmcnt(0)
	v_lshl_add_u64 v[6:7], v[6:7], 1, s[12:13]
	global_store_short v[6:7], v8, off
.LBB160_34:
	s_or_b64 exec, exec, s[8:9]
	v_add3_u32 v5, v1, s15, 24
	v_cmp_gt_u32_e64 s[6:7], s10, v5
	s_and_b64 exec, exec, s[6:7]
	s_cbranch_execz .LBB160_64
; %bb.35:
	v_mul_lo_u32 v5, v5, s14
	s_and_saveexec_b64 s[8:9], vcc
	s_cbranch_execnz .LBB160_71
; %bb.36:
	s_or_b64 exec, exec, s[8:9]
	s_and_saveexec_b64 s[8:9], s[0:1]
	s_cbranch_execnz .LBB160_72
.LBB160_37:
	s_or_b64 exec, exec, s[8:9]
	s_and_saveexec_b64 s[8:9], s[2:3]
	s_cbranch_execnz .LBB160_73
.LBB160_38:
	s_or_b64 exec, exec, s[8:9]
	s_and_saveexec_b64 s[8:9], s[4:5]
	s_cbranch_execz .LBB160_40
.LBB160_39:
	v_bfe_u32 v6, v43, 16, 1
	s_movk_i32 s6, 0x7fff
	v_add3_u32 v6, v43, v6, s6
	v_lshrrev_b32_e32 v6, 16, v6
	v_mov_b32_e32 v7, 0x7fc0
	v_cmp_o_f32_e64 s[6:7], v43, v43
	s_nop 1
	v_cndmask_b32_e64 v8, v7, v6, s[6:7]
	v_add_u32_e32 v6, v5, v4
	v_mov_b32_e32 v7, 0
	s_waitcnt lgkmcnt(0)
	v_lshl_add_u64 v[6:7], v[6:7], 1, s[12:13]
	global_store_short v[6:7], v8, off
.LBB160_40:
	s_or_b64 exec, exec, s[8:9]
	v_add3_u32 v5, v1, s15, 32
	v_cmp_gt_u32_e64 s[6:7], s10, v5
	s_and_b64 exec, exec, s[6:7]
	s_cbranch_execz .LBB160_64
; %bb.41:
	v_mul_lo_u32 v5, v5, s14
	s_and_saveexec_b64 s[8:9], vcc
	s_cbranch_execnz .LBB160_74
; %bb.42:
	s_or_b64 exec, exec, s[8:9]
	s_and_saveexec_b64 s[8:9], s[0:1]
	s_cbranch_execnz .LBB160_75
.LBB160_43:
	s_or_b64 exec, exec, s[8:9]
	s_and_saveexec_b64 s[8:9], s[2:3]
	s_cbranch_execnz .LBB160_76
.LBB160_44:
	s_or_b64 exec, exec, s[8:9]
	s_and_saveexec_b64 s[8:9], s[4:5]
	s_cbranch_execz .LBB160_46
.LBB160_45:
	v_bfe_u32 v6, v35, 16, 1
	s_movk_i32 s6, 0x7fff
	v_add3_u32 v6, v35, v6, s6
	v_lshrrev_b32_e32 v6, 16, v6
	v_mov_b32_e32 v7, 0x7fc0
	v_cmp_o_f32_e64 s[6:7], v35, v35
	s_nop 1
	v_cndmask_b32_e64 v8, v7, v6, s[6:7]
	v_add_u32_e32 v6, v5, v4
	v_mov_b32_e32 v7, 0
	s_waitcnt lgkmcnt(0)
	v_lshl_add_u64 v[6:7], v[6:7], 1, s[12:13]
	global_store_short v[6:7], v8, off
.LBB160_46:
	s_or_b64 exec, exec, s[8:9]
	v_add3_u32 v5, v1, s15, 40
	v_cmp_gt_u32_e64 s[6:7], s10, v5
	s_and_b64 exec, exec, s[6:7]
	s_cbranch_execz .LBB160_64
; %bb.47:
	v_mul_lo_u32 v5, v5, s14
	s_and_saveexec_b64 s[8:9], vcc
	s_cbranch_execnz .LBB160_77
; %bb.48:
	s_or_b64 exec, exec, s[8:9]
	s_and_saveexec_b64 s[8:9], s[0:1]
	s_cbranch_execnz .LBB160_78
.LBB160_49:
	s_or_b64 exec, exec, s[8:9]
	s_and_saveexec_b64 s[8:9], s[2:3]
	s_cbranch_execnz .LBB160_79
.LBB160_50:
	s_or_b64 exec, exec, s[8:9]
	s_and_saveexec_b64 s[8:9], s[4:5]
	s_cbranch_execz .LBB160_52
.LBB160_51:
	v_bfe_u32 v6, v27, 16, 1
	s_movk_i32 s6, 0x7fff
	v_add3_u32 v6, v27, v6, s6
	v_lshrrev_b32_e32 v6, 16, v6
	v_mov_b32_e32 v7, 0x7fc0
	v_cmp_o_f32_e64 s[6:7], v27, v27
	s_nop 1
	v_cndmask_b32_e64 v8, v7, v6, s[6:7]
	v_add_u32_e32 v6, v5, v4
	v_mov_b32_e32 v7, 0
	s_waitcnt lgkmcnt(0)
	v_lshl_add_u64 v[6:7], v[6:7], 1, s[12:13]
	global_store_short v[6:7], v8, off
.LBB160_52:
	s_or_b64 exec, exec, s[8:9]
	v_add3_u32 v5, v1, s15, 48
	v_cmp_gt_u32_e64 s[6:7], s10, v5
	s_and_b64 exec, exec, s[6:7]
	s_cbranch_execz .LBB160_64
; %bb.53:
	v_mul_lo_u32 v5, v5, s14
	s_and_saveexec_b64 s[8:9], vcc
	s_cbranch_execnz .LBB160_80
; %bb.54:
	s_or_b64 exec, exec, s[8:9]
	s_and_saveexec_b64 s[8:9], s[0:1]
	s_cbranch_execnz .LBB160_81
.LBB160_55:
	s_or_b64 exec, exec, s[8:9]
	s_and_saveexec_b64 s[8:9], s[2:3]
	s_cbranch_execnz .LBB160_82
.LBB160_56:
	s_or_b64 exec, exec, s[8:9]
	s_and_saveexec_b64 s[8:9], s[4:5]
	s_cbranch_execz .LBB160_58
.LBB160_57:
	v_bfe_u32 v6, v19, 16, 1
	s_movk_i32 s6, 0x7fff
	v_add3_u32 v6, v19, v6, s6
	v_lshrrev_b32_e32 v6, 16, v6
	v_mov_b32_e32 v7, 0x7fc0
	v_cmp_o_f32_e64 s[6:7], v19, v19
	s_nop 1
	v_cndmask_b32_e64 v8, v7, v6, s[6:7]
	v_add_u32_e32 v6, v5, v4
	v_mov_b32_e32 v7, 0
	s_waitcnt lgkmcnt(0)
	v_lshl_add_u64 v[6:7], v[6:7], 1, s[12:13]
	global_store_short v[6:7], v8, off
.LBB160_58:
	s_or_b64 exec, exec, s[8:9]
	v_add3_u32 v1, v1, s15, 56
	v_cmp_gt_u32_e64 s[6:7], s10, v1
	s_and_b64 exec, exec, s[6:7]
	s_cbranch_execz .LBB160_64
; %bb.59:
	v_mul_lo_u32 v1, v1, s14
	s_and_saveexec_b64 s[6:7], vcc
	s_cbranch_execnz .LBB160_83
; %bb.60:
	s_or_b64 exec, exec, s[6:7]
	s_and_saveexec_b64 s[6:7], s[0:1]
	s_cbranch_execnz .LBB160_84
.LBB160_61:
	s_or_b64 exec, exec, s[6:7]
	s_and_saveexec_b64 s[0:1], s[2:3]
	s_cbranch_execnz .LBB160_85
.LBB160_62:
	s_or_b64 exec, exec, s[0:1]
	s_and_b64 exec, exec, s[4:5]
	s_cbranch_execz .LBB160_64
.LBB160_63:
	v_bfe_u32 v0, v9, 16, 1
	s_movk_i32 s0, 0x7fff
	v_add3_u32 v0, v9, v0, s0
	v_lshrrev_b32_e32 v0, 16, v0
	v_mov_b32_e32 v2, 0x7fc0
	v_cmp_o_f32_e32 vcc, v9, v9
	s_nop 1
	v_cndmask_b32_e32 v2, v2, v0, vcc
	v_add_u32_e32 v0, v1, v4
	v_mov_b32_e32 v1, 0
	s_waitcnt lgkmcnt(0)
	v_lshl_add_u64 v[0:1], v[0:1], 1, s[12:13]
	global_store_short v[0:1], v2, off
.LBB160_64:
	s_endpgm
.LBB160_65:
	v_bfe_u32 v6, v71, 16, 1
	s_movk_i32 s6, 0x7fff
	v_add3_u32 v6, v71, v6, s6
	v_lshrrev_b32_e32 v6, 16, v6
	v_mov_b32_e32 v7, 0x7fc0
	v_cmp_o_f32_e64 s[6:7], v71, v71
	s_nop 1
	v_cndmask_b32_e64 v8, v7, v6, s[6:7]
	v_add_u32_e32 v6, v5, v0
	v_mov_b32_e32 v7, 0
	s_waitcnt lgkmcnt(0)
	v_lshl_add_u64 v[6:7], v[6:7], 1, s[12:13]
	global_store_short v[6:7], v8, off
	s_or_b64 exec, exec, s[8:9]
	s_and_saveexec_b64 s[8:9], s[0:1]
	s_cbranch_execz .LBB160_25
.LBB160_66:
	v_bfe_u32 v6, v69, 16, 1
	s_movk_i32 s6, 0x7fff
	v_add3_u32 v6, v69, v6, s6
	v_lshrrev_b32_e32 v6, 16, v6
	v_mov_b32_e32 v7, 0x7fc0
	v_cmp_o_f32_e64 s[6:7], v69, v69
	s_nop 1
	v_cndmask_b32_e64 v8, v7, v6, s[6:7]
	v_add_u32_e32 v6, v5, v2
	v_mov_b32_e32 v7, 0
	s_waitcnt lgkmcnt(0)
	v_lshl_add_u64 v[6:7], v[6:7], 1, s[12:13]
	global_store_short v[6:7], v8, off
	s_or_b64 exec, exec, s[8:9]
	s_and_saveexec_b64 s[8:9], s[2:3]
	s_cbranch_execz .LBB160_26
.LBB160_67:
	v_bfe_u32 v6, v65, 16, 1
	s_movk_i32 s6, 0x7fff
	v_add3_u32 v6, v65, v6, s6
	v_lshrrev_b32_e32 v6, 16, v6
	v_mov_b32_e32 v7, 0x7fc0
	v_cmp_o_f32_e64 s[6:7], v65, v65
	s_nop 1
	v_cndmask_b32_e64 v8, v7, v6, s[6:7]
	v_add_u32_e32 v6, v5, v3
	v_mov_b32_e32 v7, 0
	s_waitcnt lgkmcnt(0)
	v_lshl_add_u64 v[6:7], v[6:7], 1, s[12:13]
	global_store_short v[6:7], v8, off
	s_or_b64 exec, exec, s[8:9]
	s_and_saveexec_b64 s[8:9], s[4:5]
	s_cbranch_execnz .LBB160_27
	s_branch .LBB160_28
.LBB160_68:
	v_bfe_u32 v6, v61, 16, 1
	s_movk_i32 s6, 0x7fff
	v_add3_u32 v6, v61, v6, s6
	v_lshrrev_b32_e32 v6, 16, v6
	v_mov_b32_e32 v7, 0x7fc0
	v_cmp_o_f32_e64 s[6:7], v61, v61
	s_nop 1
	v_cndmask_b32_e64 v8, v7, v6, s[6:7]
	v_add_u32_e32 v6, v5, v0
	v_mov_b32_e32 v7, 0
	s_waitcnt lgkmcnt(0)
	v_lshl_add_u64 v[6:7], v[6:7], 1, s[12:13]
	global_store_short v[6:7], v8, off
	s_or_b64 exec, exec, s[8:9]
	s_and_saveexec_b64 s[8:9], s[0:1]
	s_cbranch_execz .LBB160_31
.LBB160_69:
	v_bfe_u32 v6, v59, 16, 1
	s_movk_i32 s6, 0x7fff
	v_add3_u32 v6, v59, v6, s6
	v_lshrrev_b32_e32 v6, 16, v6
	v_mov_b32_e32 v7, 0x7fc0
	v_cmp_o_f32_e64 s[6:7], v59, v59
	s_nop 1
	v_cndmask_b32_e64 v8, v7, v6, s[6:7]
	v_add_u32_e32 v6, v5, v2
	v_mov_b32_e32 v7, 0
	s_waitcnt lgkmcnt(0)
	v_lshl_add_u64 v[6:7], v[6:7], 1, s[12:13]
	global_store_short v[6:7], v8, off
	s_or_b64 exec, exec, s[8:9]
	s_and_saveexec_b64 s[8:9], s[2:3]
	s_cbranch_execz .LBB160_32
.LBB160_70:
	v_bfe_u32 v6, v55, 16, 1
	s_movk_i32 s6, 0x7fff
	v_add3_u32 v6, v55, v6, s6
	v_lshrrev_b32_e32 v6, 16, v6
	v_mov_b32_e32 v7, 0x7fc0
	v_cmp_o_f32_e64 s[6:7], v55, v55
	s_nop 1
	v_cndmask_b32_e64 v8, v7, v6, s[6:7]
	v_add_u32_e32 v6, v5, v3
	v_mov_b32_e32 v7, 0
	s_waitcnt lgkmcnt(0)
	v_lshl_add_u64 v[6:7], v[6:7], 1, s[12:13]
	global_store_short v[6:7], v8, off
	s_or_b64 exec, exec, s[8:9]
	s_and_saveexec_b64 s[8:9], s[4:5]
	s_cbranch_execnz .LBB160_33
	s_branch .LBB160_34
.LBB160_71:
	v_bfe_u32 v6, v49, 16, 1
	s_movk_i32 s6, 0x7fff
	v_add3_u32 v6, v49, v6, s6
	v_lshrrev_b32_e32 v6, 16, v6
	v_mov_b32_e32 v7, 0x7fc0
	v_cmp_o_f32_e64 s[6:7], v49, v49
	s_nop 1
	v_cndmask_b32_e64 v8, v7, v6, s[6:7]
	v_add_u32_e32 v6, v5, v0
	v_mov_b32_e32 v7, 0
	s_waitcnt lgkmcnt(0)
	v_lshl_add_u64 v[6:7], v[6:7], 1, s[12:13]
	global_store_short v[6:7], v8, off
	s_or_b64 exec, exec, s[8:9]
	s_and_saveexec_b64 s[8:9], s[0:1]
	s_cbranch_execz .LBB160_37
.LBB160_72:
	v_bfe_u32 v6, v47, 16, 1
	s_movk_i32 s6, 0x7fff
	v_add3_u32 v6, v47, v6, s6
	v_lshrrev_b32_e32 v6, 16, v6
	v_mov_b32_e32 v7, 0x7fc0
	v_cmp_o_f32_e64 s[6:7], v47, v47
	s_nop 1
	v_cndmask_b32_e64 v8, v7, v6, s[6:7]
	v_add_u32_e32 v6, v5, v2
	v_mov_b32_e32 v7, 0
	s_waitcnt lgkmcnt(0)
	v_lshl_add_u64 v[6:7], v[6:7], 1, s[12:13]
	global_store_short v[6:7], v8, off
	s_or_b64 exec, exec, s[8:9]
	s_and_saveexec_b64 s[8:9], s[2:3]
	s_cbranch_execz .LBB160_38
.LBB160_73:
	v_bfe_u32 v6, v45, 16, 1
	s_movk_i32 s6, 0x7fff
	v_add3_u32 v6, v45, v6, s6
	v_lshrrev_b32_e32 v6, 16, v6
	v_mov_b32_e32 v7, 0x7fc0
	v_cmp_o_f32_e64 s[6:7], v45, v45
	s_nop 1
	v_cndmask_b32_e64 v8, v7, v6, s[6:7]
	v_add_u32_e32 v6, v5, v3
	v_mov_b32_e32 v7, 0
	s_waitcnt lgkmcnt(0)
	v_lshl_add_u64 v[6:7], v[6:7], 1, s[12:13]
	global_store_short v[6:7], v8, off
	s_or_b64 exec, exec, s[8:9]
	s_and_saveexec_b64 s[8:9], s[4:5]
	s_cbranch_execnz .LBB160_39
	s_branch .LBB160_40
.LBB160_74:
	v_bfe_u32 v6, v41, 16, 1
	s_movk_i32 s6, 0x7fff
	v_add3_u32 v6, v41, v6, s6
	v_lshrrev_b32_e32 v6, 16, v6
	v_mov_b32_e32 v7, 0x7fc0
	v_cmp_o_f32_e64 s[6:7], v41, v41
	s_nop 1
	v_cndmask_b32_e64 v8, v7, v6, s[6:7]
	v_add_u32_e32 v6, v5, v0
	v_mov_b32_e32 v7, 0
	s_waitcnt lgkmcnt(0)
	v_lshl_add_u64 v[6:7], v[6:7], 1, s[12:13]
	global_store_short v[6:7], v8, off
	s_or_b64 exec, exec, s[8:9]
	s_and_saveexec_b64 s[8:9], s[0:1]
	s_cbranch_execz .LBB160_43
.LBB160_75:
	v_bfe_u32 v6, v39, 16, 1
	s_movk_i32 s6, 0x7fff
	v_add3_u32 v6, v39, v6, s6
	v_lshrrev_b32_e32 v6, 16, v6
	v_mov_b32_e32 v7, 0x7fc0
	v_cmp_o_f32_e64 s[6:7], v39, v39
	s_nop 1
	v_cndmask_b32_e64 v8, v7, v6, s[6:7]
	v_add_u32_e32 v6, v5, v2
	v_mov_b32_e32 v7, 0
	s_waitcnt lgkmcnt(0)
	v_lshl_add_u64 v[6:7], v[6:7], 1, s[12:13]
	global_store_short v[6:7], v8, off
	s_or_b64 exec, exec, s[8:9]
	s_and_saveexec_b64 s[8:9], s[2:3]
	s_cbranch_execz .LBB160_44
.LBB160_76:
	v_bfe_u32 v6, v37, 16, 1
	s_movk_i32 s6, 0x7fff
	v_add3_u32 v6, v37, v6, s6
	v_lshrrev_b32_e32 v6, 16, v6
	v_mov_b32_e32 v7, 0x7fc0
	v_cmp_o_f32_e64 s[6:7], v37, v37
	s_nop 1
	v_cndmask_b32_e64 v8, v7, v6, s[6:7]
	v_add_u32_e32 v6, v5, v3
	v_mov_b32_e32 v7, 0
	s_waitcnt lgkmcnt(0)
	v_lshl_add_u64 v[6:7], v[6:7], 1, s[12:13]
	global_store_short v[6:7], v8, off
	s_or_b64 exec, exec, s[8:9]
	s_and_saveexec_b64 s[8:9], s[4:5]
	s_cbranch_execnz .LBB160_45
	s_branch .LBB160_46
.LBB160_77:
	v_bfe_u32 v6, v33, 16, 1
	s_movk_i32 s6, 0x7fff
	v_add3_u32 v6, v33, v6, s6
	v_lshrrev_b32_e32 v6, 16, v6
	v_mov_b32_e32 v7, 0x7fc0
	v_cmp_o_f32_e64 s[6:7], v33, v33
	s_nop 1
	v_cndmask_b32_e64 v8, v7, v6, s[6:7]
	v_add_u32_e32 v6, v5, v0
	v_mov_b32_e32 v7, 0
	s_waitcnt lgkmcnt(0)
	v_lshl_add_u64 v[6:7], v[6:7], 1, s[12:13]
	global_store_short v[6:7], v8, off
	s_or_b64 exec, exec, s[8:9]
	s_and_saveexec_b64 s[8:9], s[0:1]
	s_cbranch_execz .LBB160_49
.LBB160_78:
	v_bfe_u32 v6, v31, 16, 1
	s_movk_i32 s6, 0x7fff
	v_add3_u32 v6, v31, v6, s6
	v_lshrrev_b32_e32 v6, 16, v6
	v_mov_b32_e32 v7, 0x7fc0
	v_cmp_o_f32_e64 s[6:7], v31, v31
	s_nop 1
	v_cndmask_b32_e64 v8, v7, v6, s[6:7]
	v_add_u32_e32 v6, v5, v2
	v_mov_b32_e32 v7, 0
	s_waitcnt lgkmcnt(0)
	v_lshl_add_u64 v[6:7], v[6:7], 1, s[12:13]
	global_store_short v[6:7], v8, off
	s_or_b64 exec, exec, s[8:9]
	s_and_saveexec_b64 s[8:9], s[2:3]
	s_cbranch_execz .LBB160_50
.LBB160_79:
	v_bfe_u32 v6, v29, 16, 1
	s_movk_i32 s6, 0x7fff
	v_add3_u32 v6, v29, v6, s6
	v_lshrrev_b32_e32 v6, 16, v6
	v_mov_b32_e32 v7, 0x7fc0
	v_cmp_o_f32_e64 s[6:7], v29, v29
	s_nop 1
	v_cndmask_b32_e64 v8, v7, v6, s[6:7]
	v_add_u32_e32 v6, v5, v3
	v_mov_b32_e32 v7, 0
	s_waitcnt lgkmcnt(0)
	v_lshl_add_u64 v[6:7], v[6:7], 1, s[12:13]
	global_store_short v[6:7], v8, off
	s_or_b64 exec, exec, s[8:9]
	s_and_saveexec_b64 s[8:9], s[4:5]
	s_cbranch_execnz .LBB160_51
	s_branch .LBB160_52
.LBB160_80:
	v_bfe_u32 v6, v25, 16, 1
	s_movk_i32 s6, 0x7fff
	v_add3_u32 v6, v25, v6, s6
	v_lshrrev_b32_e32 v6, 16, v6
	v_mov_b32_e32 v7, 0x7fc0
	v_cmp_o_f32_e64 s[6:7], v25, v25
	s_nop 1
	v_cndmask_b32_e64 v8, v7, v6, s[6:7]
	v_add_u32_e32 v6, v5, v0
	v_mov_b32_e32 v7, 0
	s_waitcnt lgkmcnt(0)
	v_lshl_add_u64 v[6:7], v[6:7], 1, s[12:13]
	global_store_short v[6:7], v8, off
	s_or_b64 exec, exec, s[8:9]
	s_and_saveexec_b64 s[8:9], s[0:1]
	s_cbranch_execz .LBB160_55
.LBB160_81:
	v_bfe_u32 v6, v23, 16, 1
	s_movk_i32 s6, 0x7fff
	v_add3_u32 v6, v23, v6, s6
	v_lshrrev_b32_e32 v6, 16, v6
	v_mov_b32_e32 v7, 0x7fc0
	v_cmp_o_f32_e64 s[6:7], v23, v23
	s_nop 1
	v_cndmask_b32_e64 v8, v7, v6, s[6:7]
	v_add_u32_e32 v6, v5, v2
	v_mov_b32_e32 v7, 0
	s_waitcnt lgkmcnt(0)
	v_lshl_add_u64 v[6:7], v[6:7], 1, s[12:13]
	global_store_short v[6:7], v8, off
	s_or_b64 exec, exec, s[8:9]
	s_and_saveexec_b64 s[8:9], s[2:3]
	s_cbranch_execz .LBB160_56
.LBB160_82:
	v_bfe_u32 v6, v21, 16, 1
	s_movk_i32 s6, 0x7fff
	v_add3_u32 v6, v21, v6, s6
	v_lshrrev_b32_e32 v6, 16, v6
	v_mov_b32_e32 v7, 0x7fc0
	v_cmp_o_f32_e64 s[6:7], v21, v21
	s_nop 1
	v_cndmask_b32_e64 v8, v7, v6, s[6:7]
	v_add_u32_e32 v6, v5, v3
	v_mov_b32_e32 v7, 0
	s_waitcnt lgkmcnt(0)
	v_lshl_add_u64 v[6:7], v[6:7], 1, s[12:13]
	global_store_short v[6:7], v8, off
	s_or_b64 exec, exec, s[8:9]
	s_and_saveexec_b64 s[8:9], s[4:5]
	s_cbranch_execnz .LBB160_57
	s_branch .LBB160_58
.LBB160_83:
	v_bfe_u32 v5, v17, 16, 1
	s_movk_i32 s8, 0x7fff
	v_add3_u32 v5, v17, v5, s8
	v_lshrrev_b32_e32 v5, 16, v5
	v_mov_b32_e32 v6, 0x7fc0
	v_cmp_o_f32_e32 vcc, v17, v17
	v_mov_b32_e32 v7, 0
	s_nop 0
	v_cndmask_b32_e32 v5, v6, v5, vcc
	v_add_u32_e32 v6, v1, v0
	s_waitcnt lgkmcnt(0)
	v_lshl_add_u64 v[6:7], v[6:7], 1, s[12:13]
	global_store_short v[6:7], v5, off
	s_or_b64 exec, exec, s[6:7]
	s_and_saveexec_b64 s[6:7], s[0:1]
	s_cbranch_execz .LBB160_61
.LBB160_84:
	v_bfe_u32 v0, v15, 16, 1
	s_movk_i32 s0, 0x7fff
	v_add3_u32 v0, v15, v0, s0
	v_lshrrev_b32_e32 v0, 16, v0
	v_mov_b32_e32 v5, 0x7fc0
	v_cmp_o_f32_e32 vcc, v15, v15
	v_add_u32_e32 v6, v1, v2
	v_mov_b32_e32 v7, 0
	v_cndmask_b32_e32 v0, v5, v0, vcc
	s_waitcnt lgkmcnt(0)
	v_lshl_add_u64 v[6:7], v[6:7], 1, s[12:13]
	global_store_short v[6:7], v0, off
	s_or_b64 exec, exec, s[6:7]
	s_and_saveexec_b64 s[0:1], s[2:3]
	s_cbranch_execz .LBB160_62
.LBB160_85:
	v_bfe_u32 v0, v13, 16, 1
	s_movk_i32 s2, 0x7fff
	v_add3_u32 v0, v13, v0, s2
	v_lshrrev_b32_e32 v0, 16, v0
	v_mov_b32_e32 v2, 0x7fc0
	v_cmp_o_f32_e32 vcc, v13, v13
	s_nop 1
	v_cndmask_b32_e32 v0, v2, v0, vcc
	v_add_u32_e32 v2, v1, v3
	v_mov_b32_e32 v3, 0
	s_waitcnt lgkmcnt(0)
	v_lshl_add_u64 v[2:3], v[2:3], 1, s[12:13]
	global_store_short v[2:3], v0, off
	s_or_b64 exec, exec, s[0:1]
	s_and_b64 exec, exec, s[4:5]
	s_cbranch_execnz .LBB160_63
	s_branch .LBB160_64
	.section	.rodata,"a",@progbits
	.p2align	6, 0x0
	.amdhsa_kernel _ZL12mul_mat_q4_1IN3c108BFloat16ELb1EEvPKvS3_PT_iiiii
		.amdhsa_group_segment_fixed_size 30336
		.amdhsa_private_segment_fixed_size 0
		.amdhsa_kernarg_size 44
		.amdhsa_user_sgpr_count 2
		.amdhsa_user_sgpr_dispatch_ptr 0
		.amdhsa_user_sgpr_queue_ptr 0
		.amdhsa_user_sgpr_kernarg_segment_ptr 1
		.amdhsa_user_sgpr_dispatch_id 0
		.amdhsa_user_sgpr_kernarg_preload_length 0
		.amdhsa_user_sgpr_kernarg_preload_offset 0
		.amdhsa_user_sgpr_private_segment_size 0
		.amdhsa_uses_dynamic_stack 0
		.amdhsa_enable_private_segment 0
		.amdhsa_system_sgpr_workgroup_id_x 1
		.amdhsa_system_sgpr_workgroup_id_y 1
		.amdhsa_system_sgpr_workgroup_id_z 0
		.amdhsa_system_sgpr_workgroup_info 0
		.amdhsa_system_vgpr_workitem_id 1
		.amdhsa_next_free_vgpr 172
		.amdhsa_next_free_sgpr 18
		.amdhsa_accum_offset 172
		.amdhsa_reserve_vcc 1
		.amdhsa_float_round_mode_32 0
		.amdhsa_float_round_mode_16_64 0
		.amdhsa_float_denorm_mode_32 3
		.amdhsa_float_denorm_mode_16_64 3
		.amdhsa_dx10_clamp 1
		.amdhsa_ieee_mode 1
		.amdhsa_fp16_overflow 0
		.amdhsa_tg_split 0
		.amdhsa_exception_fp_ieee_invalid_op 0
		.amdhsa_exception_fp_denorm_src 0
		.amdhsa_exception_fp_ieee_div_zero 0
		.amdhsa_exception_fp_ieee_overflow 0
		.amdhsa_exception_fp_ieee_underflow 0
		.amdhsa_exception_fp_ieee_inexact 0
		.amdhsa_exception_int_div_zero 0
	.end_amdhsa_kernel
	.section	.text._ZL12mul_mat_q4_1IN3c108BFloat16ELb1EEvPKvS3_PT_iiiii,"axG",@progbits,_ZL12mul_mat_q4_1IN3c108BFloat16ELb1EEvPKvS3_PT_iiiii,comdat
.Lfunc_end160:
	.size	_ZL12mul_mat_q4_1IN3c108BFloat16ELb1EEvPKvS3_PT_iiiii, .Lfunc_end160-_ZL12mul_mat_q4_1IN3c108BFloat16ELb1EEvPKvS3_PT_iiiii
                                        ; -- End function
	.section	.AMDGPU.csdata,"",@progbits
; Kernel info:
; codeLenInByte = 12156
; NumSgprs: 24
; NumVgprs: 172
; NumAgprs: 0
; TotalNumVgprs: 172
; ScratchSize: 0
; MemoryBound: 0
; FloatMode: 240
; IeeeMode: 1
; LDSByteSize: 30336 bytes/workgroup (compile time only)
; SGPRBlocks: 2
; VGPRBlocks: 21
; NumSGPRsForWavesPerEU: 24
; NumVGPRsForWavesPerEU: 172
; AccumOffset: 172
; Occupancy: 2
; WaveLimiterHint : 0
; COMPUTE_PGM_RSRC2:SCRATCH_EN: 0
; COMPUTE_PGM_RSRC2:USER_SGPR: 2
; COMPUTE_PGM_RSRC2:TRAP_HANDLER: 0
; COMPUTE_PGM_RSRC2:TGID_X_EN: 1
; COMPUTE_PGM_RSRC2:TGID_Y_EN: 1
; COMPUTE_PGM_RSRC2:TGID_Z_EN: 0
; COMPUTE_PGM_RSRC2:TIDIG_COMP_CNT: 1
; COMPUTE_PGM_RSRC3_GFX90A:ACCUM_OFFSET: 42
; COMPUTE_PGM_RSRC3_GFX90A:TG_SPLIT: 0
	.section	.text._ZL12mul_mat_q5_0IN3c108BFloat16ELb0EEvPKvS3_PT_iiiii,"axG",@progbits,_ZL12mul_mat_q5_0IN3c108BFloat16ELb0EEvPKvS3_PT_iiiii,comdat
	.globl	_ZL12mul_mat_q5_0IN3c108BFloat16ELb0EEvPKvS3_PT_iiiii ; -- Begin function _ZL12mul_mat_q5_0IN3c108BFloat16ELb0EEvPKvS3_PT_iiiii
	.p2align	8
	.type	_ZL12mul_mat_q5_0IN3c108BFloat16ELb0EEvPKvS3_PT_iiiii,@function
_ZL12mul_mat_q5_0IN3c108BFloat16ELb0EEvPKvS3_PT_iiiii: ; @_ZL12mul_mat_q5_0IN3c108BFloat16ELb0EEvPKvS3_PT_iiiii
; %bb.0:
	s_load_dword s15, s[0:1], 0x18
	s_load_dwordx4 s[8:11], s[0:1], 0x20
	s_waitcnt lgkmcnt(0)
	s_lshl_b32 s11, s3, 6
	v_bfe_u32 v35, v0, 10, 10
	s_cmp_gt_i32 s15, 31
	s_cbranch_scc1 .LBB161_2
; %bb.1:
	v_bfe_u32 v32, v0, 10, 10
	s_mov_b32 s4, 0
	v_and_b32_e32 v1, 0x3ff, v0
	v_add_u32_e32 v39, s11, v32
	s_mov_b32 s5, s4
	s_mov_b64 s[6:7], 0
	s_branch .LBB161_3
.LBB161_2:
	s_mov_b64 s[6:7], -1
                                        ; implicit-def: $sgpr4_sgpr5
                                        ; implicit-def: $vgpr32
                                        ; implicit-def: $vgpr1
                                        ; implicit-def: $vgpr39
.LBB161_3:
	s_load_dwordx2 s[12:13], s[0:1], 0x10
	s_lshl_b32 s14, s2, 7
	s_andn2_b64 vcc, exec, s[6:7]
	v_mov_b64_e32 v[2:3], s[4:5]
	v_mov_b64_e32 v[10:11], s[4:5]
	;; [unrolled: 1-line block ×16, first 2 shown]
	s_cbranch_vccnz .LBB161_13
; %bb.4:
	s_ashr_i32 s4, s15, 31
	s_load_dwordx4 s[0:3], s[0:1], 0x0
	s_lshr_b32 s4, s4, 27
	s_ashr_i32 s5, s9, 31
	s_add_i32 s4, s15, s4
	s_lshr_b32 s5, s5, 27
	s_ashr_i32 s6, s4, 5
	s_add_i32 s5, s9, s5
	s_ashr_i32 s15, s5, 5
	s_mul_i32 s5, s6, s14
	s_mul_hi_i32 s9, s5, 22
	s_mul_i32 s5, s5, 22
	s_waitcnt lgkmcnt(0)
	s_add_u32 s7, s0, s5
	s_addc_u32 s9, s1, s9
	v_mul_lo_u32 v34, s6, v35
	s_lshl_b32 s5, s6, 3
	v_add_u32_e32 v38, s5, v34
	v_add_u32_e32 v40, s5, v38
	v_add_u32_e32 v42, s5, v40
	v_add_u32_e32 v44, s5, v42
	v_add_u32_e32 v46, s5, v44
	v_add_u32_e32 v48, s5, v46
	v_add_u32_e32 v50, s5, v48
	v_add_u32_e32 v52, s5, v50
	v_add_u32_e32 v54, s5, v52
	v_add_u32_e32 v56, s5, v54
	v_add_u32_e32 v58, s5, v56
	v_and_b32_e32 v1, 0x3ff, v0
	v_add_u32_e32 v60, s5, v58
	v_lshlrev_b32_e32 v3, 3, v1
	s_movk_i32 s1, 0x104
	v_add_u32_e32 v62, s5, v60
	v_lshrrev_b32_e32 v73, 3, v1
	v_mad_u32_u24 v41, v35, s1, v3
	v_add_u32_e32 v64, s5, v62
	v_and_b32_e32 v68, 7, v1
	v_lshl_add_u32 v3, v35, 2, v73
	v_add_u32_e32 v66, s5, v64
	v_and_b32_e32 v4, 0x7fc, v3
	v_lshlrev_b32_e32 v5, 2, v68
	s_mov_b32 s5, 0xa200
	v_add3_u32 v8, v4, v5, s5
	v_add_u32_e32 v4, 32, v3
	v_mul_lo_u32 v70, s6, v3
	v_lshlrev_b32_e32 v9, 5, v3
	v_and_b32_e32 v6, 0xffc, v4
	v_lshlrev_b32_e32 v11, 5, v4
	v_add_u32_e32 v4, 64, v3
	v_add_u32_e32 v3, 0x60, v3
	v_lshrrev_b32_e32 v0, 2, v1
	s_andn2_b32 s4, s4, 31
	v_add3_u32 v10, v6, v5, s5
	v_and_b32_e32 v6, 0xffc, v4
	v_lshlrev_b32_e32 v13, 5, v4
	v_and_b32_e32 v4, 0xffc, v3
	v_lshlrev_b32_e32 v15, 5, v3
	v_lshlrev_b32_e32 v3, 2, v1
	v_mov_b32_e32 v33, 0
	v_add_u32_e32 v72, s4, v70
	v_add3_u32 v12, v6, v5, s5
	v_and_b32_e32 v6, 28, v3
	v_lshl_add_u32 v3, v35, 3, v0
	v_add_u32_e32 v74, s4, v72
	v_mov_b32_e32 v7, v33
	v_and_b32_e32 v3, 63, v3
	v_and_b32_e32 v2, 3, v1
	v_add_u32_e32 v76, s4, v74
	s_add_i32 s4, s8, -1
	v_lshl_add_u64 v[78:79], s[2:3], 0, v[6:7]
	v_or_b32_e32 v6, s11, v3
	v_lshlrev_b32_e32 v32, 2, v2
	v_min_i32_e32 v6, s4, v6
	v_add3_u32 v14, v4, v5, s5
	v_add_u32_e32 v39, s11, v35
	v_cvt_f64_i32_e32 v[4:5], s4
	v_mad_u64_u32 v[80:81], s[4:5], v6, s15, v[2:3]
	v_lshl_or_b32 v2, v3, 4, v32
	v_add_u32_e32 v75, 0xb280, v2
	v_cvt_f64_u32_e32 v[2:3], v39
	v_min_f64 v[2:3], v[2:3], v[4:5]
	v_cvt_i32_f64_e32 v2, v[2:3]
	v_mul_lo_u32 v77, s15, v2
	v_add_u32_e32 v2, 8, v39
	v_cvt_f64_u32_e32 v[2:3], v2
	v_min_f64 v[2:3], v[2:3], v[4:5]
	v_cvt_i32_f64_e32 v2, v[2:3]
	v_mul_lo_u32 v85, s15, v2
	;; [unrolled: 5-line block ×8, first 2 shown]
	v_add_u32_e32 v2, 32, v1
	v_lshlrev_b32_e32 v5, 5, v1
	v_lshrrev_b32_e32 v136, 3, v2
	v_and_b32_e32 v2, 0x1fc, v2
	v_and_b32_e32 v16, 31, v1
	v_lshlrev_b32_e32 v6, 7, v35
	v_add_u32_e32 v2, v5, v2
	s_mov_b32 s0, 0
	v_lshl_or_b32 v7, v16, 2, v6
	v_add_u32_e32 v3, 64, v1
	v_add_u32_e32 v4, 0x60, v1
	;; [unrolled: 1-line block ×4, first 2 shown]
	v_mov_b32_e32 v2, 0x80
	v_add_u32_e32 v81, 0x8200, v7
	v_add_u32_e32 v87, 0x8600, v7
	;; [unrolled: 1-line block ×8, first 2 shown]
	v_and_b32_e32 v4, 0x1fc, v4
	v_and_b32_e32 v3, 0x1fc, v3
	;; [unrolled: 1-line block ×3, first 2 shown]
	v_mad_u32_u24 v147, v1, s1, v2
	s_mov_b32 s1, s0
	v_add_u32_e32 v4, v5, v4
	v_add_u32_e32 v3, v5, v3
	;; [unrolled: 1-line block ×4, first 2 shown]
	v_mov_b32_e32 v6, 0xb280
	v_mov_b64_e32 v[36:37], s[0:1]
	v_add_u32_e32 v43, 0x820, v41
	v_add_u32_e32 v45, 0x1040, v41
	;; [unrolled: 1-line block ×15, first 2 shown]
	v_mul_u32_u24_e32 v135, 0x104, v1
	v_add_u32_e32 v137, 0xae00, v4
	v_add_u32_e32 v138, 0xaa00, v3
	;; [unrolled: 1-line block ×3, first 2 shown]
	v_lshl_add_u32 v142, v35, 4, v6
	v_add_u32_e32 v143, 0xae10, v4
	v_add_u32_e32 v144, 0xaa10, v3
	;; [unrolled: 1-line block ×3, first 2 shown]
	s_movk_i32 s1, 0x1f00
	s_movk_i32 s15, 0xf000
	;; [unrolled: 1-line block ×3, first 2 shown]
	v_add_u32_e32 v148, v8, v9
	v_add_u32_e32 v149, v10, v11
	;; [unrolled: 1-line block ×4, first 2 shown]
	v_mov_b32_e32 v152, 8
	v_mov_b64_e32 v[24:25], v[36:37]
	v_mov_b64_e32 v[16:17], v[36:37]
	;; [unrolled: 1-line block ×15, first 2 shown]
	s_branch .LBB161_6
.LBB161_5:                              ;   in Loop: Header=BB161_6 Depth=1
	s_add_i32 s0, s0, 8
	s_cmp_ge_i32 s0, s6
	s_cbranch_scc1 .LBB161_12
.LBB161_6:                              ; =>This Loop Header: Depth=1
                                        ;     Child Loop BB161_7 Depth 2
                                        ;     Child Loop BB161_10 Depth 2
	s_mul_i32 s4, s0, 22
	s_mul_hi_u32 s5, s0, 22
	s_add_u32 s4, s7, s4
	s_addc_u32 s5, s9, s5
	v_mad_u64_u32 v[82:83], s[18:19], v0, 22, s[4:5]
	v_mad_u64_u32 v[88:89], s[18:19], v34, 22, v[82:83]
	v_lshl_add_u64 v[92:93], v[88:89], 0, v[32:33]
	v_mad_u64_u32 v[98:99], s[18:19], v42, 22, v[82:83]
	v_mad_u64_u32 v[94:95], s[18:19], v38, 22, v[82:83]
	;; [unrolled: 1-line block ×3, first 2 shown]
	global_load_dword v84, v[98:99], off offset:2
	global_load_dword v86, v[96:97], off offset:2
	;; [unrolled: 1-line block ×4, first 2 shown]
	s_nop 0
	global_load_dword v92, v[92:93], off offset:6
	v_lshl_add_u64 v[88:89], v[94:95], 0, v[32:33]
	global_load_dword v93, v[88:89], off offset:6
	v_lshl_add_u64 v[88:89], v[96:97], 0, v[32:33]
	;; [unrolled: 2-line block ×3, first 2 shown]
	global_load_dword v107, v[88:89], off offset:6
	v_mov_b32_e32 v153, v142
	v_mov_b32_e32 v154, v141
	;; [unrolled: 1-line block ×7, first 2 shown]
	s_waitcnt vmcnt(7)
	v_ashrrev_i32_e32 v84, v32, v84
	s_waitcnt vmcnt(6)
	v_ashrrev_i32_e32 v86, v32, v86
	;; [unrolled: 2-line block ×4, first 2 shown]
	v_lshlrev_b32_e32 v95, 4, v88
	v_lshlrev_b32_e32 v96, 11, v88
	;; [unrolled: 1-line block ×4, first 2 shown]
	v_lshrrev_b32_e32 v99, 12, v88
	v_lshrrev_b32_e32 v100, 5, v88
	v_lshlrev_b32_e32 v101, 2, v88
	s_waitcnt vmcnt(3)
	v_and_b32_e32 v89, 0xf0f0f0f, v92
	v_lshrrev_b32_e32 v92, 4, v92
	v_lshlrev_b32_e32 v88, 9, v88
	v_lshlrev_b32_e32 v102, 4, v90
	v_lshlrev_b32_e32 v103, 11, v90
	v_lshlrev_b32_e32 v104, 18, v90
	v_lshlrev_b32_e32 v105, 25, v90
	v_and_b32_e32 v95, 16, v95
	v_and_b32_e32 v96, 0x1000, v96
	;; [unrolled: 1-line block ×7, first 2 shown]
	s_waitcnt vmcnt(2)
	v_and_b32_e32 v94, 0xf0f0f0f, v93
	v_and_b32_e32 v92, 0xf0f0f0f, v92
	;; [unrolled: 1-line block ×7, first 2 shown]
	v_or3_b32 v95, v95, v89, v96
	v_or3_b32 v89, v89, v97, v98
	;; [unrolled: 1-line block ×5, first 2 shown]
	v_and_b32_e32 v98, 0x1f00, v95
	v_lshlrev_b16_e32 v95, 8, v95
	v_and_b32_sdwa v99, v89, s1 dst_sel:DWORD dst_unused:UNUSED_PAD src0_sel:WORD_1 src1_sel:DWORD
	v_lshlrev_b16_sdwa v89, v152, v89 dst_sel:DWORD dst_unused:UNUSED_PAD src0_sel:DWORD src1_sel:WORD_1
	v_or3_b32 v88, v96, v88, v92
	v_and_b32_e32 v92, 0x1f00, v97
	v_lshlrev_b16_e32 v96, 8, v97
	v_and_b32_sdwa v97, v94, s1 dst_sel:DWORD dst_unused:UNUSED_PAD src0_sel:WORD_1 src1_sel:DWORD
	v_lshlrev_b16_sdwa v94, v152, v94 dst_sel:DWORD dst_unused:UNUSED_PAD src0_sel:DWORD src1_sel:WORD_1
	v_add_u16_e32 v95, 0xf000, v95
	v_add_u16_e32 v89, 0xf000, v89
	v_lshlrev_b16_e32 v101, 8, v88
	v_and_b32_sdwa v102, v88, s16 dst_sel:DWORD dst_unused:UNUSED_PAD src0_sel:WORD_1 src1_sel:DWORD
	v_and_b32_e32 v100, 0x1f00, v88
	v_lshlrev_b16_sdwa v88, v152, v88 dst_sel:DWORD dst_unused:UNUSED_PAD src0_sel:DWORD src1_sel:WORD_1
	v_add_u16_e32 v96, 0xf000, v96
	v_add_u16_e32 v94, 0xf000, v94
	v_or_b32_sdwa v95, v98, v95 dst_sel:DWORD dst_unused:UNUSED_PAD src0_sel:DWORD src1_sel:BYTE_1
	v_or_b32_sdwa v89, v99, v89 dst_sel:DWORD dst_unused:UNUSED_PAD src0_sel:DWORD src1_sel:BYTE_1
	v_add_i16 v98, v101, s15 clamp
	v_add_i16 v99, v102, s15 clamp
	;; [unrolled: 1-line block ×3, first 2 shown]
	v_or_b32_sdwa v92, v92, v96 dst_sel:DWORD dst_unused:UNUSED_PAD src0_sel:DWORD src1_sel:BYTE_1
	v_or_b32_sdwa v94, v97, v94 dst_sel:DWORD dst_unused:UNUSED_PAD src0_sel:DWORD src1_sel:BYTE_1
	v_add_u16_e32 v95, 0xf000, v95
	v_add_u16_sdwa v89, v89, s15 dst_sel:WORD_1 dst_unused:UNUSED_PAD src0_sel:DWORD src1_sel:DWORD
	v_or_b32_sdwa v96, v100, v98 dst_sel:DWORD dst_unused:UNUSED_PAD src0_sel:DWORD src1_sel:BYTE_1
	v_and_b32_e32 v97, 0xffffff00, v99
	v_or_b32_e32 v89, v95, v89
	v_add_u16_e32 v95, 0xf000, v96
	v_or_b32_sdwa v88, v88, v97 dst_sel:WORD_1 dst_unused:UNUSED_PAD src0_sel:BYTE_1 src1_sel:DWORD
	v_add_u16_e32 v92, 0xf000, v92
	v_add_u16_sdwa v94, v94, s15 dst_sel:WORD_1 dst_unused:UNUSED_PAD src0_sel:DWORD src1_sel:DWORD
	v_or_b32_e32 v88, v95, v88
	v_or_b32_e32 v92, v92, v94
	ds_write2_b32 v41, v89, v88 offset1:1
	v_lshrrev_b32_e32 v88, 4, v93
	v_lshrrev_b32_e32 v89, 12, v90
	;; [unrolled: 1-line block ×3, first 2 shown]
	v_lshlrev_b32_e32 v94, 2, v90
	v_and_b32_e32 v89, 16, v89
	v_and_b32_e32 v93, 0x1000, v93
	v_and_b32_e32 v94, 0x100000, v94
	v_lshlrev_b32_e32 v90, 9, v90
	v_and_b32_e32 v88, 0xf0f0f0f, v88
	v_and_b32_e32 v90, 0x10000000, v90
	v_or3_b32 v89, v93, v89, v94
	v_or3_b32 v88, v89, v90, v88
	v_lshlrev_b16_e32 v90, 8, v88
	v_and_b32_e32 v89, 0x1f00, v88
	v_add_i16 v90, v90, s15 clamp
	v_or_b32_sdwa v89, v89, v90 dst_sel:DWORD dst_unused:UNUSED_PAD src0_sel:DWORD src1_sel:BYTE_1
	v_and_b32_sdwa v90, v88, s16 dst_sel:DWORD dst_unused:UNUSED_PAD src0_sel:WORD_1 src1_sel:DWORD
	v_add_i16 v90, v90, s15 clamp
	v_lshlrev_b16_sdwa v88, v152, v88 dst_sel:DWORD dst_unused:UNUSED_PAD src0_sel:DWORD src1_sel:WORD_1
	v_and_b32_e32 v90, 0xffffff00, v90
	v_add_i16 v88, v88, s15 clamp
	v_add_u16_e32 v89, 0xf000, v89
	v_or_b32_sdwa v88, v88, v90 dst_sel:WORD_1 dst_unused:UNUSED_PAD src0_sel:BYTE_1 src1_sel:DWORD
	v_lshlrev_b32_e32 v90, 11, v86
	v_or_b32_e32 v88, v89, v88
	v_lshlrev_b32_e32 v89, 4, v86
	ds_write2_b32 v43, v92, v88 offset1:1
	s_waitcnt vmcnt(1)
	v_and_b32_e32 v88, 0xf0f0f0f, v106
	v_and_b32_e32 v89, 16, v89
	v_and_b32_e32 v90, 0x1000, v90
	v_or3_b32 v89, v89, v88, v90
	v_lshlrev_b32_e32 v90, 18, v86
	v_lshlrev_b32_e32 v92, 25, v86
	v_and_b32_e32 v90, 0x100000, v90
	v_and_b32_e32 v92, 0x10000000, v92
	v_or3_b32 v90, v88, v90, v92
	v_and_b32_e32 v88, 0x1f00, v89
	v_lshlrev_b16_e32 v89, 8, v89
	v_add_u16_e32 v89, 0xf000, v89
	v_or_b32_sdwa v88, v88, v89 dst_sel:DWORD dst_unused:UNUSED_PAD src0_sel:DWORD src1_sel:BYTE_1
	v_add_u16_e32 v108, 0xf000, v88
	v_mad_u64_u32 v[88:89], s[18:19], v44, 22, v[82:83]
	v_mad_u64_u32 v[94:95], s[18:19], v46, 22, v[82:83]
	;; [unrolled: 1-line block ×3, first 2 shown]
	v_lshl_add_u64 v[92:93], v[88:89], 0, v[32:33]
	v_lshl_add_u64 v[96:97], v[94:95], 0, v[32:33]
	v_mad_u64_u32 v[98:99], s[18:19], v48, 22, v[82:83]
	v_lshl_add_u64 v[104:105], v[102:103], 0, v[32:33]
	v_lshl_add_u64 v[100:101], v[98:99], 0, v[32:33]
	global_load_dword v109, v[104:105], off offset:6
	global_load_dword v110, v[102:103], off offset:2
	;; [unrolled: 1-line block ×3, first 2 shown]
	s_nop 0
	global_load_dword v98, v[98:99], off offset:2
	s_nop 0
	global_load_dword v96, v[96:97], off offset:6
	;; [unrolled: 2-line block ×5, first 2 shown]
	v_and_b32_sdwa v89, v90, s1 dst_sel:DWORD dst_unused:UNUSED_PAD src0_sel:WORD_1 src1_sel:DWORD
	v_lshlrev_b16_sdwa v90, v152, v90 dst_sel:DWORD dst_unused:UNUSED_PAD src0_sel:DWORD src1_sel:WORD_1
	v_add_u16_e32 v90, 0xf000, v90
	v_lshrrev_b32_e32 v93, 12, v86
	v_lshrrev_b32_e32 v95, 5, v86
	v_lshlrev_b32_e32 v97, 2, v86
	v_or_b32_sdwa v89, v89, v90 dst_sel:DWORD dst_unused:UNUSED_PAD src0_sel:DWORD src1_sel:BYTE_1
	v_lshrrev_b32_e32 v90, 4, v106
	v_and_b32_e32 v93, 16, v93
	v_and_b32_e32 v95, 0x1000, v95
	;; [unrolled: 1-line block ×3, first 2 shown]
	v_lshlrev_b32_e32 v86, 9, v86
	v_and_b32_e32 v90, 0xf0f0f0f, v90
	v_and_b32_e32 v86, 0x10000000, v86
	v_or3_b32 v93, v95, v93, v97
	v_or3_b32 v86, v93, v86, v90
	v_lshlrev_b16_e32 v93, 8, v86
	v_and_b32_e32 v90, 0x1f00, v86
	v_add_i16 v93, v93, s15 clamp
	v_or_b32_sdwa v90, v90, v93 dst_sel:DWORD dst_unused:UNUSED_PAD src0_sel:DWORD src1_sel:BYTE_1
	v_and_b32_sdwa v93, v86, s16 dst_sel:DWORD dst_unused:UNUSED_PAD src0_sel:WORD_1 src1_sel:DWORD
	v_add_i16 v93, v93, s15 clamp
	v_lshlrev_b16_sdwa v86, v152, v86 dst_sel:DWORD dst_unused:UNUSED_PAD src0_sel:DWORD src1_sel:WORD_1
	v_and_b32_e32 v93, 0xffffff00, v93
	v_add_i16 v86, v86, s15 clamp
	v_add_u16_sdwa v89, v89, s15 dst_sel:WORD_1 dst_unused:UNUSED_PAD src0_sel:DWORD src1_sel:DWORD
	v_add_u16_e32 v90, 0xf000, v90
	v_or_b32_sdwa v86, v86, v93 dst_sel:WORD_1 dst_unused:UNUSED_PAD src0_sel:BYTE_1 src1_sel:DWORD
	v_or_b32_e32 v89, v108, v89
	v_or_b32_e32 v86, v90, v86
	ds_write2_b32 v45, v89, v86 offset1:1
	v_lshlrev_b32_e32 v89, 4, v84
	v_lshlrev_b32_e32 v90, 11, v84
	s_waitcnt vmcnt(8)
	v_and_b32_e32 v86, 0xf0f0f0f, v107
	v_and_b32_e32 v89, 16, v89
	;; [unrolled: 1-line block ×3, first 2 shown]
	v_or3_b32 v89, v89, v86, v90
	v_lshlrev_b32_e32 v90, 18, v84
	v_lshlrev_b32_e32 v93, 25, v84
	v_and_b32_e32 v90, 0x100000, v90
	v_and_b32_e32 v93, 0x10000000, v93
	v_or3_b32 v86, v86, v90, v93
	v_and_b32_e32 v90, 0x1f00, v89
	v_lshlrev_b16_e32 v89, 8, v89
	v_add_u16_e32 v89, 0xf000, v89
	v_or_b32_sdwa v89, v90, v89 dst_sel:DWORD dst_unused:UNUSED_PAD src0_sel:DWORD src1_sel:BYTE_1
	v_and_b32_sdwa v90, v86, s1 dst_sel:DWORD dst_unused:UNUSED_PAD src0_sel:WORD_1 src1_sel:DWORD
	v_lshlrev_b16_sdwa v86, v152, v86 dst_sel:DWORD dst_unused:UNUSED_PAD src0_sel:DWORD src1_sel:WORD_1
	v_add_u16_e32 v86, 0xf000, v86
	v_or_b32_sdwa v86, v90, v86 dst_sel:DWORD dst_unused:UNUSED_PAD src0_sel:DWORD src1_sel:BYTE_1
	v_add_u16_e32 v89, 0xf000, v89
	v_add_u16_sdwa v86, v86, s15 dst_sel:WORD_1 dst_unused:UNUSED_PAD src0_sel:DWORD src1_sel:DWORD
	v_lshrrev_b32_e32 v90, 12, v84
	v_lshrrev_b32_e32 v93, 5, v84
	v_lshlrev_b32_e32 v95, 2, v84
	v_or_b32_e32 v86, v89, v86
	v_lshrrev_b32_e32 v89, 4, v107
	v_and_b32_e32 v90, 16, v90
	v_and_b32_e32 v93, 0x1000, v93
	;; [unrolled: 1-line block ×3, first 2 shown]
	v_lshlrev_b32_e32 v84, 9, v84
	v_and_b32_e32 v89, 0xf0f0f0f, v89
	v_and_b32_e32 v84, 0x10000000, v84
	v_or3_b32 v90, v93, v90, v95
	v_or3_b32 v84, v90, v84, v89
	v_lshlrev_b16_e32 v90, 8, v84
	v_and_b32_e32 v89, 0x1f00, v84
	v_add_i16 v90, v90, s15 clamp
	v_or_b32_sdwa v89, v89, v90 dst_sel:DWORD dst_unused:UNUSED_PAD src0_sel:DWORD src1_sel:BYTE_1
	v_and_b32_sdwa v90, v84, s16 dst_sel:DWORD dst_unused:UNUSED_PAD src0_sel:WORD_1 src1_sel:DWORD
	v_add_i16 v90, v90, s15 clamp
	v_lshlrev_b16_sdwa v84, v152, v84 dst_sel:DWORD dst_unused:UNUSED_PAD src0_sel:DWORD src1_sel:WORD_1
	v_and_b32_e32 v90, 0xffffff00, v90
	v_add_i16 v84, v84, s15 clamp
	v_add_u16_e32 v89, 0xf000, v89
	v_or_b32_sdwa v84, v84, v90 dst_sel:WORD_1 dst_unused:UNUSED_PAD src0_sel:BYTE_1 src1_sel:DWORD
	v_mad_u64_u32 v[102:103], s[18:19], v58, 22, v[82:83]
	v_or_b32_e32 v84, v89, v84
	ds_write2_b32 v47, v86, v84 offset1:1
	s_waitcnt vmcnt(0)
	v_ashrrev_i32_e32 v84, v32, v88
	v_lshlrev_b32_e32 v88, 4, v84
	v_lshlrev_b32_e32 v89, 11, v84
	v_and_b32_e32 v86, 0xf0f0f0f, v92
	v_and_b32_e32 v88, 16, v88
	;; [unrolled: 1-line block ×3, first 2 shown]
	v_or3_b32 v88, v88, v86, v89
	v_lshlrev_b32_e32 v89, 18, v84
	v_lshlrev_b32_e32 v90, 25, v84
	v_and_b32_e32 v89, 0x100000, v89
	v_and_b32_e32 v90, 0x10000000, v90
	v_or3_b32 v86, v86, v89, v90
	v_and_b32_e32 v89, 0x1f00, v88
	v_lshlrev_b16_e32 v88, 8, v88
	v_add_u16_e32 v88, 0xf000, v88
	v_or_b32_sdwa v88, v89, v88 dst_sel:DWORD dst_unused:UNUSED_PAD src0_sel:DWORD src1_sel:BYTE_1
	v_and_b32_sdwa v89, v86, s1 dst_sel:DWORD dst_unused:UNUSED_PAD src0_sel:WORD_1 src1_sel:DWORD
	v_lshlrev_b16_sdwa v86, v152, v86 dst_sel:DWORD dst_unused:UNUSED_PAD src0_sel:DWORD src1_sel:WORD_1
	v_add_u16_e32 v86, 0xf000, v86
	v_or_b32_sdwa v86, v89, v86 dst_sel:DWORD dst_unused:UNUSED_PAD src0_sel:DWORD src1_sel:BYTE_1
	v_add_u16_e32 v88, 0xf000, v88
	v_add_u16_sdwa v86, v86, s15 dst_sel:WORD_1 dst_unused:UNUSED_PAD src0_sel:DWORD src1_sel:DWORD
	v_lshrrev_b32_e32 v89, 12, v84
	v_or_b32_e32 v86, v88, v86
	v_lshrrev_b32_e32 v88, 4, v92
	v_lshrrev_b32_e32 v90, 5, v84
	v_lshlrev_b32_e32 v92, 2, v84
	v_and_b32_e32 v89, 16, v89
	v_and_b32_e32 v90, 0x1000, v90
	;; [unrolled: 1-line block ×3, first 2 shown]
	v_lshlrev_b32_e32 v84, 9, v84
	v_and_b32_e32 v88, 0xf0f0f0f, v88
	v_and_b32_e32 v84, 0x10000000, v84
	v_or3_b32 v89, v90, v89, v92
	v_or3_b32 v84, v89, v84, v88
	v_lshlrev_b16_e32 v89, 8, v84
	v_and_b32_e32 v88, 0x1f00, v84
	v_add_i16 v89, v89, s15 clamp
	v_or_b32_sdwa v88, v88, v89 dst_sel:DWORD dst_unused:UNUSED_PAD src0_sel:DWORD src1_sel:BYTE_1
	v_and_b32_sdwa v89, v84, s16 dst_sel:DWORD dst_unused:UNUSED_PAD src0_sel:WORD_1 src1_sel:DWORD
	v_add_i16 v89, v89, s15 clamp
	v_lshlrev_b16_sdwa v84, v152, v84 dst_sel:DWORD dst_unused:UNUSED_PAD src0_sel:DWORD src1_sel:WORD_1
	v_and_b32_e32 v89, 0xffffff00, v89
	v_add_i16 v84, v84, s15 clamp
	v_add_u16_e32 v88, 0xf000, v88
	v_or_b32_sdwa v84, v84, v89 dst_sel:WORD_1 dst_unused:UNUSED_PAD src0_sel:BYTE_1 src1_sel:DWORD
	v_lshl_add_u64 v[104:105], v[102:103], 0, v[32:33]
	v_or_b32_e32 v84, v88, v84
	ds_write2_b32 v49, v86, v84 offset1:1
	v_ashrrev_i32_e32 v84, v32, v94
	v_lshlrev_b32_e32 v88, 4, v84
	v_lshlrev_b32_e32 v89, 11, v84
	v_and_b32_e32 v86, 0xf0f0f0f, v96
	v_and_b32_e32 v88, 16, v88
	;; [unrolled: 1-line block ×3, first 2 shown]
	v_or3_b32 v88, v88, v86, v89
	v_lshlrev_b32_e32 v89, 18, v84
	v_lshlrev_b32_e32 v90, 25, v84
	v_and_b32_e32 v89, 0x100000, v89
	v_and_b32_e32 v90, 0x10000000, v90
	v_or3_b32 v86, v86, v89, v90
	v_and_b32_e32 v89, 0x1f00, v88
	v_lshlrev_b16_e32 v88, 8, v88
	v_add_u16_e32 v88, 0xf000, v88
	v_or_b32_sdwa v88, v89, v88 dst_sel:DWORD dst_unused:UNUSED_PAD src0_sel:DWORD src1_sel:BYTE_1
	v_and_b32_sdwa v89, v86, s1 dst_sel:DWORD dst_unused:UNUSED_PAD src0_sel:WORD_1 src1_sel:DWORD
	v_lshlrev_b16_sdwa v86, v152, v86 dst_sel:DWORD dst_unused:UNUSED_PAD src0_sel:DWORD src1_sel:WORD_1
	v_add_u16_e32 v86, 0xf000, v86
	v_or_b32_sdwa v86, v89, v86 dst_sel:DWORD dst_unused:UNUSED_PAD src0_sel:DWORD src1_sel:BYTE_1
	v_add_u16_e32 v88, 0xf000, v88
	v_add_u16_sdwa v86, v86, s15 dst_sel:WORD_1 dst_unused:UNUSED_PAD src0_sel:DWORD src1_sel:DWORD
	v_lshrrev_b32_e32 v89, 12, v84
	v_lshrrev_b32_e32 v90, 5, v84
	v_lshlrev_b32_e32 v92, 2, v84
	v_or_b32_e32 v86, v88, v86
	v_lshrrev_b32_e32 v88, 4, v96
	v_and_b32_e32 v89, 16, v89
	v_and_b32_e32 v90, 0x1000, v90
	;; [unrolled: 1-line block ×3, first 2 shown]
	v_lshlrev_b32_e32 v84, 9, v84
	v_and_b32_e32 v88, 0xf0f0f0f, v88
	v_and_b32_e32 v84, 0x10000000, v84
	v_or3_b32 v89, v90, v89, v92
	v_or3_b32 v84, v89, v84, v88
	v_lshlrev_b16_e32 v89, 8, v84
	v_and_b32_e32 v88, 0x1f00, v84
	v_add_i16 v89, v89, s15 clamp
	v_or_b32_sdwa v88, v88, v89 dst_sel:DWORD dst_unused:UNUSED_PAD src0_sel:DWORD src1_sel:BYTE_1
	v_and_b32_sdwa v89, v84, s16 dst_sel:DWORD dst_unused:UNUSED_PAD src0_sel:WORD_1 src1_sel:DWORD
	v_add_i16 v89, v89, s15 clamp
	v_lshlrev_b16_sdwa v84, v152, v84 dst_sel:DWORD dst_unused:UNUSED_PAD src0_sel:DWORD src1_sel:WORD_1
	v_and_b32_e32 v89, 0xffffff00, v89
	v_add_i16 v84, v84, s15 clamp
	v_add_u16_e32 v88, 0xf000, v88
	v_or_b32_sdwa v84, v84, v89 dst_sel:WORD_1 dst_unused:UNUSED_PAD src0_sel:BYTE_1 src1_sel:DWORD
	v_mad_u64_u32 v[94:95], s[18:19], v54, 22, v[82:83]
	v_or_b32_e32 v84, v88, v84
	ds_write2_b32 v51, v86, v84 offset1:1
	v_ashrrev_i32_e32 v84, v32, v98
	v_lshlrev_b32_e32 v88, 4, v84
	v_lshlrev_b32_e32 v89, 11, v84
	v_and_b32_e32 v86, 0xf0f0f0f, v111
	v_and_b32_e32 v88, 16, v88
	;; [unrolled: 1-line block ×3, first 2 shown]
	v_or3_b32 v88, v88, v86, v89
	v_lshlrev_b32_e32 v89, 18, v84
	v_lshlrev_b32_e32 v90, 25, v84
	v_and_b32_e32 v89, 0x100000, v89
	v_and_b32_e32 v90, 0x10000000, v90
	v_or3_b32 v86, v86, v89, v90
	v_and_b32_e32 v89, 0x1f00, v88
	v_lshlrev_b16_e32 v88, 8, v88
	v_add_u16_e32 v88, 0xf000, v88
	v_or_b32_sdwa v88, v89, v88 dst_sel:DWORD dst_unused:UNUSED_PAD src0_sel:DWORD src1_sel:BYTE_1
	v_add_u16_e32 v90, 0xf000, v88
	v_mad_u64_u32 v[88:89], s[18:19], v52, 22, v[82:83]
	v_lshl_add_u64 v[92:93], v[88:89], 0, v[32:33]
	v_lshl_add_u64 v[96:97], v[94:95], 0, v[32:33]
	v_mad_u64_u32 v[98:99], s[18:19], v56, 22, v[82:83]
	v_lshl_add_u64 v[100:101], v[98:99], 0, v[32:33]
	global_load_dword v104, v[104:105], off offset:6
	s_nop 0
	global_load_dword v105, v[102:103], off offset:2
	global_load_dword v106, v[100:101], off offset:6
	s_nop 0
	global_load_dword v98, v[98:99], off offset:2
	s_nop 0
	;; [unrolled: 2-line block ×5, first 2 shown]
	global_load_dword v88, v[88:89], off offset:2
	v_and_b32_sdwa v89, v86, s1 dst_sel:DWORD dst_unused:UNUSED_PAD src0_sel:WORD_1 src1_sel:DWORD
	v_lshlrev_b16_sdwa v86, v152, v86 dst_sel:DWORD dst_unused:UNUSED_PAD src0_sel:DWORD src1_sel:WORD_1
	v_add_u16_e32 v86, 0xf000, v86
	v_or_b32_sdwa v86, v89, v86 dst_sel:DWORD dst_unused:UNUSED_PAD src0_sel:DWORD src1_sel:BYTE_1
	v_add_u16_sdwa v86, v86, s15 dst_sel:WORD_1 dst_unused:UNUSED_PAD src0_sel:DWORD src1_sel:DWORD
	v_lshrrev_b32_e32 v93, 5, v84
	v_or_b32_e32 v86, v90, v86
	v_lshrrev_b32_e32 v90, 12, v84
	v_lshlrev_b32_e32 v95, 2, v84
	v_lshrrev_b32_e32 v89, 4, v111
	v_and_b32_e32 v90, 16, v90
	v_and_b32_e32 v93, 0x1000, v93
	;; [unrolled: 1-line block ×3, first 2 shown]
	v_lshlrev_b32_e32 v84, 9, v84
	v_and_b32_e32 v89, 0xf0f0f0f, v89
	v_and_b32_e32 v84, 0x10000000, v84
	v_or3_b32 v90, v93, v90, v95
	v_or3_b32 v84, v90, v84, v89
	v_lshlrev_b16_e32 v90, 8, v84
	v_and_b32_e32 v89, 0x1f00, v84
	v_add_i16 v90, v90, s15 clamp
	v_or_b32_sdwa v89, v89, v90 dst_sel:DWORD dst_unused:UNUSED_PAD src0_sel:DWORD src1_sel:BYTE_1
	v_and_b32_sdwa v90, v84, s16 dst_sel:DWORD dst_unused:UNUSED_PAD src0_sel:WORD_1 src1_sel:DWORD
	v_add_i16 v90, v90, s15 clamp
	v_lshlrev_b16_sdwa v84, v152, v84 dst_sel:DWORD dst_unused:UNUSED_PAD src0_sel:DWORD src1_sel:WORD_1
	v_and_b32_e32 v90, 0xffffff00, v90
	v_add_i16 v84, v84, s15 clamp
	v_add_u16_e32 v89, 0xf000, v89
	v_or_b32_sdwa v84, v84, v90 dst_sel:WORD_1 dst_unused:UNUSED_PAD src0_sel:BYTE_1 src1_sel:DWORD
	s_nop 0
	v_or_b32_e32 v84, v89, v84
	ds_write2_b32 v53, v86, v84 offset1:1
	v_ashrrev_i32_e32 v84, v32, v110
	v_lshlrev_b32_e32 v89, 4, v84
	v_lshlrev_b32_e32 v90, 11, v84
	v_and_b32_e32 v86, 0xf0f0f0f, v109
	v_and_b32_e32 v89, 16, v89
	;; [unrolled: 1-line block ×3, first 2 shown]
	v_or3_b32 v89, v89, v86, v90
	v_lshlrev_b32_e32 v90, 18, v84
	v_lshlrev_b32_e32 v93, 25, v84
	v_and_b32_e32 v90, 0x100000, v90
	v_and_b32_e32 v93, 0x10000000, v93
	v_or3_b32 v86, v86, v90, v93
	v_and_b32_e32 v90, 0x1f00, v89
	v_lshlrev_b16_e32 v89, 8, v89
	v_add_u16_e32 v89, 0xf000, v89
	v_or_b32_sdwa v89, v90, v89 dst_sel:DWORD dst_unused:UNUSED_PAD src0_sel:DWORD src1_sel:BYTE_1
	v_and_b32_sdwa v90, v86, s1 dst_sel:DWORD dst_unused:UNUSED_PAD src0_sel:WORD_1 src1_sel:DWORD
	v_lshlrev_b16_sdwa v86, v152, v86 dst_sel:DWORD dst_unused:UNUSED_PAD src0_sel:DWORD src1_sel:WORD_1
	v_add_u16_e32 v86, 0xf000, v86
	v_or_b32_sdwa v86, v90, v86 dst_sel:DWORD dst_unused:UNUSED_PAD src0_sel:DWORD src1_sel:BYTE_1
	v_add_u16_e32 v89, 0xf000, v89
	v_add_u16_sdwa v86, v86, s15 dst_sel:WORD_1 dst_unused:UNUSED_PAD src0_sel:DWORD src1_sel:DWORD
	v_lshrrev_b32_e32 v90, 12, v84
	v_lshrrev_b32_e32 v93, 5, v84
	v_lshlrev_b32_e32 v95, 2, v84
	v_or_b32_e32 v86, v89, v86
	v_lshrrev_b32_e32 v89, 4, v109
	v_and_b32_e32 v90, 16, v90
	v_and_b32_e32 v93, 0x1000, v93
	;; [unrolled: 1-line block ×3, first 2 shown]
	v_lshlrev_b32_e32 v84, 9, v84
	v_and_b32_e32 v89, 0xf0f0f0f, v89
	v_and_b32_e32 v84, 0x10000000, v84
	v_or3_b32 v90, v93, v90, v95
	v_or3_b32 v84, v90, v84, v89
	v_lshlrev_b16_e32 v90, 8, v84
	v_and_b32_e32 v89, 0x1f00, v84
	v_add_i16 v90, v90, s15 clamp
	v_or_b32_sdwa v89, v89, v90 dst_sel:DWORD dst_unused:UNUSED_PAD src0_sel:DWORD src1_sel:BYTE_1
	v_and_b32_sdwa v90, v84, s16 dst_sel:DWORD dst_unused:UNUSED_PAD src0_sel:WORD_1 src1_sel:DWORD
	v_add_i16 v90, v90, s15 clamp
	v_lshlrev_b16_sdwa v84, v152, v84 dst_sel:DWORD dst_unused:UNUSED_PAD src0_sel:DWORD src1_sel:WORD_1
	v_and_b32_e32 v90, 0xffffff00, v90
	v_add_i16 v84, v84, s15 clamp
	v_add_u16_e32 v89, 0xf000, v89
	v_or_b32_sdwa v84, v84, v90 dst_sel:WORD_1 dst_unused:UNUSED_PAD src0_sel:BYTE_1 src1_sel:DWORD
	s_nop 0
	v_or_b32_e32 v84, v89, v84
	ds_write2_b32 v55, v86, v84 offset1:1
	s_waitcnt vmcnt(0)
	v_ashrrev_i32_e32 v84, v32, v88
	v_lshlrev_b32_e32 v88, 4, v84
	v_lshlrev_b32_e32 v89, 11, v84
	v_and_b32_e32 v86, 0xf0f0f0f, v92
	v_and_b32_e32 v88, 16, v88
	;; [unrolled: 1-line block ×3, first 2 shown]
	v_or3_b32 v88, v88, v86, v89
	v_lshlrev_b32_e32 v89, 18, v84
	v_lshlrev_b32_e32 v90, 25, v84
	v_and_b32_e32 v89, 0x100000, v89
	v_and_b32_e32 v90, 0x10000000, v90
	v_or3_b32 v86, v86, v89, v90
	v_and_b32_e32 v89, 0x1f00, v88
	v_lshlrev_b16_e32 v88, 8, v88
	v_add_u16_e32 v88, 0xf000, v88
	v_or_b32_sdwa v88, v89, v88 dst_sel:DWORD dst_unused:UNUSED_PAD src0_sel:DWORD src1_sel:BYTE_1
	v_and_b32_sdwa v89, v86, s1 dst_sel:DWORD dst_unused:UNUSED_PAD src0_sel:WORD_1 src1_sel:DWORD
	v_lshlrev_b16_sdwa v86, v152, v86 dst_sel:DWORD dst_unused:UNUSED_PAD src0_sel:DWORD src1_sel:WORD_1
	v_add_u16_e32 v86, 0xf000, v86
	v_or_b32_sdwa v86, v89, v86 dst_sel:DWORD dst_unused:UNUSED_PAD src0_sel:DWORD src1_sel:BYTE_1
	v_add_u16_e32 v88, 0xf000, v88
	v_add_u16_sdwa v86, v86, s15 dst_sel:WORD_1 dst_unused:UNUSED_PAD src0_sel:DWORD src1_sel:DWORD
	v_lshrrev_b32_e32 v89, 12, v84
	v_or_b32_e32 v86, v88, v86
	v_lshrrev_b32_e32 v88, 4, v92
	v_lshrrev_b32_e32 v90, 5, v84
	v_lshlrev_b32_e32 v92, 2, v84
	v_and_b32_e32 v89, 16, v89
	v_and_b32_e32 v90, 0x1000, v90
	;; [unrolled: 1-line block ×3, first 2 shown]
	v_lshlrev_b32_e32 v84, 9, v84
	v_and_b32_e32 v88, 0xf0f0f0f, v88
	v_and_b32_e32 v84, 0x10000000, v84
	v_or3_b32 v89, v90, v89, v92
	v_or3_b32 v84, v89, v84, v88
	v_lshlrev_b16_e32 v89, 8, v84
	v_and_b32_e32 v88, 0x1f00, v84
	v_add_i16 v89, v89, s15 clamp
	v_or_b32_sdwa v88, v88, v89 dst_sel:DWORD dst_unused:UNUSED_PAD src0_sel:DWORD src1_sel:BYTE_1
	v_and_b32_sdwa v89, v84, s16 dst_sel:DWORD dst_unused:UNUSED_PAD src0_sel:WORD_1 src1_sel:DWORD
	v_add_i16 v89, v89, s15 clamp
	v_lshlrev_b16_sdwa v84, v152, v84 dst_sel:DWORD dst_unused:UNUSED_PAD src0_sel:DWORD src1_sel:WORD_1
	v_and_b32_e32 v89, 0xffffff00, v89
	v_add_i16 v84, v84, s15 clamp
	v_add_u16_e32 v88, 0xf000, v88
	v_or_b32_sdwa v84, v84, v89 dst_sel:WORD_1 dst_unused:UNUSED_PAD src0_sel:BYTE_1 src1_sel:DWORD
	s_nop 0
	v_or_b32_e32 v84, v88, v84
	ds_write2_b32 v57, v86, v84 offset1:1
	v_ashrrev_i32_e32 v84, v32, v94
	v_lshlrev_b32_e32 v88, 4, v84
	v_lshlrev_b32_e32 v89, 11, v84
	v_and_b32_e32 v86, 0xf0f0f0f, v96
	v_and_b32_e32 v88, 16, v88
	v_and_b32_e32 v89, 0x1000, v89
	v_or3_b32 v88, v88, v86, v89
	v_lshlrev_b32_e32 v89, 18, v84
	v_lshlrev_b32_e32 v90, 25, v84
	v_and_b32_e32 v89, 0x100000, v89
	v_and_b32_e32 v90, 0x10000000, v90
	v_or3_b32 v86, v86, v89, v90
	v_and_b32_e32 v89, 0x1f00, v88
	v_lshlrev_b16_e32 v88, 8, v88
	v_add_u16_e32 v88, 0xf000, v88
	v_or_b32_sdwa v88, v89, v88 dst_sel:DWORD dst_unused:UNUSED_PAD src0_sel:DWORD src1_sel:BYTE_1
	v_and_b32_sdwa v89, v86, s1 dst_sel:DWORD dst_unused:UNUSED_PAD src0_sel:WORD_1 src1_sel:DWORD
	v_lshlrev_b16_sdwa v86, v152, v86 dst_sel:DWORD dst_unused:UNUSED_PAD src0_sel:DWORD src1_sel:WORD_1
	v_add_u16_e32 v86, 0xf000, v86
	v_or_b32_sdwa v86, v89, v86 dst_sel:DWORD dst_unused:UNUSED_PAD src0_sel:DWORD src1_sel:BYTE_1
	v_add_u16_e32 v88, 0xf000, v88
	v_add_u16_sdwa v86, v86, s15 dst_sel:WORD_1 dst_unused:UNUSED_PAD src0_sel:DWORD src1_sel:DWORD
	v_lshrrev_b32_e32 v89, 12, v84
	v_lshrrev_b32_e32 v90, 5, v84
	v_lshlrev_b32_e32 v92, 2, v84
	v_or_b32_e32 v86, v88, v86
	v_lshrrev_b32_e32 v88, 4, v96
	v_and_b32_e32 v89, 16, v89
	v_and_b32_e32 v90, 0x1000, v90
	;; [unrolled: 1-line block ×3, first 2 shown]
	v_lshlrev_b32_e32 v84, 9, v84
	v_and_b32_e32 v88, 0xf0f0f0f, v88
	v_and_b32_e32 v84, 0x10000000, v84
	v_or3_b32 v89, v90, v89, v92
	v_or3_b32 v84, v89, v84, v88
	v_lshlrev_b16_e32 v89, 8, v84
	v_and_b32_e32 v88, 0x1f00, v84
	v_add_i16 v89, v89, s15 clamp
	v_or_b32_sdwa v88, v88, v89 dst_sel:DWORD dst_unused:UNUSED_PAD src0_sel:DWORD src1_sel:BYTE_1
	v_and_b32_sdwa v89, v84, s16 dst_sel:DWORD dst_unused:UNUSED_PAD src0_sel:WORD_1 src1_sel:DWORD
	v_add_i16 v89, v89, s15 clamp
	v_lshlrev_b16_sdwa v84, v152, v84 dst_sel:DWORD dst_unused:UNUSED_PAD src0_sel:DWORD src1_sel:WORD_1
	v_and_b32_e32 v89, 0xffffff00, v89
	v_add_i16 v84, v84, s15 clamp
	v_add_u16_e32 v88, 0xf000, v88
	v_or_b32_sdwa v84, v84, v89 dst_sel:WORD_1 dst_unused:UNUSED_PAD src0_sel:BYTE_1 src1_sel:DWORD
	v_mad_u64_u32 v[94:95], s[18:19], v62, 22, v[82:83]
	v_or_b32_e32 v84, v88, v84
	ds_write2_b32 v59, v86, v84 offset1:1
	v_ashrrev_i32_e32 v84, v32, v98
	v_lshlrev_b32_e32 v88, 4, v84
	v_lshlrev_b32_e32 v89, 11, v84
	v_and_b32_e32 v86, 0xf0f0f0f, v106
	v_and_b32_e32 v88, 16, v88
	;; [unrolled: 1-line block ×3, first 2 shown]
	v_or3_b32 v88, v88, v86, v89
	v_lshlrev_b32_e32 v89, 18, v84
	v_lshlrev_b32_e32 v90, 25, v84
	v_and_b32_e32 v89, 0x100000, v89
	v_and_b32_e32 v90, 0x10000000, v90
	v_or3_b32 v86, v86, v89, v90
	v_and_b32_e32 v89, 0x1f00, v88
	v_lshlrev_b16_e32 v88, 8, v88
	v_add_u16_e32 v88, 0xf000, v88
	v_or_b32_sdwa v88, v89, v88 dst_sel:DWORD dst_unused:UNUSED_PAD src0_sel:DWORD src1_sel:BYTE_1
	v_add_u16_e32 v90, 0xf000, v88
	v_mad_u64_u32 v[88:89], s[18:19], v60, 22, v[82:83]
	v_mad_u64_u32 v[98:99], s[18:19], v64, 22, v[82:83]
	;; [unrolled: 1-line block ×3, first 2 shown]
	v_lshl_add_u64 v[92:93], v[88:89], 0, v[32:33]
	v_lshl_add_u64 v[96:97], v[94:95], 0, v[32:33]
	;; [unrolled: 1-line block ×4, first 2 shown]
	global_load_dword v108, v[102:103], off offset:6
	global_load_dword v109, v[82:83], off offset:2
	s_nop 0
	global_load_dword v82, v[100:101], off offset:6
	global_load_dword v83, v[98:99], off offset:2
	s_nop 0
	global_load_dword v96, v[96:97], off offset:6
	s_nop 0
	;; [unrolled: 2-line block ×4, first 2 shown]
	global_load_dword v88, v[88:89], off offset:2
	v_and_b32_sdwa v89, v86, s1 dst_sel:DWORD dst_unused:UNUSED_PAD src0_sel:WORD_1 src1_sel:DWORD
	v_lshlrev_b16_sdwa v86, v152, v86 dst_sel:DWORD dst_unused:UNUSED_PAD src0_sel:DWORD src1_sel:WORD_1
	v_add_u16_e32 v86, 0xf000, v86
	v_or_b32_sdwa v86, v89, v86 dst_sel:DWORD dst_unused:UNUSED_PAD src0_sel:DWORD src1_sel:BYTE_1
	v_add_u16_sdwa v86, v86, s15 dst_sel:WORD_1 dst_unused:UNUSED_PAD src0_sel:DWORD src1_sel:DWORD
	v_lshrrev_b32_e32 v93, 5, v84
	v_or_b32_e32 v86, v90, v86
	v_lshrrev_b32_e32 v90, 12, v84
	v_lshlrev_b32_e32 v95, 2, v84
	v_lshrrev_b32_e32 v89, 4, v106
	v_and_b32_e32 v90, 16, v90
	v_and_b32_e32 v93, 0x1000, v93
	;; [unrolled: 1-line block ×3, first 2 shown]
	v_lshlrev_b32_e32 v84, 9, v84
	v_and_b32_e32 v89, 0xf0f0f0f, v89
	v_and_b32_e32 v84, 0x10000000, v84
	v_or3_b32 v90, v93, v90, v95
	v_or3_b32 v84, v90, v84, v89
	v_lshlrev_b16_e32 v90, 8, v84
	v_and_b32_e32 v89, 0x1f00, v84
	v_add_i16 v90, v90, s15 clamp
	v_or_b32_sdwa v89, v89, v90 dst_sel:DWORD dst_unused:UNUSED_PAD src0_sel:DWORD src1_sel:BYTE_1
	v_and_b32_sdwa v90, v84, s16 dst_sel:DWORD dst_unused:UNUSED_PAD src0_sel:WORD_1 src1_sel:DWORD
	v_add_i16 v90, v90, s15 clamp
	v_lshlrev_b16_sdwa v84, v152, v84 dst_sel:DWORD dst_unused:UNUSED_PAD src0_sel:DWORD src1_sel:WORD_1
	v_and_b32_e32 v90, 0xffffff00, v90
	v_add_i16 v84, v84, s15 clamp
	v_add_u16_e32 v89, 0xf000, v89
	v_or_b32_sdwa v84, v84, v90 dst_sel:WORD_1 dst_unused:UNUSED_PAD src0_sel:BYTE_1 src1_sel:DWORD
	s_waitcnt vmcnt(4)
	v_ashrrev_i32_e32 v83, v32, v83
	v_or_b32_e32 v84, v89, v84
	ds_write2_b32 v61, v86, v84 offset1:1
	v_ashrrev_i32_e32 v84, v32, v105
	v_lshlrev_b32_e32 v89, 4, v84
	v_lshlrev_b32_e32 v90, 11, v84
	v_and_b32_e32 v86, 0xf0f0f0f, v104
	v_and_b32_e32 v89, 16, v89
	;; [unrolled: 1-line block ×3, first 2 shown]
	v_or3_b32 v89, v89, v86, v90
	v_lshlrev_b32_e32 v90, 18, v84
	v_lshlrev_b32_e32 v93, 25, v84
	v_and_b32_e32 v90, 0x100000, v90
	v_and_b32_e32 v93, 0x10000000, v93
	v_or3_b32 v86, v86, v90, v93
	v_and_b32_e32 v90, 0x1f00, v89
	v_lshlrev_b16_e32 v89, 8, v89
	v_add_u16_e32 v89, 0xf000, v89
	v_or_b32_sdwa v89, v90, v89 dst_sel:DWORD dst_unused:UNUSED_PAD src0_sel:DWORD src1_sel:BYTE_1
	v_and_b32_sdwa v90, v86, s1 dst_sel:DWORD dst_unused:UNUSED_PAD src0_sel:WORD_1 src1_sel:DWORD
	v_lshlrev_b16_sdwa v86, v152, v86 dst_sel:DWORD dst_unused:UNUSED_PAD src0_sel:DWORD src1_sel:WORD_1
	v_add_u16_e32 v86, 0xf000, v86
	v_or_b32_sdwa v86, v90, v86 dst_sel:DWORD dst_unused:UNUSED_PAD src0_sel:DWORD src1_sel:BYTE_1
	v_add_u16_e32 v89, 0xf000, v89
	v_add_u16_sdwa v86, v86, s15 dst_sel:WORD_1 dst_unused:UNUSED_PAD src0_sel:DWORD src1_sel:DWORD
	v_lshrrev_b32_e32 v90, 12, v84
	v_lshrrev_b32_e32 v93, 5, v84
	v_lshlrev_b32_e32 v95, 2, v84
	v_or_b32_e32 v86, v89, v86
	v_lshrrev_b32_e32 v89, 4, v104
	v_and_b32_e32 v90, 16, v90
	v_and_b32_e32 v93, 0x1000, v93
	;; [unrolled: 1-line block ×3, first 2 shown]
	v_lshlrev_b32_e32 v84, 9, v84
	v_and_b32_e32 v89, 0xf0f0f0f, v89
	v_and_b32_e32 v84, 0x10000000, v84
	v_or3_b32 v90, v93, v90, v95
	v_or3_b32 v84, v90, v84, v89
	v_lshlrev_b16_e32 v90, 8, v84
	v_and_b32_e32 v89, 0x1f00, v84
	v_add_i16 v90, v90, s15 clamp
	v_or_b32_sdwa v89, v89, v90 dst_sel:DWORD dst_unused:UNUSED_PAD src0_sel:DWORD src1_sel:BYTE_1
	v_and_b32_sdwa v90, v84, s16 dst_sel:DWORD dst_unused:UNUSED_PAD src0_sel:WORD_1 src1_sel:DWORD
	v_add_i16 v90, v90, s15 clamp
	v_lshlrev_b16_sdwa v84, v152, v84 dst_sel:DWORD dst_unused:UNUSED_PAD src0_sel:DWORD src1_sel:WORD_1
	v_and_b32_e32 v90, 0xffffff00, v90
	v_add_i16 v84, v84, s15 clamp
	v_add_u16_e32 v89, 0xf000, v89
	v_or_b32_sdwa v84, v84, v90 dst_sel:WORD_1 dst_unused:UNUSED_PAD src0_sel:BYTE_1 src1_sel:DWORD
	v_add_u32_e32 v104, s0, v73
	v_or_b32_e32 v84, v89, v84
	ds_write2_b32 v63, v86, v84 offset1:1
	s_waitcnt vmcnt(0)
	v_ashrrev_i32_e32 v84, v32, v88
	v_lshlrev_b32_e32 v88, 4, v84
	v_lshlrev_b32_e32 v89, 11, v84
	v_and_b32_e32 v86, 0xf0f0f0f, v92
	v_and_b32_e32 v88, 16, v88
	;; [unrolled: 1-line block ×3, first 2 shown]
	v_or3_b32 v88, v88, v86, v89
	v_lshlrev_b32_e32 v89, 18, v84
	v_lshlrev_b32_e32 v90, 25, v84
	v_and_b32_e32 v89, 0x100000, v89
	v_and_b32_e32 v90, 0x10000000, v90
	v_or3_b32 v86, v86, v89, v90
	v_and_b32_e32 v89, 0x1f00, v88
	v_lshlrev_b16_e32 v88, 8, v88
	v_add_u16_e32 v88, 0xf000, v88
	v_or_b32_sdwa v88, v89, v88 dst_sel:DWORD dst_unused:UNUSED_PAD src0_sel:DWORD src1_sel:BYTE_1
	v_and_b32_sdwa v89, v86, s1 dst_sel:DWORD dst_unused:UNUSED_PAD src0_sel:WORD_1 src1_sel:DWORD
	v_lshlrev_b16_sdwa v86, v152, v86 dst_sel:DWORD dst_unused:UNUSED_PAD src0_sel:DWORD src1_sel:WORD_1
	v_add_u16_e32 v86, 0xf000, v86
	v_or_b32_sdwa v86, v89, v86 dst_sel:DWORD dst_unused:UNUSED_PAD src0_sel:DWORD src1_sel:BYTE_1
	v_add_u16_e32 v88, 0xf000, v88
	v_add_u16_sdwa v86, v86, s15 dst_sel:WORD_1 dst_unused:UNUSED_PAD src0_sel:DWORD src1_sel:DWORD
	v_lshrrev_b32_e32 v89, 12, v84
	v_or_b32_e32 v86, v88, v86
	v_lshrrev_b32_e32 v88, 4, v92
	v_lshrrev_b32_e32 v90, 5, v84
	v_lshlrev_b32_e32 v92, 2, v84
	v_and_b32_e32 v89, 16, v89
	v_and_b32_e32 v90, 0x1000, v90
	;; [unrolled: 1-line block ×3, first 2 shown]
	v_lshlrev_b32_e32 v84, 9, v84
	v_and_b32_e32 v88, 0xf0f0f0f, v88
	v_and_b32_e32 v84, 0x10000000, v84
	v_or3_b32 v89, v90, v89, v92
	v_or3_b32 v84, v89, v84, v88
	v_lshlrev_b16_e32 v89, 8, v84
	v_and_b32_e32 v88, 0x1f00, v84
	v_add_i16 v89, v89, s15 clamp
	v_or_b32_sdwa v88, v88, v89 dst_sel:DWORD dst_unused:UNUSED_PAD src0_sel:DWORD src1_sel:BYTE_1
	v_and_b32_sdwa v89, v84, s16 dst_sel:DWORD dst_unused:UNUSED_PAD src0_sel:WORD_1 src1_sel:DWORD
	v_add_i16 v89, v89, s15 clamp
	v_lshlrev_b16_sdwa v84, v152, v84 dst_sel:DWORD dst_unused:UNUSED_PAD src0_sel:DWORD src1_sel:WORD_1
	v_and_b32_e32 v89, 0xffffff00, v89
	v_add_i16 v84, v84, s15 clamp
	v_add_u16_e32 v88, 0xf000, v88
	v_or_b32_sdwa v84, v84, v89 dst_sel:WORD_1 dst_unused:UNUSED_PAD src0_sel:BYTE_1 src1_sel:DWORD
	v_add_u32_e32 v98, v104, v127
	v_or_b32_e32 v84, v88, v84
	ds_write2_b32 v65, v86, v84 offset1:1
	v_ashrrev_i32_e32 v84, v32, v94
	v_lshlrev_b32_e32 v88, 4, v84
	v_lshlrev_b32_e32 v89, 11, v84
	v_and_b32_e32 v86, 0xf0f0f0f, v96
	v_and_b32_e32 v88, 16, v88
	;; [unrolled: 1-line block ×3, first 2 shown]
	v_or3_b32 v88, v88, v86, v89
	v_lshlrev_b32_e32 v89, 18, v84
	v_lshlrev_b32_e32 v90, 25, v84
	v_and_b32_e32 v89, 0x100000, v89
	v_and_b32_e32 v90, 0x10000000, v90
	v_or3_b32 v86, v86, v89, v90
	v_and_b32_e32 v89, 0x1f00, v88
	v_lshlrev_b16_e32 v88, 8, v88
	v_add_u16_e32 v88, 0xf000, v88
	v_or_b32_sdwa v88, v89, v88 dst_sel:DWORD dst_unused:UNUSED_PAD src0_sel:DWORD src1_sel:BYTE_1
	v_and_b32_sdwa v89, v86, s1 dst_sel:DWORD dst_unused:UNUSED_PAD src0_sel:WORD_1 src1_sel:DWORD
	v_lshlrev_b16_sdwa v86, v152, v86 dst_sel:DWORD dst_unused:UNUSED_PAD src0_sel:DWORD src1_sel:WORD_1
	v_add_u16_e32 v86, 0xf000, v86
	v_or_b32_sdwa v86, v89, v86 dst_sel:DWORD dst_unused:UNUSED_PAD src0_sel:DWORD src1_sel:BYTE_1
	v_add_u16_e32 v88, 0xf000, v88
	v_add_u16_sdwa v86, v86, s15 dst_sel:WORD_1 dst_unused:UNUSED_PAD src0_sel:DWORD src1_sel:DWORD
	v_lshrrev_b32_e32 v89, 12, v84
	v_lshrrev_b32_e32 v90, 5, v84
	v_lshlrev_b32_e32 v92, 2, v84
	v_or_b32_e32 v86, v88, v86
	v_lshrrev_b32_e32 v88, 4, v96
	v_and_b32_e32 v89, 16, v89
	v_and_b32_e32 v90, 0x1000, v90
	;; [unrolled: 1-line block ×3, first 2 shown]
	v_lshlrev_b32_e32 v84, 9, v84
	v_and_b32_e32 v88, 0xf0f0f0f, v88
	v_and_b32_e32 v84, 0x10000000, v84
	v_or3_b32 v89, v90, v89, v92
	v_or3_b32 v84, v89, v84, v88
	v_lshlrev_b16_e32 v89, 8, v84
	v_and_b32_e32 v88, 0x1f00, v84
	v_add_i16 v89, v89, s15 clamp
	v_or_b32_sdwa v88, v88, v89 dst_sel:DWORD dst_unused:UNUSED_PAD src0_sel:DWORD src1_sel:BYTE_1
	v_and_b32_sdwa v89, v84, s16 dst_sel:DWORD dst_unused:UNUSED_PAD src0_sel:WORD_1 src1_sel:DWORD
	v_add_i16 v89, v89, s15 clamp
	v_lshlrev_b16_sdwa v84, v152, v84 dst_sel:DWORD dst_unused:UNUSED_PAD src0_sel:DWORD src1_sel:WORD_1
	v_and_b32_e32 v89, 0xffffff00, v89
	v_add_i16 v84, v84, s15 clamp
	v_add_u16_e32 v88, 0xf000, v88
	v_or_b32_sdwa v84, v84, v89 dst_sel:WORD_1 dst_unused:UNUSED_PAD src0_sel:BYTE_1 src1_sel:DWORD
	v_lshlrev_b32_e32 v89, 25, v83
	v_or_b32_e32 v84, v88, v84
	ds_write2_b32 v67, v86, v84 offset1:1
	v_lshlrev_b32_e32 v86, 4, v83
	v_lshlrev_b32_e32 v88, 11, v83
	v_and_b32_e32 v84, 0xf0f0f0f, v82
	v_and_b32_e32 v86, 16, v86
	;; [unrolled: 1-line block ×3, first 2 shown]
	v_or3_b32 v86, v86, v84, v88
	v_lshlrev_b32_e32 v88, 18, v83
	v_and_b32_e32 v88, 0x100000, v88
	v_and_b32_e32 v89, 0x10000000, v89
	v_or3_b32 v84, v84, v88, v89
	v_and_b32_e32 v88, 0x1f00, v86
	v_lshlrev_b16_e32 v86, 8, v86
	v_add_u16_e32 v86, 0xf000, v86
	v_or_b32_sdwa v86, v88, v86 dst_sel:DWORD dst_unused:UNUSED_PAD src0_sel:DWORD src1_sel:BYTE_1
	v_and_b32_sdwa v88, v84, s1 dst_sel:DWORD dst_unused:UNUSED_PAD src0_sel:WORD_1 src1_sel:DWORD
	v_lshlrev_b16_sdwa v84, v152, v84 dst_sel:DWORD dst_unused:UNUSED_PAD src0_sel:DWORD src1_sel:WORD_1
	v_add_u16_e32 v84, 0xf000, v84
	v_or_b32_sdwa v84, v88, v84 dst_sel:DWORD dst_unused:UNUSED_PAD src0_sel:DWORD src1_sel:BYTE_1
	v_add_u16_e32 v86, 0xf000, v86
	v_add_u16_sdwa v84, v84, s15 dst_sel:WORD_1 dst_unused:UNUSED_PAD src0_sel:DWORD src1_sel:DWORD
	v_lshrrev_b32_e32 v82, 4, v82
	v_or_b32_e32 v84, v86, v84
	v_and_b32_e32 v86, 0xf0f0f0f, v82
	v_lshrrev_b32_e32 v82, 12, v83
	v_and_b32_e32 v90, 16, v82
	v_lshrrev_b32_e32 v82, 5, v83
	v_and_b32_e32 v110, 0x1000, v82
	v_lshlrev_b32_e32 v82, 2, v83
	v_and_b32_e32 v111, 0x100000, v82
	v_lshlrev_b32_e32 v82, 9, v83
	v_and_b32_e32 v112, 0x10000000, v82
	v_mad_u64_u32 v[82:83], s[4:5], v68, 22, s[4:5]
	v_mad_u64_u32 v[88:89], s[4:5], v70, 22, v[82:83]
	;; [unrolled: 1-line block ×5, first 2 shown]
	global_load_ushort v113, v[88:89], off
	global_load_ushort v114, v[92:93], off
	;; [unrolled: 1-line block ×3, first 2 shown]
	s_nop 0
	global_load_ushort v82, v[82:83], off
	v_add_u32_e32 v88, v104, v77
	v_add_u32_e32 v92, v104, v85
	;; [unrolled: 1-line block ×5, first 2 shown]
	v_mad_i64_i32 v[88:89], s[4:5], v88, 36, v[78:79]
	v_mad_i64_i32 v[92:93], s[4:5], v92, 36, v[78:79]
	;; [unrolled: 1-line block ×5, first 2 shown]
	v_add_u32_e32 v100, v104, v129
	v_add_u32_e32 v102, v104, v131
	;; [unrolled: 1-line block ×3, first 2 shown]
	v_mad_i64_i32 v[100:101], s[4:5], v100, 36, v[78:79]
	v_mad_i64_i32 v[102:103], s[4:5], v102, 36, v[78:79]
	;; [unrolled: 1-line block ×3, first 2 shown]
	v_mad_u64_u32 v[106:107], s[4:5], v83, 36, s[2:3]
	global_load_dword v88, v[88:89], off offset:4
	s_nop 0
	global_load_dword v89, v[92:93], off offset:4
	s_nop 0
	global_load_dword v92, v[94:95], off offset:4
	global_load_dword v93, v[96:97], off offset:4
	s_nop 0
	global_load_dword v94, v[98:99], off offset:4
	global_load_dword v95, v[106:107], off
	global_load_dword v96, v[100:101], off offset:4
	global_load_dword v97, v[102:103], off offset:4
	s_nop 0
	global_load_dword v98, v[104:105], off offset:4
	v_or3_b32 v90, v110, v90, v111
	v_or3_b32 v86, v90, v112, v86
	v_lshlrev_b16_e32 v99, 8, v86
	v_and_b32_e32 v90, 0x1f00, v86
	v_add_i16 v99, v99, s15 clamp
	v_or_b32_sdwa v90, v90, v99 dst_sel:DWORD dst_unused:UNUSED_PAD src0_sel:DWORD src1_sel:BYTE_1
	v_and_b32_sdwa v99, v86, s16 dst_sel:DWORD dst_unused:UNUSED_PAD src0_sel:WORD_1 src1_sel:DWORD
	v_add_i16 v99, v99, s15 clamp
	v_lshlrev_b16_sdwa v86, v152, v86 dst_sel:DWORD dst_unused:UNUSED_PAD src0_sel:DWORD src1_sel:WORD_1
	v_and_b32_e32 v99, 0xffffff00, v99
	v_add_i16 v86, v86, s15 clamp
	v_add_u16_e32 v90, 0xf000, v90
	v_or_b32_sdwa v86, v86, v99 dst_sel:WORD_1 dst_unused:UNUSED_PAD src0_sel:BYTE_1 src1_sel:DWORD
	s_mov_b32 s4, -4
	v_or_b32_e32 v86, v90, v86
	ds_write2_b32 v69, v84, v86 offset1:1
	v_ashrrev_i32_e32 v84, v32, v109
	v_lshlrev_b32_e32 v90, 4, v84
	v_lshlrev_b32_e32 v99, 11, v84
	v_and_b32_e32 v86, 0xf0f0f0f, v108
	v_and_b32_e32 v90, 16, v90
	v_and_b32_e32 v99, 0x1000, v99
	v_or3_b32 v90, v90, v86, v99
	v_lshlrev_b32_e32 v99, 18, v84
	v_lshlrev_b32_e32 v100, 25, v84
	v_and_b32_e32 v99, 0x100000, v99
	v_and_b32_e32 v100, 0x10000000, v100
	v_or3_b32 v86, v86, v99, v100
	v_and_b32_e32 v99, 0x1f00, v90
	v_lshlrev_b16_e32 v90, 8, v90
	v_add_u16_e32 v90, 0xf000, v90
	v_or_b32_sdwa v90, v99, v90 dst_sel:DWORD dst_unused:UNUSED_PAD src0_sel:DWORD src1_sel:BYTE_1
	v_and_b32_sdwa v99, v86, s1 dst_sel:DWORD dst_unused:UNUSED_PAD src0_sel:WORD_1 src1_sel:DWORD
	v_lshlrev_b16_sdwa v86, v152, v86 dst_sel:DWORD dst_unused:UNUSED_PAD src0_sel:DWORD src1_sel:WORD_1
	v_add_u16_e32 v86, 0xf000, v86
	v_or_b32_sdwa v86, v99, v86 dst_sel:DWORD dst_unused:UNUSED_PAD src0_sel:DWORD src1_sel:BYTE_1
	v_add_u16_e32 v90, 0xf000, v90
	v_add_u16_sdwa v86, v86, s15 dst_sel:WORD_1 dst_unused:UNUSED_PAD src0_sel:DWORD src1_sel:DWORD
	v_lshrrev_b32_e32 v99, 12, v84
	v_lshrrev_b32_e32 v100, 5, v84
	v_lshlrev_b32_e32 v101, 2, v84
	v_or_b32_e32 v86, v90, v86
	v_lshrrev_b32_e32 v90, 4, v108
	v_and_b32_e32 v99, 16, v99
	v_and_b32_e32 v100, 0x1000, v100
	;; [unrolled: 1-line block ×3, first 2 shown]
	v_lshlrev_b32_e32 v84, 9, v84
	v_and_b32_e32 v90, 0xf0f0f0f, v90
	v_and_b32_e32 v84, 0x10000000, v84
	v_or3_b32 v99, v100, v99, v101
	v_or3_b32 v84, v99, v84, v90
	v_lshlrev_b16_e32 v99, 8, v84
	v_and_b32_e32 v90, 0x1f00, v84
	v_add_i16 v99, v99, s15 clamp
	v_or_b32_sdwa v90, v90, v99 dst_sel:DWORD dst_unused:UNUSED_PAD src0_sel:DWORD src1_sel:BYTE_1
	v_and_b32_sdwa v99, v84, s16 dst_sel:DWORD dst_unused:UNUSED_PAD src0_sel:WORD_1 src1_sel:DWORD
	v_add_i16 v99, v99, s15 clamp
	v_lshlrev_b16_sdwa v84, v152, v84 dst_sel:DWORD dst_unused:UNUSED_PAD src0_sel:DWORD src1_sel:WORD_1
	v_and_b32_e32 v99, 0xffffff00, v99
	v_add_i16 v84, v84, s15 clamp
	v_add_u16_e32 v90, 0xf000, v90
	v_or_b32_sdwa v84, v84, v99 dst_sel:WORD_1 dst_unused:UNUSED_PAD src0_sel:BYTE_1 src1_sel:DWORD
	s_waitcnt vmcnt(9)
	v_cvt_f32_f16_e32 v82, v82
	v_or_b32_e32 v84, v90, v84
	ds_write2_b32 v71, v86, v84 offset1:1
	v_cvt_f32_f16_e32 v84, v113
	v_cvt_f32_f16_e32 v86, v114
	;; [unrolled: 1-line block ×3, first 2 shown]
	ds_write_b32 v148, v84
	ds_write_b32 v149, v86
	;; [unrolled: 1-line block ×4, first 2 shown]
	s_waitcnt vmcnt(8)
	ds_write_b32 v81, v88
	s_waitcnt vmcnt(7)
	ds_write_b32 v87, v89
	;; [unrolled: 2-line block ×5, first 2 shown]
	s_waitcnt vmcnt(3)
	v_cvt_f32_f16_e32 v82, v95
	s_waitcnt vmcnt(2)
	ds_write_b32 v130, v96
	s_waitcnt vmcnt(1)
	ds_write_b32 v132, v97
	;; [unrolled: 2-line block ×3, first 2 shown]
	ds_write_b32 v75, v82
	s_waitcnt lgkmcnt(0)
	s_barrier
.LBB161_7:                              ;   Parent Loop BB161_6 Depth=1
                                        ; =>  This Inner Loop Header: Depth=2
	v_add_u32_e32 v84, 0x2080, v155
	ds_read_b128 v[160:163], v154
	ds_read_b128 v[164:167], v154 offset:16
	ds_read2_b32 v[122:123], v153 offset1:32
	ds_read_b32 v86, v156
	ds_read2_b32 v[94:95], v155 offset1:1
	ds_read2_b32 v[102:103], v155 offset0:2 offset1:3
	ds_read2_b32 v[108:109], v155 offset0:4 offset1:5
	;; [unrolled: 1-line block ×3, first 2 shown]
	ds_read_b32 v82, v157
	ds_read2_b32 v[88:89], v84 offset1:1
	v_add_u32_e32 v84, 0x2088, v155
	ds_read2_b32 v[96:97], v84 offset1:1
	v_add_u32_e32 v84, 0x2090, v155
	;; [unrolled: 2-line block ×3, first 2 shown]
	v_add_u32_e32 v90, 0x4100, v155
	ds_read2_b32 v[114:115], v84 offset1:1
	ds_read_b32 v84, v158
	ds_read2_b32 v[92:93], v90 offset1:1
	v_add_u32_e32 v90, 0x4108, v155
	ds_read2_b32 v[100:101], v90 offset1:1
	v_add_u32_e32 v90, 0x4110, v155
	;; [unrolled: 2-line block ×3, first 2 shown]
	v_add_u32_e32 v98, 0x6180, v155
	ds_read2_b32 v[118:119], v90 offset1:1
	ds_read_b32 v90, v159
	ds_read2_b32 v[98:99], v98 offset1:1
	v_add_u32_e32 v106, 0x6188, v155
	ds_read2_b32 v[106:107], v106 offset1:1
	v_add_u32_e32 v116, 0x6190, v155
	ds_read2_b32 v[116:117], v116 offset1:1
	v_mov_b32_e32 v170, 0
	v_mov_b32_e32 v172, 0
	;; [unrolled: 1-line block ×4, first 2 shown]
	s_waitcnt lgkmcnt(14)
	v_dot4c_i32_i8_e32 v170, v94, v160
	s_waitcnt lgkmcnt(12)
	v_dot4c_i32_i8_e32 v172, v88, v160
	;; [unrolled: 2-line block ×4, first 2 shown]
	v_add_u32_e32 v120, 0x6198, v155
	ds_read2_b32 v[120:121], v120 offset1:1
	v_dot4c_i32_i8_e32 v170, v95, v164
	v_dot4c_i32_i8_e32 v172, v89, v164
	v_dot4c_i32_i8_e32 v173, v93, v164
	v_dot4c_i32_i8_e32 v174, v99, v164
	v_dot4c_i32_i8_e32 v170, v102, v161
	v_dot4c_i32_i8_e32 v172, v96, v161
	v_dot4c_i32_i8_e32 v173, v100, v161
	s_waitcnt lgkmcnt(2)
	v_dot4c_i32_i8_e32 v174, v106, v161
	v_dot4c_i32_i8_e32 v170, v103, v165
	v_dot4c_i32_i8_e32 v172, v97, v165
	v_dot4c_i32_i8_e32 v173, v101, v165
	v_dot4c_i32_i8_e32 v174, v107, v165
	v_dot4c_i32_i8_e32 v170, v108, v162
	v_dot4c_i32_i8_e32 v172, v104, v162
	v_dot4c_i32_i8_e32 v173, v110, v162
	s_waitcnt lgkmcnt(1)
	v_dot4c_i32_i8_e32 v174, v116, v162
	;; [unrolled: 9-line block ×3, first 2 shown]
	v_dot4c_i32_i8_e32 v170, v113, v167
	v_dot4c_i32_i8_e32 v172, v115, v167
	;; [unrolled: 1-line block ×4, first 2 shown]
	ds_read_b128 v[160:163], v154 offset:1024
	ds_read_b128 v[164:167], v154 offset:1040
	v_mov_b32_e32 v171, 0
	v_cvt_f32_i32_e32 v170, v170
	v_pk_mul_f32 v[168:169], v[86:87], v[122:123] op_sel_hi:[0,1]
	s_waitcnt lgkmcnt(1)
	v_dot4c_i32_i8_e32 v171, v94, v160
	s_waitcnt lgkmcnt(0)
	v_dot4c_i32_i8_e32 v171, v95, v164
	v_dot4c_i32_i8_e32 v171, v102, v161
	;; [unrolled: 1-line block ×7, first 2 shown]
	s_add_i32 s4, s4, 4
	v_add_u32_e32 v159, 4, v159
	v_add_u32_e32 v158, 4, v158
	v_cvt_f32_i32_e32 v171, v171
	v_add_u32_e32 v157, 4, v157
	v_add_u32_e32 v156, 4, v156
	;; [unrolled: 1-line block ×3, first 2 shown]
	v_pk_fma_f32 v[36:37], v[168:169], v[170:171], v[36:37]
	v_mov_b32_e32 v170, 0
	v_dot4c_i32_i8_e32 v170, v88, v160
	v_dot4c_i32_i8_e32 v170, v89, v164
	;; [unrolled: 1-line block ×8, first 2 shown]
	v_pk_mul_f32 v[168:169], v[82:83], v[122:123] op_sel_hi:[0,1]
	s_cmp_lt_u32 s4, 12
	s_nop 0
	v_cvt_f32_i32_e32 v171, v170
	v_cvt_f32_i32_e32 v170, v172
	v_mov_b32_e32 v172, 0
	v_pk_fma_f32 v[30:31], v[168:169], v[170:171], v[30:31]
	v_mov_b32_e32 v170, 0
	v_dot4c_i32_i8_e32 v170, v92, v160
	v_dot4c_i32_i8_e32 v170, v93, v164
	;; [unrolled: 1-line block ×8, first 2 shown]
	v_pk_mul_f32 v[168:169], v[84:85], v[122:123] op_sel_hi:[0,1]
	v_pk_mul_f32 v[122:123], v[90:91], v[122:123] op_sel_hi:[0,1]
	s_nop 0
	v_cvt_f32_i32_e32 v171, v170
	v_cvt_f32_i32_e32 v170, v173
	v_mov_b32_e32 v173, 0
	v_pk_fma_f32 v[28:29], v[168:169], v[170:171], v[28:29]
	v_mov_b32_e32 v168, 0
	v_dot4c_i32_i8_e32 v168, v98, v160
	v_dot4c_i32_i8_e32 v168, v99, v164
	;; [unrolled: 1-line block ×8, first 2 shown]
	v_cvt_f32_i32_e32 v160, v174
	v_mov_b32_e32 v170, 0
	v_mov_b32_e32 v174, 0
	v_cvt_f32_i32_e32 v161, v168
	v_mov_b32_e32 v171, 0
	v_pk_fma_f32 v[26:27], v[122:123], v[160:161], v[26:27]
	ds_read_b128 v[160:163], v154 offset:2048
	ds_read_b128 v[164:167], v154 offset:2064
	ds_read2_b32 v[122:123], v153 offset0:64 offset1:96
	s_waitcnt lgkmcnt(2)
	v_dot4c_i32_i8_e32 v170, v94, v160
	v_dot4c_i32_i8_e32 v172, v88, v160
	;; [unrolled: 1-line block ×4, first 2 shown]
	s_waitcnt lgkmcnt(1)
	v_dot4c_i32_i8_e32 v170, v95, v164
	v_dot4c_i32_i8_e32 v172, v89, v164
	;; [unrolled: 1-line block ×28, first 2 shown]
	ds_read_b128 v[160:163], v154 offset:3072
	ds_read_b128 v[164:167], v154 offset:3088
	v_cvt_f32_i32_e32 v170, v170
	s_waitcnt lgkmcnt(2)
	v_pk_mul_f32 v[168:169], v[86:87], v[122:123] op_sel_hi:[0,1]
	s_waitcnt lgkmcnt(1)
	v_dot4c_i32_i8_e32 v171, v94, v160
	s_waitcnt lgkmcnt(0)
	v_dot4c_i32_i8_e32 v171, v95, v164
	v_dot4c_i32_i8_e32 v171, v102, v161
	;; [unrolled: 1-line block ×7, first 2 shown]
	s_nop 2
	v_cvt_f32_i32_e32 v171, v171
	v_pk_fma_f32 v[24:25], v[168:169], v[170:171], v[24:25]
	v_mov_b32_e32 v170, 0
	v_dot4c_i32_i8_e32 v170, v88, v160
	v_dot4c_i32_i8_e32 v170, v89, v164
	;; [unrolled: 1-line block ×8, first 2 shown]
	v_pk_mul_f32 v[168:169], v[82:83], v[122:123] op_sel_hi:[0,1]
	s_nop 1
	v_cvt_f32_i32_e32 v171, v170
	v_cvt_f32_i32_e32 v170, v172
	v_mov_b32_e32 v172, 0
	v_pk_fma_f32 v[22:23], v[168:169], v[170:171], v[22:23]
	v_mov_b32_e32 v170, 0
	v_dot4c_i32_i8_e32 v170, v92, v160
	v_dot4c_i32_i8_e32 v170, v93, v164
	;; [unrolled: 1-line block ×8, first 2 shown]
	v_pk_mul_f32 v[168:169], v[84:85], v[122:123] op_sel_hi:[0,1]
	v_pk_mul_f32 v[122:123], v[90:91], v[122:123] op_sel_hi:[0,1]
	s_nop 0
	v_cvt_f32_i32_e32 v171, v170
	v_cvt_f32_i32_e32 v170, v173
	v_mov_b32_e32 v173, 0
	v_pk_fma_f32 v[20:21], v[168:169], v[170:171], v[20:21]
	v_mov_b32_e32 v168, 0
	v_dot4c_i32_i8_e32 v168, v98, v160
	v_dot4c_i32_i8_e32 v168, v99, v164
	;; [unrolled: 1-line block ×8, first 2 shown]
	v_cvt_f32_i32_e32 v160, v174
	v_mov_b32_e32 v170, 0
	v_mov_b32_e32 v174, 0
	v_cvt_f32_i32_e32 v161, v168
	v_mov_b32_e32 v171, 0
	v_pk_fma_f32 v[18:19], v[122:123], v[160:161], v[18:19]
	ds_read_b128 v[160:163], v154 offset:4096
	ds_read_b128 v[164:167], v154 offset:4112
	ds_read2_b32 v[122:123], v153 offset0:128 offset1:160
	s_waitcnt lgkmcnt(2)
	v_dot4c_i32_i8_e32 v170, v94, v160
	v_dot4c_i32_i8_e32 v172, v88, v160
	;; [unrolled: 1-line block ×4, first 2 shown]
	s_waitcnt lgkmcnt(1)
	v_dot4c_i32_i8_e32 v170, v95, v164
	v_dot4c_i32_i8_e32 v172, v89, v164
	;; [unrolled: 1-line block ×28, first 2 shown]
	ds_read_b128 v[160:163], v154 offset:5120
	ds_read_b128 v[164:167], v154 offset:5136
	v_cvt_f32_i32_e32 v170, v170
	s_waitcnt lgkmcnt(2)
	v_pk_mul_f32 v[168:169], v[86:87], v[122:123] op_sel_hi:[0,1]
	s_waitcnt lgkmcnt(1)
	v_dot4c_i32_i8_e32 v171, v94, v160
	s_waitcnt lgkmcnt(0)
	v_dot4c_i32_i8_e32 v171, v95, v164
	v_dot4c_i32_i8_e32 v171, v102, v161
	v_dot4c_i32_i8_e32 v171, v103, v165
	v_dot4c_i32_i8_e32 v171, v108, v162
	v_dot4c_i32_i8_e32 v171, v109, v166
	v_dot4c_i32_i8_e32 v171, v112, v163
	v_dot4c_i32_i8_e32 v171, v113, v167
	s_nop 2
	v_cvt_f32_i32_e32 v171, v171
	v_pk_fma_f32 v[16:17], v[168:169], v[170:171], v[16:17]
	v_mov_b32_e32 v170, 0
	v_dot4c_i32_i8_e32 v170, v88, v160
	v_dot4c_i32_i8_e32 v170, v89, v164
	;; [unrolled: 1-line block ×8, first 2 shown]
	v_pk_mul_f32 v[168:169], v[82:83], v[122:123] op_sel_hi:[0,1]
	s_nop 1
	v_cvt_f32_i32_e32 v171, v170
	v_cvt_f32_i32_e32 v170, v172
	v_mov_b32_e32 v172, 0
	v_pk_fma_f32 v[14:15], v[168:169], v[170:171], v[14:15]
	v_mov_b32_e32 v170, 0
	v_dot4c_i32_i8_e32 v170, v92, v160
	v_dot4c_i32_i8_e32 v170, v93, v164
	;; [unrolled: 1-line block ×8, first 2 shown]
	v_pk_mul_f32 v[168:169], v[84:85], v[122:123] op_sel_hi:[0,1]
	v_pk_mul_f32 v[122:123], v[90:91], v[122:123] op_sel_hi:[0,1]
	s_nop 0
	v_cvt_f32_i32_e32 v171, v170
	v_cvt_f32_i32_e32 v170, v173
	v_pk_fma_f32 v[12:13], v[168:169], v[170:171], v[12:13]
	v_mov_b32_e32 v168, 0
	v_dot4c_i32_i8_e32 v168, v98, v160
	v_dot4c_i32_i8_e32 v168, v99, v164
	;; [unrolled: 1-line block ×8, first 2 shown]
	v_cvt_f32_i32_e32 v160, v174
	v_mov_b32_e32 v169, 0
	v_mov_b32_e32 v170, 0
	v_cvt_f32_i32_e32 v161, v168
	v_mov_b32_e32 v168, 0
	v_mov_b32_e32 v171, 0
	v_pk_fma_f32 v[10:11], v[122:123], v[160:161], v[10:11]
	ds_read_b128 v[160:163], v154 offset:6144
	ds_read_b128 v[164:167], v154 offset:6160
	ds_read2_b32 v[122:123], v153 offset0:192 offset1:224
	v_add_u32_e32 v153, 4, v153
	s_waitcnt lgkmcnt(2)
	v_dot4c_i32_i8_e32 v168, v94, v160
	v_dot4c_i32_i8_e32 v169, v88, v160
	;; [unrolled: 1-line block ×4, first 2 shown]
	s_waitcnt lgkmcnt(1)
	v_dot4c_i32_i8_e32 v168, v95, v164
	v_dot4c_i32_i8_e32 v169, v89, v164
	;; [unrolled: 1-line block ×28, first 2 shown]
	ds_read_b128 v[160:163], v154 offset:7168
	ds_read_b128 v[164:167], v154 offset:7184
	v_add_u32_e32 v154, 32, v154
	s_waitcnt lgkmcnt(1)
	v_dot4c_i32_i8_e32 v172, v94, v160
	s_waitcnt lgkmcnt(0)
	v_dot4c_i32_i8_e32 v172, v95, v164
	v_pk_mul_f32 v[94:95], v[86:87], v[122:123] op_sel_hi:[0,1]
	v_mov_b32_e32 v86, 0
	v_dot4c_i32_i8_e32 v86, v88, v160
	v_dot4c_i32_i8_e32 v86, v89, v164
	v_pk_mul_f32 v[88:89], v[82:83], v[122:123] op_sel_hi:[0,1]
	v_mov_b32_e32 v82, 0
	v_dot4c_i32_i8_e32 v82, v92, v160
	v_dot4c_i32_i8_e32 v82, v93, v164
	;; [unrolled: 1-line block ×16, first 2 shown]
	v_cvt_f32_i32_e32 v102, v168
	v_cvt_f32_i32_e32 v103, v172
	v_dot4c_i32_i8_e32 v86, v104, v162
	v_cvt_f32_i32_e32 v93, v82
	v_mov_b32_e32 v82, 0
	v_dot4c_i32_i8_e32 v86, v105, v166
	v_dot4c_i32_i8_e32 v82, v98, v160
	;; [unrolled: 1-line block ×6, first 2 shown]
	v_pk_fma_f32 v[8:9], v[94:95], v[102:103], v[8:9]
	v_cvt_f32_i32_e32 v94, v169
	v_cvt_f32_i32_e32 v95, v86
	v_dot4c_i32_i8_e32 v82, v107, v165
	v_cvt_f32_i32_e32 v92, v170
	v_dot4c_i32_i8_e32 v82, v116, v162
	v_dot4c_i32_i8_e32 v82, v117, v166
	;; [unrolled: 1-line block ×3, first 2 shown]
	v_pk_fma_f32 v[6:7], v[88:89], v[94:95], v[6:7]
	v_pk_mul_f32 v[88:89], v[84:85], v[122:123] op_sel_hi:[0,1]
	v_dot4c_i32_i8_e32 v82, v121, v167
	v_pk_fma_f32 v[4:5], v[88:89], v[92:93], v[4:5]
	v_cvt_f32_i32_e32 v92, v171
	v_pk_mul_f32 v[88:89], v[90:91], v[122:123] op_sel_hi:[0,1]
	v_cvt_f32_i32_e32 v93, v82
	v_pk_fma_f32 v[2:3], v[88:89], v[92:93], v[2:3]
	s_cbranch_scc1 .LBB161_7
; %bb.8:                                ;   in Loop: Header=BB161_6 Depth=1
	s_or_b32 s4, s0, 4
	s_cmp_ge_i32 s4, s6
	s_barrier
	s_cbranch_scc1 .LBB161_5
; %bb.9:                                ;   in Loop: Header=BB161_6 Depth=1
	v_add_u32_e32 v82, s0, v136
	v_add_u32_e32 v84, v82, v77
	v_mad_i64_i32 v[88:89], s[4:5], v84, 36, v[78:79]
	v_add_u32_e32 v84, v82, v85
	v_mad_i64_i32 v[92:93], s[4:5], v84, 36, v[78:79]
	;; [unrolled: 2-line block ×6, first 2 shown]
	v_add_u32_e32 v84, v82, v131
	v_add_u32_e32 v82, v82, v133
	v_mad_i64_i32 v[104:105], s[4:5], v82, 36, v[78:79]
	v_add_u32_e32 v82, 4, v83
	v_mad_u64_u32 v[82:83], s[4:5], v82, 36, s[2:3]
	v_mad_i64_i32 v[102:103], s[4:5], v84, 36, v[78:79]
	global_load_dword v82, v[82:83], off
	s_nop 0
	global_load_dword v84, v[88:89], off offset:4
	global_load_dword v86, v[92:93], off offset:4
	s_nop 0
	global_load_dword v88, v[94:95], off offset:4
	global_load_dword v89, v[96:97], off offset:4
	;; [unrolled: 1-line block ×5, first 2 shown]
                                        ; kill: killed $vgpr102_vgpr103
                                        ; kill: killed $vgpr100_vgpr101
	s_nop 0
	global_load_dword v94, v[104:105], off offset:4
	s_mov_b32 s4, 12
	v_mov_b32_e32 v83, v142
	v_mov_b32_e32 v153, v141
	;; [unrolled: 1-line block ×7, first 2 shown]
	s_waitcnt vmcnt(8)
	v_cvt_f32_f16_e32 v82, v82
	s_waitcnt vmcnt(7)
	ds_write_b32 v81, v84
	s_waitcnt vmcnt(6)
	ds_write_b32 v87, v86
	;; [unrolled: 2-line block ×8, first 2 shown]
	ds_write_b32 v75, v82
	s_waitcnt lgkmcnt(0)
	s_barrier
.LBB161_10:                             ;   Parent Loop BB161_6 Depth=1
                                        ; =>  This Inner Loop Header: Depth=2
	v_add_u32_e32 v84, 0x2080, v154
	ds_read_b128 v[160:163], v153
	ds_read_b128 v[164:167], v153 offset:16
	ds_read2_b32 v[122:123], v83 offset1:32
	ds_read_b32 v86, v155
	ds_read2_b32 v[94:95], v154 offset1:1
	ds_read2_b32 v[102:103], v154 offset0:2 offset1:3
	ds_read2_b32 v[108:109], v154 offset0:4 offset1:5
	;; [unrolled: 1-line block ×3, first 2 shown]
	ds_read_b32 v82, v156
	ds_read2_b32 v[88:89], v84 offset1:1
	v_add_u32_e32 v84, 0x2088, v154
	ds_read2_b32 v[96:97], v84 offset1:1
	v_add_u32_e32 v84, 0x2090, v154
	;; [unrolled: 2-line block ×3, first 2 shown]
	v_add_u32_e32 v90, 0x4100, v154
	ds_read2_b32 v[114:115], v84 offset1:1
	ds_read_b32 v84, v157
	ds_read2_b32 v[92:93], v90 offset1:1
	v_add_u32_e32 v90, 0x4108, v154
	ds_read2_b32 v[100:101], v90 offset1:1
	v_add_u32_e32 v90, 0x4110, v154
	;; [unrolled: 2-line block ×3, first 2 shown]
	v_add_u32_e32 v98, 0x6180, v154
	ds_read2_b32 v[118:119], v90 offset1:1
	ds_read_b32 v90, v158
	ds_read2_b32 v[98:99], v98 offset1:1
	v_add_u32_e32 v106, 0x6188, v154
	ds_read2_b32 v[106:107], v106 offset1:1
	v_add_u32_e32 v116, 0x6190, v154
	ds_read2_b32 v[116:117], v116 offset1:1
	v_mov_b32_e32 v159, 0
	v_mov_b32_e32 v172, 0
	;; [unrolled: 1-line block ×4, first 2 shown]
	s_waitcnt lgkmcnt(14)
	v_dot4c_i32_i8_e32 v159, v94, v160
	s_waitcnt lgkmcnt(12)
	v_dot4c_i32_i8_e32 v172, v88, v160
	;; [unrolled: 2-line block ×4, first 2 shown]
	v_add_u32_e32 v120, 0x6198, v154
	ds_read2_b32 v[120:121], v120 offset1:1
	v_dot4c_i32_i8_e32 v159, v95, v164
	v_dot4c_i32_i8_e32 v172, v89, v164
	v_dot4c_i32_i8_e32 v173, v93, v164
	v_dot4c_i32_i8_e32 v174, v99, v164
	v_dot4c_i32_i8_e32 v159, v102, v161
	v_dot4c_i32_i8_e32 v172, v96, v161
	v_dot4c_i32_i8_e32 v173, v100, v161
	s_waitcnt lgkmcnt(2)
	v_dot4c_i32_i8_e32 v174, v106, v161
	v_dot4c_i32_i8_e32 v159, v103, v165
	v_dot4c_i32_i8_e32 v172, v97, v165
	v_dot4c_i32_i8_e32 v173, v101, v165
	v_dot4c_i32_i8_e32 v174, v107, v165
	v_dot4c_i32_i8_e32 v159, v108, v162
	v_dot4c_i32_i8_e32 v172, v104, v162
	v_dot4c_i32_i8_e32 v173, v110, v162
	s_waitcnt lgkmcnt(1)
	v_dot4c_i32_i8_e32 v174, v116, v162
	;; [unrolled: 9-line block ×3, first 2 shown]
	v_dot4c_i32_i8_e32 v159, v113, v167
	v_dot4c_i32_i8_e32 v172, v115, v167
	;; [unrolled: 1-line block ×4, first 2 shown]
	ds_read_b128 v[160:163], v153 offset:1024
	ds_read_b128 v[164:167], v153 offset:1040
	v_mov_b32_e32 v170, 0
	v_pk_mul_f32 v[168:169], v[86:87], v[122:123] op_sel_hi:[0,1]
	s_add_i32 s4, s4, 4
	s_waitcnt lgkmcnt(1)
	v_dot4c_i32_i8_e32 v170, v94, v160
	s_waitcnt lgkmcnt(0)
	v_dot4c_i32_i8_e32 v170, v95, v164
	v_dot4c_i32_i8_e32 v170, v102, v161
	;; [unrolled: 1-line block ×7, first 2 shown]
	v_add_u32_e32 v158, 4, v158
	v_add_u32_e32 v157, 4, v157
	;; [unrolled: 1-line block ×3, first 2 shown]
	v_cvt_f32_i32_e32 v171, v170
	v_cvt_f32_i32_e32 v170, v159
	v_mov_b32_e32 v159, 0
	v_dot4c_i32_i8_e32 v159, v88, v160
	v_dot4c_i32_i8_e32 v159, v89, v164
	;; [unrolled: 1-line block ×8, first 2 shown]
	v_pk_fma_f32 v[36:37], v[168:169], v[170:171], v[36:37]
	v_cvt_f32_i32_e32 v170, v172
	v_pk_mul_f32 v[168:169], v[82:83], v[122:123] op_sel_hi:[0,1]
	v_cvt_f32_i32_e32 v171, v159
	v_mov_b32_e32 v159, 0
	v_dot4c_i32_i8_e32 v159, v92, v160
	v_dot4c_i32_i8_e32 v159, v93, v164
	;; [unrolled: 1-line block ×8, first 2 shown]
	v_pk_fma_f32 v[30:31], v[168:169], v[170:171], v[30:31]
	v_pk_mul_f32 v[168:169], v[84:85], v[122:123] op_sel_hi:[0,1]
	v_pk_mul_f32 v[122:123], v[90:91], v[122:123] op_sel_hi:[0,1]
	v_cvt_f32_i32_e32 v171, v159
	v_mov_b32_e32 v159, 0
	v_dot4c_i32_i8_e32 v159, v98, v160
	v_dot4c_i32_i8_e32 v159, v99, v164
	;; [unrolled: 1-line block ×8, first 2 shown]
	v_cvt_f32_i32_e32 v160, v174
	v_cvt_f32_i32_e32 v170, v173
	v_mov_b32_e32 v172, 0
	v_cvt_f32_i32_e32 v161, v159
	v_mov_b32_e32 v159, 0
	v_mov_b32_e32 v173, 0
	;; [unrolled: 1-line block ×3, first 2 shown]
	v_pk_fma_f32 v[26:27], v[122:123], v[160:161], v[26:27]
	ds_read_b128 v[160:163], v153 offset:2048
	ds_read_b128 v[164:167], v153 offset:2064
	ds_read2_b32 v[122:123], v83 offset0:64 offset1:96
	v_pk_fma_f32 v[28:29], v[168:169], v[170:171], v[28:29]
	v_mov_b32_e32 v170, 0
	s_waitcnt lgkmcnt(2)
	v_dot4c_i32_i8_e32 v159, v94, v160
	v_dot4c_i32_i8_e32 v172, v88, v160
	v_dot4c_i32_i8_e32 v173, v92, v160
	v_dot4c_i32_i8_e32 v174, v98, v160
	s_waitcnt lgkmcnt(1)
	v_dot4c_i32_i8_e32 v159, v95, v164
	v_dot4c_i32_i8_e32 v172, v89, v164
	;; [unrolled: 1-line block ×28, first 2 shown]
	ds_read_b128 v[160:163], v153 offset:3072
	ds_read_b128 v[164:167], v153 offset:3088
	s_waitcnt lgkmcnt(2)
	v_pk_mul_f32 v[168:169], v[86:87], v[122:123] op_sel_hi:[0,1]
	v_add_u32_e32 v155, 4, v155
	v_add_u32_e32 v154, 32, v154
	s_waitcnt lgkmcnt(1)
	v_dot4c_i32_i8_e32 v170, v94, v160
	s_waitcnt lgkmcnt(0)
	v_dot4c_i32_i8_e32 v170, v95, v164
	v_dot4c_i32_i8_e32 v170, v102, v161
	;; [unrolled: 1-line block ×7, first 2 shown]
	s_cmp_lt_u32 s4, 28
	s_nop 1
	v_cvt_f32_i32_e32 v171, v170
	v_cvt_f32_i32_e32 v170, v159
	v_mov_b32_e32 v159, 0
	v_dot4c_i32_i8_e32 v159, v88, v160
	v_dot4c_i32_i8_e32 v159, v89, v164
	;; [unrolled: 1-line block ×8, first 2 shown]
	v_pk_fma_f32 v[24:25], v[168:169], v[170:171], v[24:25]
	v_cvt_f32_i32_e32 v170, v172
	v_pk_mul_f32 v[168:169], v[82:83], v[122:123] op_sel_hi:[0,1]
	v_cvt_f32_i32_e32 v171, v159
	v_mov_b32_e32 v159, 0
	v_dot4c_i32_i8_e32 v159, v92, v160
	v_dot4c_i32_i8_e32 v159, v93, v164
	;; [unrolled: 1-line block ×8, first 2 shown]
	v_pk_fma_f32 v[22:23], v[168:169], v[170:171], v[22:23]
	v_pk_mul_f32 v[168:169], v[84:85], v[122:123] op_sel_hi:[0,1]
	v_pk_mul_f32 v[122:123], v[90:91], v[122:123] op_sel_hi:[0,1]
	v_cvt_f32_i32_e32 v171, v159
	v_mov_b32_e32 v159, 0
	v_dot4c_i32_i8_e32 v159, v98, v160
	v_dot4c_i32_i8_e32 v159, v99, v164
	;; [unrolled: 1-line block ×8, first 2 shown]
	v_cvt_f32_i32_e32 v160, v174
	v_cvt_f32_i32_e32 v170, v173
	v_mov_b32_e32 v172, 0
	v_cvt_f32_i32_e32 v161, v159
	v_mov_b32_e32 v159, 0
	v_mov_b32_e32 v173, 0
	;; [unrolled: 1-line block ×3, first 2 shown]
	v_pk_fma_f32 v[18:19], v[122:123], v[160:161], v[18:19]
	ds_read_b128 v[160:163], v153 offset:4096
	ds_read_b128 v[164:167], v153 offset:4112
	ds_read2_b32 v[122:123], v83 offset0:128 offset1:160
	v_pk_fma_f32 v[20:21], v[168:169], v[170:171], v[20:21]
	v_mov_b32_e32 v170, 0
	s_waitcnt lgkmcnt(2)
	v_dot4c_i32_i8_e32 v159, v94, v160
	v_dot4c_i32_i8_e32 v172, v88, v160
	v_dot4c_i32_i8_e32 v173, v92, v160
	v_dot4c_i32_i8_e32 v174, v98, v160
	s_waitcnt lgkmcnt(1)
	v_dot4c_i32_i8_e32 v159, v95, v164
	v_dot4c_i32_i8_e32 v172, v89, v164
	;; [unrolled: 1-line block ×28, first 2 shown]
	ds_read_b128 v[160:163], v153 offset:5120
	ds_read_b128 v[164:167], v153 offset:5136
	s_waitcnt lgkmcnt(2)
	v_pk_mul_f32 v[168:169], v[86:87], v[122:123] op_sel_hi:[0,1]
	s_waitcnt lgkmcnt(1)
	v_dot4c_i32_i8_e32 v170, v94, v160
	s_waitcnt lgkmcnt(0)
	v_dot4c_i32_i8_e32 v170, v95, v164
	v_dot4c_i32_i8_e32 v170, v102, v161
	;; [unrolled: 1-line block ×7, first 2 shown]
	s_nop 2
	v_cvt_f32_i32_e32 v171, v170
	v_cvt_f32_i32_e32 v170, v159
	v_mov_b32_e32 v159, 0
	v_dot4c_i32_i8_e32 v159, v88, v160
	v_dot4c_i32_i8_e32 v159, v89, v164
	;; [unrolled: 1-line block ×8, first 2 shown]
	v_pk_fma_f32 v[16:17], v[168:169], v[170:171], v[16:17]
	v_cvt_f32_i32_e32 v170, v172
	v_pk_mul_f32 v[168:169], v[82:83], v[122:123] op_sel_hi:[0,1]
	v_cvt_f32_i32_e32 v171, v159
	v_mov_b32_e32 v159, 0
	v_dot4c_i32_i8_e32 v159, v92, v160
	v_dot4c_i32_i8_e32 v159, v93, v164
	;; [unrolled: 1-line block ×8, first 2 shown]
	v_pk_fma_f32 v[14:15], v[168:169], v[170:171], v[14:15]
	v_cvt_f32_i32_e32 v170, v173
	v_pk_mul_f32 v[168:169], v[84:85], v[122:123] op_sel_hi:[0,1]
	v_cvt_f32_i32_e32 v171, v159
	v_mov_b32_e32 v159, 0
	v_dot4c_i32_i8_e32 v159, v98, v160
	v_dot4c_i32_i8_e32 v159, v99, v164
	;; [unrolled: 1-line block ×8, first 2 shown]
	v_cvt_f32_i32_e32 v160, v174
	v_pk_mul_f32 v[122:123], v[90:91], v[122:123] op_sel_hi:[0,1]
	v_pk_fma_f32 v[12:13], v[168:169], v[170:171], v[12:13]
	v_cvt_f32_i32_e32 v161, v159
	v_mov_b32_e32 v159, 0
	v_mov_b32_e32 v168, 0
	;; [unrolled: 1-line block ×3, first 2 shown]
	v_pk_fma_f32 v[10:11], v[122:123], v[160:161], v[10:11]
	ds_read_b128 v[160:163], v153 offset:6144
	ds_read_b128 v[164:167], v153 offset:6160
	ds_read2_b32 v[122:123], v83 offset0:192 offset1:224
	v_mov_b32_e32 v170, 0
	v_mov_b32_e32 v171, 0
	s_waitcnt lgkmcnt(2)
	v_dot4c_i32_i8_e32 v159, v94, v160
	v_dot4c_i32_i8_e32 v168, v88, v160
	;; [unrolled: 1-line block ×4, first 2 shown]
	s_waitcnt lgkmcnt(1)
	v_dot4c_i32_i8_e32 v159, v95, v164
	v_dot4c_i32_i8_e32 v168, v89, v164
	;; [unrolled: 1-line block ×28, first 2 shown]
	ds_read_b128 v[160:163], v153 offset:7168
	ds_read_b128 v[164:167], v153 offset:7184
	v_add_u32_e32 v153, 32, v153
	s_waitcnt lgkmcnt(1)
	v_dot4c_i32_i8_e32 v171, v94, v160
	s_waitcnt lgkmcnt(0)
	v_dot4c_i32_i8_e32 v171, v95, v164
	v_pk_mul_f32 v[94:95], v[86:87], v[122:123] op_sel_hi:[0,1]
	v_mov_b32_e32 v86, 0
	v_dot4c_i32_i8_e32 v86, v88, v160
	v_dot4c_i32_i8_e32 v86, v89, v164
	v_pk_mul_f32 v[88:89], v[82:83], v[122:123] op_sel_hi:[0,1]
	v_mov_b32_e32 v82, 0
	v_dot4c_i32_i8_e32 v82, v92, v160
	v_dot4c_i32_i8_e32 v82, v93, v164
	;; [unrolled: 1-line block ×16, first 2 shown]
	v_cvt_f32_i32_e32 v102, v159
	v_cvt_f32_i32_e32 v103, v171
	v_dot4c_i32_i8_e32 v86, v104, v162
	v_cvt_f32_i32_e32 v93, v82
	v_mov_b32_e32 v82, 0
	v_dot4c_i32_i8_e32 v86, v105, v166
	v_dot4c_i32_i8_e32 v82, v98, v160
	;; [unrolled: 1-line block ×6, first 2 shown]
	v_pk_fma_f32 v[8:9], v[94:95], v[102:103], v[8:9]
	v_cvt_f32_i32_e32 v94, v168
	v_cvt_f32_i32_e32 v95, v86
	v_dot4c_i32_i8_e32 v82, v107, v165
	v_cvt_f32_i32_e32 v92, v169
	v_dot4c_i32_i8_e32 v82, v116, v162
	v_dot4c_i32_i8_e32 v82, v117, v166
	;; [unrolled: 1-line block ×3, first 2 shown]
	v_pk_fma_f32 v[6:7], v[88:89], v[94:95], v[6:7]
	v_pk_mul_f32 v[88:89], v[84:85], v[122:123] op_sel_hi:[0,1]
	v_dot4c_i32_i8_e32 v82, v121, v167
	v_pk_fma_f32 v[4:5], v[88:89], v[92:93], v[4:5]
	v_cvt_f32_i32_e32 v92, v170
	v_pk_mul_f32 v[88:89], v[90:91], v[122:123] op_sel_hi:[0,1]
	v_cvt_f32_i32_e32 v93, v82
	v_add_u32_e32 v83, 4, v83
	v_pk_fma_f32 v[2:3], v[88:89], v[92:93], v[2:3]
	s_cbranch_scc1 .LBB161_10
; %bb.11:                               ;   in Loop: Header=BB161_6 Depth=1
	s_barrier
	s_branch .LBB161_5
.LBB161_12:
	v_mov_b32_e32 v32, v35
.LBB161_13:
	v_cmp_gt_u32_e32 vcc, s8, v39
	s_and_saveexec_b64 s[0:1], vcc
	s_cbranch_execz .LBB161_64
; %bb.14:
	v_add_u32_e32 v0, s14, v1
	v_mul_lo_u32 v33, v39, s10
	v_cmp_gt_u32_e32 vcc, s10, v0
	s_and_saveexec_b64 s[2:3], vcc
	s_cbranch_execz .LBB161_16
; %bb.15:
	v_bfe_u32 v1, v36, 16, 1
	s_movk_i32 s0, 0x7fff
	v_add3_u32 v1, v36, v1, s0
	v_lshrrev_b32_e32 v1, 16, v1
	v_mov_b32_e32 v34, 0x7fc0
	v_cmp_o_f32_e64 s[0:1], v36, v36
	v_mov_b32_e32 v35, 0
	s_nop 0
	v_cndmask_b32_e64 v1, v34, v1, s[0:1]
	v_add_u32_e32 v34, v0, v33
	s_waitcnt lgkmcnt(0)
	v_lshl_add_u64 v[34:35], v[34:35], 1, s[12:13]
	global_store_short v[34:35], v1, off
.LBB161_16:
	s_or_b64 exec, exec, s[2:3]
	v_add_u32_e32 v1, 32, v0
	v_cmp_gt_u32_e64 s[0:1], s10, v1
	s_and_saveexec_b64 s[4:5], s[0:1]
	s_cbranch_execz .LBB161_18
; %bb.17:
	v_bfe_u32 v34, v30, 16, 1
	s_movk_i32 s2, 0x7fff
	v_add3_u32 v34, v30, v34, s2
	v_lshrrev_b32_e32 v34, 16, v34
	v_mov_b32_e32 v35, 0x7fc0
	v_cmp_o_f32_e64 s[2:3], v30, v30
	s_nop 1
	v_cndmask_b32_e64 v30, v35, v34, s[2:3]
	v_add_u32_e32 v34, v1, v33
	v_mov_b32_e32 v35, 0
	s_waitcnt lgkmcnt(0)
	v_lshl_add_u64 v[34:35], v[34:35], 1, s[12:13]
	global_store_short v[34:35], v30, off
.LBB161_18:
	s_or_b64 exec, exec, s[4:5]
	v_add_u32_e32 v30, 64, v0
	v_cmp_gt_u32_e64 s[2:3], s10, v30
	s_and_saveexec_b64 s[6:7], s[2:3]
	s_cbranch_execz .LBB161_20
; %bb.19:
	v_bfe_u32 v34, v28, 16, 1
	s_movk_i32 s4, 0x7fff
	v_add3_u32 v34, v28, v34, s4
	v_lshrrev_b32_e32 v34, 16, v34
	v_mov_b32_e32 v35, 0x7fc0
	v_cmp_o_f32_e64 s[4:5], v28, v28
	s_nop 1
	v_cndmask_b32_e64 v28, v35, v34, s[4:5]
	v_add_u32_e32 v34, v30, v33
	v_mov_b32_e32 v35, 0
	s_waitcnt lgkmcnt(0)
	v_lshl_add_u64 v[34:35], v[34:35], 1, s[12:13]
	global_store_short v[34:35], v28, off
.LBB161_20:
	;; [unrolled: 20-line block ×3, first 2 shown]
	s_or_b64 exec, exec, s[14:15]
	v_add3_u32 v26, v32, s11, 8
	v_cmp_gt_u32_e64 s[6:7], s8, v26
	s_and_b64 exec, exec, s[6:7]
	s_cbranch_execz .LBB161_64
; %bb.23:
	v_mul_lo_u32 v26, v26, s10
	s_and_saveexec_b64 s[14:15], vcc
	s_cbranch_execnz .LBB161_65
; %bb.24:
	s_or_b64 exec, exec, s[14:15]
	s_and_saveexec_b64 s[14:15], s[0:1]
	s_cbranch_execnz .LBB161_66
.LBB161_25:
	s_or_b64 exec, exec, s[14:15]
	s_and_saveexec_b64 s[14:15], s[2:3]
	s_cbranch_execnz .LBB161_67
.LBB161_26:
	s_or_b64 exec, exec, s[14:15]
	s_and_saveexec_b64 s[14:15], s[4:5]
	s_cbranch_execz .LBB161_28
.LBB161_27:
	v_bfe_u32 v29, v27, 16, 1
	s_movk_i32 s6, 0x7fff
	v_add3_u32 v29, v27, v29, s6
	v_lshrrev_b32_e32 v29, 16, v29
	v_mov_b32_e32 v31, 0x7fc0
	v_cmp_o_f32_e64 s[6:7], v27, v27
	v_add_u32_e32 v26, v26, v28
	v_mov_b32_e32 v27, 0
	v_cndmask_b32_e64 v29, v31, v29, s[6:7]
	s_waitcnt lgkmcnt(0)
	v_lshl_add_u64 v[26:27], v[26:27], 1, s[12:13]
	global_store_short v[26:27], v29, off
.LBB161_28:
	s_or_b64 exec, exec, s[14:15]
	v_add3_u32 v26, v32, s11, 16
	v_cmp_gt_u32_e64 s[6:7], s8, v26
	s_and_b64 exec, exec, s[6:7]
	s_cbranch_execz .LBB161_64
; %bb.29:
	v_mul_lo_u32 v26, v26, s10
	s_and_saveexec_b64 s[14:15], vcc
	s_cbranch_execnz .LBB161_68
; %bb.30:
	s_or_b64 exec, exec, s[14:15]
	s_and_saveexec_b64 s[14:15], s[0:1]
	s_cbranch_execnz .LBB161_69
.LBB161_31:
	s_or_b64 exec, exec, s[14:15]
	s_and_saveexec_b64 s[14:15], s[2:3]
	s_cbranch_execnz .LBB161_70
.LBB161_32:
	s_or_b64 exec, exec, s[14:15]
	s_and_saveexec_b64 s[14:15], s[4:5]
	s_cbranch_execz .LBB161_34
.LBB161_33:
	v_bfe_u32 v20, v18, 16, 1
	s_movk_i32 s6, 0x7fff
	v_add3_u32 v20, v18, v20, s6
	v_lshrrev_b32_e32 v20, 16, v20
	v_mov_b32_e32 v22, 0x7fc0
	v_cmp_o_f32_e64 s[6:7], v18, v18
	v_add_u32_e32 v26, v26, v28
	v_mov_b32_e32 v27, 0
	v_cndmask_b32_e64 v18, v22, v20, s[6:7]
	s_waitcnt lgkmcnt(0)
	v_lshl_add_u64 v[26:27], v[26:27], 1, s[12:13]
	global_store_short v[26:27], v18, off
.LBB161_34:
	s_or_b64 exec, exec, s[14:15]
	v_add3_u32 v18, v32, s11, 24
	v_cmp_gt_u32_e64 s[6:7], s8, v18
	s_and_b64 exec, exec, s[6:7]
	s_cbranch_execz .LBB161_64
; %bb.35:
	v_mul_lo_u32 v18, v18, s10
	s_and_saveexec_b64 s[14:15], vcc
	s_cbranch_execnz .LBB161_71
; %bb.36:
	s_or_b64 exec, exec, s[14:15]
	s_and_saveexec_b64 s[14:15], s[0:1]
	s_cbranch_execnz .LBB161_72
.LBB161_37:
	s_or_b64 exec, exec, s[14:15]
	s_and_saveexec_b64 s[14:15], s[2:3]
	s_cbranch_execnz .LBB161_73
.LBB161_38:
	s_or_b64 exec, exec, s[14:15]
	s_and_saveexec_b64 s[14:15], s[4:5]
	s_cbranch_execz .LBB161_40
.LBB161_39:
	v_bfe_u32 v20, v19, 16, 1
	s_movk_i32 s6, 0x7fff
	v_add3_u32 v20, v19, v20, s6
	v_lshrrev_b32_e32 v20, 16, v20
	v_mov_b32_e32 v21, 0x7fc0
	v_cmp_o_f32_e64 s[6:7], v19, v19
	v_add_u32_e32 v18, v18, v28
	v_mov_b32_e32 v19, 0
	v_cndmask_b32_e64 v20, v21, v20, s[6:7]
	s_waitcnt lgkmcnt(0)
	v_lshl_add_u64 v[18:19], v[18:19], 1, s[12:13]
	global_store_short v[18:19], v20, off
.LBB161_40:
	s_or_b64 exec, exec, s[14:15]
	v_add3_u32 v18, v32, s11, 32
	v_cmp_gt_u32_e64 s[6:7], s8, v18
	s_and_b64 exec, exec, s[6:7]
	s_cbranch_execz .LBB161_64
; %bb.41:
	v_mul_lo_u32 v18, v18, s10
	s_and_saveexec_b64 s[14:15], vcc
	s_cbranch_execnz .LBB161_74
; %bb.42:
	s_or_b64 exec, exec, s[14:15]
	s_and_saveexec_b64 s[14:15], s[0:1]
	s_cbranch_execnz .LBB161_75
.LBB161_43:
	s_or_b64 exec, exec, s[14:15]
	s_and_saveexec_b64 s[14:15], s[2:3]
	s_cbranch_execnz .LBB161_76
.LBB161_44:
	s_or_b64 exec, exec, s[14:15]
	s_and_saveexec_b64 s[14:15], s[4:5]
	s_cbranch_execz .LBB161_46
.LBB161_45:
	v_bfe_u32 v12, v10, 16, 1
	s_movk_i32 s6, 0x7fff
	v_add3_u32 v12, v10, v12, s6
	v_lshrrev_b32_e32 v12, 16, v12
	v_mov_b32_e32 v14, 0x7fc0
	v_cmp_o_f32_e64 s[6:7], v10, v10
	v_add_u32_e32 v18, v18, v28
	v_mov_b32_e32 v19, 0
	v_cndmask_b32_e64 v10, v14, v12, s[6:7]
	s_waitcnt lgkmcnt(0)
	v_lshl_add_u64 v[18:19], v[18:19], 1, s[12:13]
	global_store_short v[18:19], v10, off
.LBB161_46:
	s_or_b64 exec, exec, s[14:15]
	v_add3_u32 v10, v32, s11, 40
	v_cmp_gt_u32_e64 s[6:7], s8, v10
	s_and_b64 exec, exec, s[6:7]
	s_cbranch_execz .LBB161_64
; %bb.47:
	v_mul_lo_u32 v10, v10, s10
	s_and_saveexec_b64 s[14:15], vcc
	s_cbranch_execnz .LBB161_77
; %bb.48:
	s_or_b64 exec, exec, s[14:15]
	s_and_saveexec_b64 s[14:15], s[0:1]
	s_cbranch_execnz .LBB161_78
.LBB161_49:
	s_or_b64 exec, exec, s[14:15]
	s_and_saveexec_b64 s[14:15], s[2:3]
	s_cbranch_execnz .LBB161_79
.LBB161_50:
	s_or_b64 exec, exec, s[14:15]
	s_and_saveexec_b64 s[14:15], s[4:5]
	s_cbranch_execz .LBB161_52
.LBB161_51:
	v_bfe_u32 v12, v11, 16, 1
	s_movk_i32 s6, 0x7fff
	v_add3_u32 v12, v11, v12, s6
	v_lshrrev_b32_e32 v12, 16, v12
	v_mov_b32_e32 v13, 0x7fc0
	v_cmp_o_f32_e64 s[6:7], v11, v11
	v_add_u32_e32 v10, v10, v28
	v_mov_b32_e32 v11, 0
	v_cndmask_b32_e64 v12, v13, v12, s[6:7]
	s_waitcnt lgkmcnt(0)
	v_lshl_add_u64 v[10:11], v[10:11], 1, s[12:13]
	global_store_short v[10:11], v12, off
.LBB161_52:
	s_or_b64 exec, exec, s[14:15]
	v_add3_u32 v10, v32, s11, 48
	v_cmp_gt_u32_e64 s[6:7], s8, v10
	s_and_b64 exec, exec, s[6:7]
	s_cbranch_execz .LBB161_64
; %bb.53:
	v_mul_lo_u32 v10, v10, s10
	s_and_saveexec_b64 s[14:15], vcc
	s_cbranch_execnz .LBB161_80
; %bb.54:
	s_or_b64 exec, exec, s[14:15]
	s_and_saveexec_b64 s[14:15], s[0:1]
	s_cbranch_execnz .LBB161_81
.LBB161_55:
	s_or_b64 exec, exec, s[14:15]
	s_and_saveexec_b64 s[14:15], s[2:3]
	s_cbranch_execnz .LBB161_82
.LBB161_56:
	s_or_b64 exec, exec, s[14:15]
	s_and_saveexec_b64 s[14:15], s[4:5]
	s_cbranch_execz .LBB161_58
.LBB161_57:
	v_bfe_u32 v4, v2, 16, 1
	s_movk_i32 s6, 0x7fff
	v_add3_u32 v4, v2, v4, s6
	v_lshrrev_b32_e32 v4, 16, v4
	v_mov_b32_e32 v6, 0x7fc0
	v_cmp_o_f32_e64 s[6:7], v2, v2
	v_add_u32_e32 v10, v10, v28
	v_mov_b32_e32 v11, 0
	v_cndmask_b32_e64 v2, v6, v4, s[6:7]
	s_waitcnt lgkmcnt(0)
	v_lshl_add_u64 v[10:11], v[10:11], 1, s[12:13]
	global_store_short v[10:11], v2, off
.LBB161_58:
	s_or_b64 exec, exec, s[14:15]
	v_add3_u32 v2, v32, s11, 56
	v_cmp_gt_u32_e64 s[6:7], s8, v2
	s_and_b64 exec, exec, s[6:7]
	s_cbranch_execz .LBB161_64
; %bb.59:
	v_mul_lo_u32 v2, v2, s10
	s_and_saveexec_b64 s[6:7], vcc
	s_cbranch_execnz .LBB161_83
; %bb.60:
	s_or_b64 exec, exec, s[6:7]
	s_and_saveexec_b64 s[6:7], s[0:1]
	s_cbranch_execnz .LBB161_84
.LBB161_61:
	s_or_b64 exec, exec, s[6:7]
	s_and_saveexec_b64 s[0:1], s[2:3]
	s_cbranch_execnz .LBB161_85
.LBB161_62:
	s_or_b64 exec, exec, s[0:1]
	s_and_b64 exec, exec, s[4:5]
	s_cbranch_execz .LBB161_64
.LBB161_63:
	v_bfe_u32 v0, v3, 16, 1
	s_movk_i32 s0, 0x7fff
	v_add3_u32 v0, v3, v0, s0
	v_lshrrev_b32_e32 v0, 16, v0
	v_mov_b32_e32 v1, 0x7fc0
	v_cmp_o_f32_e32 vcc, v3, v3
	s_nop 1
	v_cndmask_b32_e32 v3, v1, v0, vcc
	v_add_u32_e32 v0, v2, v28
	v_mov_b32_e32 v1, 0
	s_waitcnt lgkmcnt(0)
	v_lshl_add_u64 v[0:1], v[0:1], 1, s[12:13]
	global_store_short v[0:1], v3, off
.LBB161_64:
	s_endpgm
.LBB161_65:
	v_bfe_u32 v33, v37, 16, 1
	s_movk_i32 s6, 0x7fff
	v_add3_u32 v33, v37, v33, s6
	v_lshrrev_b32_e32 v33, 16, v33
	v_mov_b32_e32 v34, 0x7fc0
	v_cmp_o_f32_e64 s[6:7], v37, v37
	v_mov_b32_e32 v35, 0
	s_nop 0
	v_cndmask_b32_e64 v33, v34, v33, s[6:7]
	v_add_u32_e32 v34, v26, v0
	s_waitcnt lgkmcnt(0)
	v_lshl_add_u64 v[34:35], v[34:35], 1, s[12:13]
	global_store_short v[34:35], v33, off
	s_or_b64 exec, exec, s[14:15]
	s_and_saveexec_b64 s[14:15], s[0:1]
	s_cbranch_execz .LBB161_25
.LBB161_66:
	v_bfe_u32 v33, v31, 16, 1
	s_movk_i32 s6, 0x7fff
	v_add3_u32 v33, v31, v33, s6
	v_lshrrev_b32_e32 v33, 16, v33
	v_mov_b32_e32 v34, 0x7fc0
	v_cmp_o_f32_e64 s[6:7], v31, v31
	v_mov_b32_e32 v35, 0
	s_nop 0
	v_cndmask_b32_e64 v31, v34, v33, s[6:7]
	v_add_u32_e32 v34, v26, v1
	s_waitcnt lgkmcnt(0)
	v_lshl_add_u64 v[34:35], v[34:35], 1, s[12:13]
	global_store_short v[34:35], v31, off
	s_or_b64 exec, exec, s[14:15]
	s_and_saveexec_b64 s[14:15], s[2:3]
	s_cbranch_execz .LBB161_26
.LBB161_67:
	v_bfe_u32 v31, v29, 16, 1
	s_movk_i32 s6, 0x7fff
	v_add3_u32 v31, v29, v31, s6
	v_lshrrev_b32_e32 v31, 16, v31
	v_mov_b32_e32 v33, 0x7fc0
	v_cmp_o_f32_e64 s[6:7], v29, v29
	v_add_u32_e32 v34, v26, v30
	v_mov_b32_e32 v35, 0
	v_cndmask_b32_e64 v29, v33, v31, s[6:7]
	s_waitcnt lgkmcnt(0)
	v_lshl_add_u64 v[34:35], v[34:35], 1, s[12:13]
	global_store_short v[34:35], v29, off
	s_or_b64 exec, exec, s[14:15]
	s_and_saveexec_b64 s[14:15], s[4:5]
	s_cbranch_execnz .LBB161_27
	s_branch .LBB161_28
.LBB161_68:
	v_bfe_u32 v27, v24, 16, 1
	s_movk_i32 s6, 0x7fff
	v_add3_u32 v27, v24, v27, s6
	v_lshrrev_b32_e32 v27, 16, v27
	v_mov_b32_e32 v29, 0x7fc0
	v_cmp_o_f32_e64 s[6:7], v24, v24
	v_add_u32_e32 v34, v26, v0
	v_mov_b32_e32 v35, 0
	v_cndmask_b32_e64 v24, v29, v27, s[6:7]
	s_waitcnt lgkmcnt(0)
	v_lshl_add_u64 v[34:35], v[34:35], 1, s[12:13]
	global_store_short v[34:35], v24, off
	s_or_b64 exec, exec, s[14:15]
	s_and_saveexec_b64 s[14:15], s[0:1]
	s_cbranch_execz .LBB161_31
.LBB161_69:
	v_bfe_u32 v24, v22, 16, 1
	s_movk_i32 s6, 0x7fff
	v_add3_u32 v24, v22, v24, s6
	v_lshrrev_b32_e32 v24, 16, v24
	v_mov_b32_e32 v27, 0x7fc0
	v_cmp_o_f32_e64 s[6:7], v22, v22
	v_add_u32_e32 v34, v26, v1
	v_mov_b32_e32 v35, 0
	v_cndmask_b32_e64 v22, v27, v24, s[6:7]
	s_waitcnt lgkmcnt(0)
	v_lshl_add_u64 v[34:35], v[34:35], 1, s[12:13]
	global_store_short v[34:35], v22, off
	s_or_b64 exec, exec, s[14:15]
	s_and_saveexec_b64 s[14:15], s[2:3]
	s_cbranch_execz .LBB161_32
.LBB161_70:
	v_bfe_u32 v22, v20, 16, 1
	s_movk_i32 s6, 0x7fff
	v_add3_u32 v22, v20, v22, s6
	v_lshrrev_b32_e32 v22, 16, v22
	v_mov_b32_e32 v24, 0x7fc0
	v_cmp_o_f32_e64 s[6:7], v20, v20
	v_add_u32_e32 v34, v26, v30
	v_mov_b32_e32 v35, 0
	v_cndmask_b32_e64 v20, v24, v22, s[6:7]
	s_waitcnt lgkmcnt(0)
	v_lshl_add_u64 v[34:35], v[34:35], 1, s[12:13]
	global_store_short v[34:35], v20, off
	s_or_b64 exec, exec, s[14:15]
	s_and_saveexec_b64 s[14:15], s[4:5]
	s_cbranch_execnz .LBB161_33
	s_branch .LBB161_34
.LBB161_71:
	v_bfe_u32 v20, v25, 16, 1
	s_movk_i32 s6, 0x7fff
	v_add3_u32 v20, v25, v20, s6
	v_lshrrev_b32_e32 v20, 16, v20
	v_mov_b32_e32 v22, 0x7fc0
	v_cmp_o_f32_e64 s[6:7], v25, v25
	v_add_u32_e32 v24, v18, v0
	v_mov_b32_e32 v25, 0
	v_cndmask_b32_e64 v20, v22, v20, s[6:7]
	s_waitcnt lgkmcnt(0)
	v_lshl_add_u64 v[24:25], v[24:25], 1, s[12:13]
	global_store_short v[24:25], v20, off
	s_or_b64 exec, exec, s[14:15]
	s_and_saveexec_b64 s[14:15], s[0:1]
	s_cbranch_execz .LBB161_37
.LBB161_72:
	v_bfe_u32 v20, v23, 16, 1
	s_movk_i32 s6, 0x7fff
	v_add3_u32 v20, v23, v20, s6
	v_lshrrev_b32_e32 v20, 16, v20
	v_mov_b32_e32 v22, 0x7fc0
	v_cmp_o_f32_e64 s[6:7], v23, v23
	v_mov_b32_e32 v23, 0
	s_nop 0
	v_cndmask_b32_e64 v20, v22, v20, s[6:7]
	v_add_u32_e32 v22, v18, v1
	s_waitcnt lgkmcnt(0)
	v_lshl_add_u64 v[22:23], v[22:23], 1, s[12:13]
	global_store_short v[22:23], v20, off
	s_or_b64 exec, exec, s[14:15]
	s_and_saveexec_b64 s[14:15], s[2:3]
	s_cbranch_execz .LBB161_38
.LBB161_73:
	v_bfe_u32 v20, v21, 16, 1
	s_movk_i32 s6, 0x7fff
	v_add3_u32 v20, v21, v20, s6
	v_lshrrev_b32_e32 v20, 16, v20
	v_mov_b32_e32 v22, 0x7fc0
	v_cmp_o_f32_e64 s[6:7], v21, v21
	v_mov_b32_e32 v21, 0
	s_nop 0
	v_cndmask_b32_e64 v22, v22, v20, s[6:7]
	v_add_u32_e32 v20, v18, v30
	s_waitcnt lgkmcnt(0)
	v_lshl_add_u64 v[20:21], v[20:21], 1, s[12:13]
	global_store_short v[20:21], v22, off
	s_or_b64 exec, exec, s[14:15]
	s_and_saveexec_b64 s[14:15], s[4:5]
	s_cbranch_execnz .LBB161_39
	s_branch .LBB161_40
.LBB161_74:
	v_bfe_u32 v19, v16, 16, 1
	s_movk_i32 s6, 0x7fff
	v_add3_u32 v19, v16, v19, s6
	v_lshrrev_b32_e32 v19, 16, v19
	v_mov_b32_e32 v20, 0x7fc0
	v_cmp_o_f32_e64 s[6:7], v16, v16
	v_mov_b32_e32 v21, 0
	s_nop 0
	v_cndmask_b32_e64 v16, v20, v19, s[6:7]
	v_add_u32_e32 v20, v18, v0
	s_waitcnt lgkmcnt(0)
	v_lshl_add_u64 v[20:21], v[20:21], 1, s[12:13]
	global_store_short v[20:21], v16, off
	s_or_b64 exec, exec, s[14:15]
	s_and_saveexec_b64 s[14:15], s[0:1]
	s_cbranch_execz .LBB161_43
.LBB161_75:
	v_bfe_u32 v16, v14, 16, 1
	s_movk_i32 s6, 0x7fff
	v_add3_u32 v16, v14, v16, s6
	v_lshrrev_b32_e32 v16, 16, v16
	v_mov_b32_e32 v19, 0x7fc0
	v_cmp_o_f32_e64 s[6:7], v14, v14
	v_add_u32_e32 v20, v18, v1
	v_mov_b32_e32 v21, 0
	v_cndmask_b32_e64 v14, v19, v16, s[6:7]
	s_waitcnt lgkmcnt(0)
	v_lshl_add_u64 v[20:21], v[20:21], 1, s[12:13]
	global_store_short v[20:21], v14, off
	s_or_b64 exec, exec, s[14:15]
	s_and_saveexec_b64 s[14:15], s[2:3]
	s_cbranch_execz .LBB161_44
.LBB161_76:
	v_bfe_u32 v14, v12, 16, 1
	s_movk_i32 s6, 0x7fff
	v_add3_u32 v14, v12, v14, s6
	v_lshrrev_b32_e32 v14, 16, v14
	v_mov_b32_e32 v16, 0x7fc0
	v_cmp_o_f32_e64 s[6:7], v12, v12
	v_add_u32_e32 v20, v18, v30
	v_mov_b32_e32 v21, 0
	v_cndmask_b32_e64 v12, v16, v14, s[6:7]
	s_waitcnt lgkmcnt(0)
	v_lshl_add_u64 v[20:21], v[20:21], 1, s[12:13]
	global_store_short v[20:21], v12, off
	s_or_b64 exec, exec, s[14:15]
	s_and_saveexec_b64 s[14:15], s[4:5]
	s_cbranch_execnz .LBB161_45
	s_branch .LBB161_46
.LBB161_77:
	v_bfe_u32 v12, v17, 16, 1
	s_movk_i32 s6, 0x7fff
	v_add3_u32 v12, v17, v12, s6
	v_lshrrev_b32_e32 v12, 16, v12
	v_mov_b32_e32 v14, 0x7fc0
	v_cmp_o_f32_e64 s[6:7], v17, v17
	v_add_u32_e32 v16, v10, v0
	v_mov_b32_e32 v17, 0
	v_cndmask_b32_e64 v12, v14, v12, s[6:7]
	s_waitcnt lgkmcnt(0)
	v_lshl_add_u64 v[16:17], v[16:17], 1, s[12:13]
	global_store_short v[16:17], v12, off
	s_or_b64 exec, exec, s[14:15]
	s_and_saveexec_b64 s[14:15], s[0:1]
	s_cbranch_execz .LBB161_49
.LBB161_78:
	v_bfe_u32 v12, v15, 16, 1
	s_movk_i32 s6, 0x7fff
	v_add3_u32 v12, v15, v12, s6
	v_lshrrev_b32_e32 v12, 16, v12
	v_mov_b32_e32 v14, 0x7fc0
	v_cmp_o_f32_e64 s[6:7], v15, v15
	v_mov_b32_e32 v15, 0
	s_nop 0
	v_cndmask_b32_e64 v12, v14, v12, s[6:7]
	v_add_u32_e32 v14, v10, v1
	s_waitcnt lgkmcnt(0)
	v_lshl_add_u64 v[14:15], v[14:15], 1, s[12:13]
	global_store_short v[14:15], v12, off
	s_or_b64 exec, exec, s[14:15]
	s_and_saveexec_b64 s[14:15], s[2:3]
	s_cbranch_execz .LBB161_50
.LBB161_79:
	v_bfe_u32 v12, v13, 16, 1
	s_movk_i32 s6, 0x7fff
	v_add3_u32 v12, v13, v12, s6
	v_lshrrev_b32_e32 v12, 16, v12
	v_mov_b32_e32 v14, 0x7fc0
	v_cmp_o_f32_e64 s[6:7], v13, v13
	v_mov_b32_e32 v13, 0
	s_nop 0
	v_cndmask_b32_e64 v14, v14, v12, s[6:7]
	v_add_u32_e32 v12, v10, v30
	s_waitcnt lgkmcnt(0)
	v_lshl_add_u64 v[12:13], v[12:13], 1, s[12:13]
	global_store_short v[12:13], v14, off
	s_or_b64 exec, exec, s[14:15]
	s_and_saveexec_b64 s[14:15], s[4:5]
	s_cbranch_execnz .LBB161_51
	s_branch .LBB161_52
.LBB161_80:
	v_bfe_u32 v11, v8, 16, 1
	s_movk_i32 s6, 0x7fff
	v_add3_u32 v11, v8, v11, s6
	v_lshrrev_b32_e32 v11, 16, v11
	v_mov_b32_e32 v12, 0x7fc0
	v_cmp_o_f32_e64 s[6:7], v8, v8
	v_mov_b32_e32 v13, 0
	s_nop 0
	v_cndmask_b32_e64 v8, v12, v11, s[6:7]
	v_add_u32_e32 v12, v10, v0
	s_waitcnt lgkmcnt(0)
	v_lshl_add_u64 v[12:13], v[12:13], 1, s[12:13]
	global_store_short v[12:13], v8, off
	s_or_b64 exec, exec, s[14:15]
	s_and_saveexec_b64 s[14:15], s[0:1]
	s_cbranch_execz .LBB161_55
.LBB161_81:
	v_bfe_u32 v8, v6, 16, 1
	s_movk_i32 s6, 0x7fff
	v_add3_u32 v8, v6, v8, s6
	v_lshrrev_b32_e32 v8, 16, v8
	v_mov_b32_e32 v11, 0x7fc0
	v_cmp_o_f32_e64 s[6:7], v6, v6
	v_add_u32_e32 v12, v10, v1
	v_mov_b32_e32 v13, 0
	v_cndmask_b32_e64 v6, v11, v8, s[6:7]
	s_waitcnt lgkmcnt(0)
	v_lshl_add_u64 v[12:13], v[12:13], 1, s[12:13]
	global_store_short v[12:13], v6, off
	s_or_b64 exec, exec, s[14:15]
	s_and_saveexec_b64 s[14:15], s[2:3]
	s_cbranch_execz .LBB161_56
.LBB161_82:
	v_bfe_u32 v6, v4, 16, 1
	s_movk_i32 s6, 0x7fff
	v_add3_u32 v6, v4, v6, s6
	v_lshrrev_b32_e32 v6, 16, v6
	v_mov_b32_e32 v8, 0x7fc0
	v_cmp_o_f32_e64 s[6:7], v4, v4
	v_add_u32_e32 v12, v10, v30
	v_mov_b32_e32 v13, 0
	v_cndmask_b32_e64 v4, v8, v6, s[6:7]
	s_waitcnt lgkmcnt(0)
	v_lshl_add_u64 v[12:13], v[12:13], 1, s[12:13]
	global_store_short v[12:13], v4, off
	s_or_b64 exec, exec, s[14:15]
	s_and_saveexec_b64 s[14:15], s[4:5]
	s_cbranch_execnz .LBB161_57
	s_branch .LBB161_58
.LBB161_83:
	v_bfe_u32 v4, v9, 16, 1
	s_movk_i32 s8, 0x7fff
	v_add3_u32 v4, v9, v4, s8
	v_lshrrev_b32_e32 v4, 16, v4
	v_mov_b32_e32 v6, 0x7fc0
	v_cmp_o_f32_e32 vcc, v9, v9
	v_add_u32_e32 v8, v2, v0
	v_mov_b32_e32 v9, 0
	v_cndmask_b32_e32 v4, v6, v4, vcc
	s_waitcnt lgkmcnt(0)
	v_lshl_add_u64 v[8:9], v[8:9], 1, s[12:13]
	global_store_short v[8:9], v4, off
	s_or_b64 exec, exec, s[6:7]
	s_and_saveexec_b64 s[6:7], s[0:1]
	s_cbranch_execz .LBB161_61
.LBB161_84:
	v_bfe_u32 v0, v7, 16, 1
	s_movk_i32 s0, 0x7fff
	v_add3_u32 v0, v7, v0, s0
	v_lshrrev_b32_e32 v0, 16, v0
	v_mov_b32_e32 v4, 0x7fc0
	v_cmp_o_f32_e32 vcc, v7, v7
	s_nop 1
	v_cndmask_b32_e32 v4, v4, v0, vcc
	v_add_u32_e32 v0, v2, v1
	v_mov_b32_e32 v1, 0
	s_waitcnt lgkmcnt(0)
	v_lshl_add_u64 v[0:1], v[0:1], 1, s[12:13]
	global_store_short v[0:1], v4, off
	s_or_b64 exec, exec, s[6:7]
	s_and_saveexec_b64 s[0:1], s[2:3]
	s_cbranch_execz .LBB161_62
.LBB161_85:
	v_bfe_u32 v0, v5, 16, 1
	s_movk_i32 s2, 0x7fff
	v_add3_u32 v0, v5, v0, s2
	v_lshrrev_b32_e32 v0, 16, v0
	v_mov_b32_e32 v1, 0x7fc0
	v_cmp_o_f32_e32 vcc, v5, v5
	s_nop 1
	v_cndmask_b32_e32 v4, v1, v0, vcc
	v_add_u32_e32 v0, v2, v30
	v_mov_b32_e32 v1, 0
	s_waitcnt lgkmcnt(0)
	v_lshl_add_u64 v[0:1], v[0:1], 1, s[12:13]
	global_store_short v[0:1], v4, off
	s_or_b64 exec, exec, s[0:1]
	s_and_b64 exec, exec, s[4:5]
	s_cbranch_execnz .LBB161_63
	s_branch .LBB161_64
	.section	.rodata,"a",@progbits
	.p2align	6, 0x0
	.amdhsa_kernel _ZL12mul_mat_q5_0IN3c108BFloat16ELb0EEvPKvS3_PT_iiiii
		.amdhsa_group_segment_fixed_size 46720
		.amdhsa_private_segment_fixed_size 0
		.amdhsa_kernarg_size 44
		.amdhsa_user_sgpr_count 2
		.amdhsa_user_sgpr_dispatch_ptr 0
		.amdhsa_user_sgpr_queue_ptr 0
		.amdhsa_user_sgpr_kernarg_segment_ptr 1
		.amdhsa_user_sgpr_dispatch_id 0
		.amdhsa_user_sgpr_kernarg_preload_length 0
		.amdhsa_user_sgpr_kernarg_preload_offset 0
		.amdhsa_user_sgpr_private_segment_size 0
		.amdhsa_uses_dynamic_stack 0
		.amdhsa_enable_private_segment 0
		.amdhsa_system_sgpr_workgroup_id_x 1
		.amdhsa_system_sgpr_workgroup_id_y 1
		.amdhsa_system_sgpr_workgroup_id_z 0
		.amdhsa_system_sgpr_workgroup_info 0
		.amdhsa_system_vgpr_workitem_id 1
		.amdhsa_next_free_vgpr 175
		.amdhsa_next_free_sgpr 20
		.amdhsa_accum_offset 176
		.amdhsa_reserve_vcc 1
		.amdhsa_float_round_mode_32 0
		.amdhsa_float_round_mode_16_64 0
		.amdhsa_float_denorm_mode_32 3
		.amdhsa_float_denorm_mode_16_64 3
		.amdhsa_dx10_clamp 1
		.amdhsa_ieee_mode 1
		.amdhsa_fp16_overflow 0
		.amdhsa_tg_split 0
		.amdhsa_exception_fp_ieee_invalid_op 0
		.amdhsa_exception_fp_denorm_src 0
		.amdhsa_exception_fp_ieee_div_zero 0
		.amdhsa_exception_fp_ieee_overflow 0
		.amdhsa_exception_fp_ieee_underflow 0
		.amdhsa_exception_fp_ieee_inexact 0
		.amdhsa_exception_int_div_zero 0
	.end_amdhsa_kernel
	.section	.text._ZL12mul_mat_q5_0IN3c108BFloat16ELb0EEvPKvS3_PT_iiiii,"axG",@progbits,_ZL12mul_mat_q5_0IN3c108BFloat16ELb0EEvPKvS3_PT_iiiii,comdat
.Lfunc_end161:
	.size	_ZL12mul_mat_q5_0IN3c108BFloat16ELb0EEvPKvS3_PT_iiiii, .Lfunc_end161-_ZL12mul_mat_q5_0IN3c108BFloat16ELb0EEvPKvS3_PT_iiiii
                                        ; -- End function
	.section	.AMDGPU.csdata,"",@progbits
; Kernel info:
; codeLenInByte = 15552
; NumSgprs: 26
; NumVgprs: 175
; NumAgprs: 0
; TotalNumVgprs: 175
; ScratchSize: 0
; MemoryBound: 0
; FloatMode: 240
; IeeeMode: 1
; LDSByteSize: 46720 bytes/workgroup (compile time only)
; SGPRBlocks: 3
; VGPRBlocks: 21
; NumSGPRsForWavesPerEU: 26
; NumVGPRsForWavesPerEU: 175
; AccumOffset: 176
; Occupancy: 1
; WaveLimiterHint : 0
; COMPUTE_PGM_RSRC2:SCRATCH_EN: 0
; COMPUTE_PGM_RSRC2:USER_SGPR: 2
; COMPUTE_PGM_RSRC2:TRAP_HANDLER: 0
; COMPUTE_PGM_RSRC2:TGID_X_EN: 1
; COMPUTE_PGM_RSRC2:TGID_Y_EN: 1
; COMPUTE_PGM_RSRC2:TGID_Z_EN: 0
; COMPUTE_PGM_RSRC2:TIDIG_COMP_CNT: 1
; COMPUTE_PGM_RSRC3_GFX90A:ACCUM_OFFSET: 43
; COMPUTE_PGM_RSRC3_GFX90A:TG_SPLIT: 0
	.section	.text._ZL12mul_mat_q5_0IN3c108BFloat16ELb1EEvPKvS3_PT_iiiii,"axG",@progbits,_ZL12mul_mat_q5_0IN3c108BFloat16ELb1EEvPKvS3_PT_iiiii,comdat
	.globl	_ZL12mul_mat_q5_0IN3c108BFloat16ELb1EEvPKvS3_PT_iiiii ; -- Begin function _ZL12mul_mat_q5_0IN3c108BFloat16ELb1EEvPKvS3_PT_iiiii
	.p2align	8
	.type	_ZL12mul_mat_q5_0IN3c108BFloat16ELb1EEvPKvS3_PT_iiiii,@function
_ZL12mul_mat_q5_0IN3c108BFloat16ELb1EEvPKvS3_PT_iiiii: ; @_ZL12mul_mat_q5_0IN3c108BFloat16ELb1EEvPKvS3_PT_iiiii
; %bb.0:
	s_load_dwordx4 s[8:11], s[0:1], 0x18
	s_load_dword s14, s[0:1], 0x28
	s_lshl_b32 s15, s3, 6
	v_bfe_u32 v31, v0, 10, 10
	s_waitcnt lgkmcnt(0)
	s_cmp_gt_i32 s8, 31
	s_cbranch_scc1 .LBB162_2
; %bb.1:
	v_bfe_u32 v26, v0, 10, 10
	s_mov_b32 s4, 0
	v_and_b32_e32 v1, 0x3ff, v0
	v_add_u32_e32 v33, s15, v26
	s_mov_b32 s5, s4
	s_mov_b64 s[6:7], 0
	s_branch .LBB162_3
.LBB162_2:
	s_mov_b64 s[6:7], -1
                                        ; implicit-def: $sgpr4_sgpr5
                                        ; implicit-def: $vgpr26
                                        ; implicit-def: $vgpr1
                                        ; implicit-def: $vgpr33
.LBB162_3:
	s_load_dwordx2 s[12:13], s[0:1], 0x10
	s_lshl_b32 s16, s2, 7
	s_andn2_b64 vcc, exec, s[6:7]
	v_mov_b64_e32 v[2:3], s[4:5]
	v_mov_b64_e32 v[10:11], s[4:5]
	v_mov_b64_e32 v[18:19], s[4:5]
	v_mov_b64_e32 v[28:29], s[4:5]
	v_mov_b64_e32 v[4:5], s[4:5]
	v_mov_b64_e32 v[12:13], s[4:5]
	v_mov_b64_e32 v[20:21], s[4:5]
	v_mov_b64_e32 v[46:47], s[4:5]
	v_mov_b64_e32 v[6:7], s[4:5]
	v_mov_b64_e32 v[14:15], s[4:5]
	v_mov_b64_e32 v[22:23], s[4:5]
	v_mov_b64_e32 v[64:65], s[4:5]
	v_mov_b64_e32 v[8:9], s[4:5]
	v_mov_b64_e32 v[16:17], s[4:5]
	v_mov_b64_e32 v[24:25], s[4:5]
	v_mov_b64_e32 v[78:79], s[4:5]
	s_cbranch_vccnz .LBB162_13
; %bb.4:
	s_ashr_i32 s4, s8, 31
	s_lshr_b32 s4, s4, 27
	s_load_dwordx4 s[0:3], s[0:1], 0x0
	s_add_i32 s4, s8, s4
	s_ashr_i32 s6, s4, 5
	s_ashr_i32 s4, s11, 31
	s_lshr_b32 s4, s4, 27
	s_add_i32 s4, s11, s4
	s_mul_i32 s5, s6, s16
	s_ashr_i32 s4, s4, 5
	s_mul_hi_i32 s8, s5, 22
	s_mul_i32 s5, s5, 22
	s_waitcnt lgkmcnt(0)
	s_add_u32 s7, s0, s5
	s_addc_u32 s8, s1, s8
	s_not_b32 s0, s16
	s_add_i32 s5, s0, s9
	v_and_b32_e32 v1, 0x3ff, v0
	v_min_i32_e32 v3, s5, v31
	v_lshlrev_b32_e32 v4, 3, v1
	s_movk_i32 s1, 0x104
	v_add_u32_e32 v8, 8, v31
	v_mul_lo_u32 v30, v3, s6
	v_mad_u64_u32 v[32:33], s[18:19], v3, s1, v[4:5]
	v_min_i32_e32 v3, s5, v8
	v_add_u32_e32 v9, 16, v31
	v_mul_lo_u32 v34, v3, s6
	v_mad_u64_u32 v[36:37], s[18:19], v3, s1, v[4:5]
	v_min_i32_e32 v3, s5, v9
	;; [unrolled: 4-line block ×7, first 2 shown]
	v_mul_lo_u32 v60, v3, s6
	v_mad_u64_u32 v[62:63], s[18:19], v3, s1, v[4:5]
	v_add_u32_e32 v3, 64, v31
	v_min_i32_e32 v3, s5, v3
	v_mul_lo_u32 v66, v3, s6
	v_mad_u64_u32 v[68:69], s[18:19], v3, s1, v[4:5]
	v_add_u32_e32 v3, 0x48, v31
	v_min_i32_e32 v3, s5, v3
	;; [unrolled: 4-line block ×8, first 2 shown]
	v_lshrrev_b32_e32 v35, 3, v1
	v_mul_lo_u32 v96, v3, s6
	v_mad_u64_u32 v[98:99], s[18:19], v3, s1, v[4:5]
	v_lshl_add_u32 v3, v31, 2, v35
	v_min_i32_e32 v4, s5, v3
	v_ashrrev_i32_e32 v5, 31, v4
	v_lshrrev_b32_e32 v5, 30, v5
	v_and_b32_e32 v100, 7, v1
	v_mul_lo_u32 v102, v4, s6
	v_add_u32_e32 v5, v4, v5
	v_lshlrev_b32_e32 v16, 5, v4
	v_add_u32_e32 v4, 32, v3
	v_and_b32_e32 v5, -4, v5
	v_lshlrev_b32_e32 v6, 2, v100
	s_mov_b32 s9, 0xa200
	v_min_i32_e32 v4, s5, v4
	v_add3_u32 v15, v5, v6, s9
	v_ashrrev_i32_e32 v5, 31, v4
	v_lshrrev_b32_e32 v5, 30, v5
	v_mul_lo_u32 v104, v4, s6
	v_add_u32_e32 v5, v4, v5
	v_lshlrev_b32_e32 v18, 5, v4
	v_add_u32_e32 v4, 64, v3
	v_and_b32_e32 v5, -4, v5
	v_min_i32_e32 v4, s5, v4
	v_add3_u32 v17, v5, v6, s9
	v_ashrrev_i32_e32 v5, 31, v4
	v_add_u32_e32 v3, 0x60, v3
	v_lshrrev_b32_e32 v5, 30, v5
	v_min_i32_e32 v3, s5, v3
	v_mul_lo_u32 v106, v4, s6
	v_add_u32_e32 v5, v4, v5
	v_lshlrev_b32_e32 v20, 5, v4
	v_ashrrev_i32_e32 v4, 31, v3
	v_lshrrev_b32_e32 v4, 30, v4
	v_add_u32_e32 v4, v3, v4
	v_lshrrev_b32_e32 v0, 2, v1
	v_and_b32_e32 v5, -4, v5
	v_mul_lo_u32 v108, v3, s6
	v_and_b32_e32 v4, -4, v4
	v_lshlrev_b32_e32 v22, 5, v3
	v_lshlrev_b32_e32 v3, 2, v1
	v_mov_b32_e32 v27, 0
	v_add3_u32 v19, v5, v6, s9
	v_add3_u32 v21, v4, v6, s9
	v_and_b32_e32 v6, 28, v3
	v_lshl_add_u32 v3, v31, 3, v0
	v_mov_b32_e32 v7, v27
	v_and_b32_e32 v3, 63, v3
	v_and_b32_e32 v2, 3, v1
	s_add_i32 s5, s10, -1
	v_lshl_add_u64 v[110:111], s[2:3], 0, v[6:7]
	v_or_b32_e32 v6, s15, v3
	v_lshlrev_b32_e32 v26, 2, v2
	v_min_i32_e32 v6, s5, v6
	v_add_u32_e32 v33, s15, v31
	v_mad_u64_u32 v[112:113], s[18:19], v6, s4, v[2:3]
	v_lshl_or_b32 v2, v3, 4, v26
	v_cvt_f64_i32_e32 v[4:5], s5
	v_add_u32_e32 v37, 0xb280, v2
	v_cvt_f64_u32_e32 v[2:3], v33
	v_and_b32_e32 v23, 31, v1
	v_min_f64 v[2:3], v[2:3], v[4:5]
	v_cvt_i32_f64_e32 v2, v[2:3]
	v_lshlrev_b32_e32 v6, 2, v23
	v_lshlrev_b32_e32 v7, 7, v31
	v_mul_lo_u32 v39, s4, v2
	v_or_b32_e32 v2, v7, v6
	v_add_u32_e32 v41, 0x8200, v2
	v_add_u32_e32 v2, 8, v33
	v_cvt_f64_u32_e32 v[2:3], v2
	v_min_f64 v[2:3], v[2:3], v[4:5]
	v_cvt_i32_f64_e32 v2, v[2:3]
	v_mul_lo_u32 v43, s4, v2
	v_lshl_or_b32 v2, v8, 7, v6
	v_add_u32_e32 v45, 0x8200, v2
	v_add_u32_e32 v2, 16, v33
	v_cvt_f64_u32_e32 v[2:3], v2
	v_min_f64 v[2:3], v[2:3], v[4:5]
	v_cvt_i32_f64_e32 v2, v[2:3]
	v_mul_lo_u32 v49, s4, v2
	v_lshl_or_b32 v2, v9, 7, v6
	;; [unrolled: 7-line block ×7, first 2 shown]
	v_add_u32_e32 v73, 0x8200, v2
	v_add_u32_e32 v2, 32, v1
	v_lshlrev_b32_e32 v5, 5, v1
	v_lshrrev_b32_e32 v77, 3, v2
	v_and_b32_e32 v2, 0x1fc, v2
	v_add_u32_e32 v2, v5, v2
	s_mov_b32 s0, 0
	v_add_u32_e32 v3, 64, v1
	v_add_u32_e32 v4, 0x60, v1
	;; [unrolled: 1-line block ×4, first 2 shown]
	v_mov_b32_e32 v2, 0x80
	v_and_b32_e32 v4, 0x1fc, v4
	v_and_b32_e32 v3, 0x1fc, v3
	;; [unrolled: 1-line block ×3, first 2 shown]
	v_mad_u32_u24 v101, v1, s1, v2
	s_mov_b32 s1, s0
	v_add_u32_e32 v4, v5, v4
	v_add_u32_e32 v3, v5, v3
	;; [unrolled: 1-line block ×3, first 2 shown]
	v_mov_b32_e32 v6, 0xb280
	v_mov_b64_e32 v[78:79], s[0:1]
	v_mul_u32_u24_e32 v75, 0x104, v1
	v_add_u32_e32 v81, 0xae00, v4
	v_add_u32_e32 v83, 0xaa00, v3
	;; [unrolled: 1-line block ×4, first 2 shown]
	v_lshl_add_u32 v91, v31, 4, v6
	v_add_u32_e32 v93, 0xae10, v4
	v_add_u32_e32 v95, 0xaa10, v3
	;; [unrolled: 1-line block ×3, first 2 shown]
	s_movk_i32 s1, 0x1f00
	s_movk_i32 s9, 0xf000
	;; [unrolled: 1-line block ×3, first 2 shown]
	v_add_u32_e32 v103, v15, v16
	v_add_u32_e32 v105, v17, v18
	;; [unrolled: 1-line block ×4, first 2 shown]
	v_mov_b32_e32 v113, 8
	v_mov_b64_e32 v[24:25], v[78:79]
	v_mov_b64_e32 v[16:17], v[78:79]
	;; [unrolled: 1-line block ×15, first 2 shown]
	s_branch .LBB162_6
.LBB162_5:                              ;   in Loop: Header=BB162_6 Depth=1
	s_add_i32 s0, s0, 8
	s_cmp_ge_i32 s0, s6
	s_cbranch_scc1 .LBB162_12
.LBB162_6:                              ; =>This Loop Header: Depth=1
                                        ;     Child Loop BB162_7 Depth 2
                                        ;     Child Loop BB162_10 Depth 2
	s_mul_i32 s4, s0, 22
	s_mul_hi_u32 s5, s0, 22
	s_add_u32 s4, s7, s4
	s_addc_u32 s5, s8, s5
	v_mad_u64_u32 v[114:115], s[18:19], v0, 22, s[4:5]
	v_mad_i64_i32 v[116:117], s[18:19], v30, 22, v[114:115]
	v_lshl_add_u64 v[118:119], v[116:117], 0, v[26:27]
	v_mad_i64_i32 v[124:125], s[18:19], v42, 22, v[114:115]
	v_mad_i64_i32 v[120:121], s[18:19], v34, 22, v[114:115]
	;; [unrolled: 1-line block ×3, first 2 shown]
	global_load_dword v132, v[124:125], off offset:2
	global_load_dword v126, v[122:123], off offset:2
	global_load_dword v127, v[120:121], off offset:2
	global_load_dword v128, v[116:117], off offset:2
	s_nop 0
	global_load_dword v118, v[118:119], off offset:6
	v_lshl_add_u64 v[116:117], v[120:121], 0, v[26:27]
	global_load_dword v119, v[116:117], off offset:6
	v_lshl_add_u64 v[116:117], v[122:123], 0, v[26:27]
	;; [unrolled: 2-line block ×3, first 2 shown]
	global_load_dword v134, v[116:117], off offset:6
	v_mov_b32_e32 v156, v87
	v_mov_b32_e32 v157, v85
	;; [unrolled: 1-line block ×4, first 2 shown]
	s_waitcnt vmcnt(5)
	v_ashrrev_i32_e32 v120, v26, v127
	s_waitcnt vmcnt(4)
	v_ashrrev_i32_e32 v116, v26, v128
	v_lshlrev_b32_e32 v122, 4, v116
	v_lshlrev_b32_e32 v123, 11, v116
	;; [unrolled: 1-line block ×4, first 2 shown]
	v_lshrrev_b32_e32 v127, 12, v116
	v_lshrrev_b32_e32 v128, 5, v116
	v_lshlrev_b32_e32 v129, 2, v116
	s_waitcnt vmcnt(3)
	v_and_b32_e32 v117, 0xf0f0f0f, v118
	v_lshrrev_b32_e32 v118, 4, v118
	v_lshlrev_b32_e32 v116, 9, v116
	v_lshlrev_b32_e32 v130, 4, v120
	;; [unrolled: 1-line block ×5, first 2 shown]
	v_and_b32_e32 v122, 16, v122
	v_and_b32_e32 v123, 0x1000, v123
	;; [unrolled: 1-line block ×7, first 2 shown]
	s_waitcnt vmcnt(2)
	v_and_b32_e32 v121, 0xf0f0f0f, v119
	v_and_b32_e32 v118, 0xf0f0f0f, v118
	;; [unrolled: 1-line block ×7, first 2 shown]
	v_or3_b32 v122, v122, v117, v123
	v_or3_b32 v117, v117, v124, v125
	;; [unrolled: 1-line block ×5, first 2 shown]
	v_and_b32_e32 v125, 0x1f00, v122
	v_lshlrev_b16_e32 v122, 8, v122
	v_and_b32_sdwa v127, v117, s1 dst_sel:DWORD dst_unused:UNUSED_PAD src0_sel:WORD_1 src1_sel:DWORD
	v_lshlrev_b16_sdwa v117, v113, v117 dst_sel:DWORD dst_unused:UNUSED_PAD src0_sel:DWORD src1_sel:WORD_1
	v_or3_b32 v116, v123, v116, v118
	v_and_b32_e32 v118, 0x1f00, v124
	v_lshlrev_b16_e32 v123, 8, v124
	v_and_b32_sdwa v124, v121, s1 dst_sel:DWORD dst_unused:UNUSED_PAD src0_sel:WORD_1 src1_sel:DWORD
	v_lshlrev_b16_sdwa v121, v113, v121 dst_sel:DWORD dst_unused:UNUSED_PAD src0_sel:DWORD src1_sel:WORD_1
	v_add_u16_e32 v122, 0xf000, v122
	v_add_u16_e32 v117, 0xf000, v117
	v_lshlrev_b16_e32 v129, 8, v116
	v_and_b32_sdwa v130, v116, s11 dst_sel:DWORD dst_unused:UNUSED_PAD src0_sel:WORD_1 src1_sel:DWORD
	v_and_b32_e32 v128, 0x1f00, v116
	v_lshlrev_b16_sdwa v116, v113, v116 dst_sel:DWORD dst_unused:UNUSED_PAD src0_sel:DWORD src1_sel:WORD_1
	v_add_u16_e32 v123, 0xf000, v123
	v_add_u16_e32 v121, 0xf000, v121
	v_or_b32_sdwa v122, v125, v122 dst_sel:DWORD dst_unused:UNUSED_PAD src0_sel:DWORD src1_sel:BYTE_1
	v_or_b32_sdwa v117, v127, v117 dst_sel:DWORD dst_unused:UNUSED_PAD src0_sel:DWORD src1_sel:BYTE_1
	v_add_i16 v125, v129, s9 clamp
	v_add_i16 v127, v130, s9 clamp
	;; [unrolled: 1-line block ×3, first 2 shown]
	v_or_b32_sdwa v118, v118, v123 dst_sel:DWORD dst_unused:UNUSED_PAD src0_sel:DWORD src1_sel:BYTE_1
	v_or_b32_sdwa v121, v124, v121 dst_sel:DWORD dst_unused:UNUSED_PAD src0_sel:DWORD src1_sel:BYTE_1
	v_add_u16_e32 v122, 0xf000, v122
	v_add_u16_sdwa v117, v117, s9 dst_sel:WORD_1 dst_unused:UNUSED_PAD src0_sel:DWORD src1_sel:DWORD
	v_or_b32_sdwa v123, v128, v125 dst_sel:DWORD dst_unused:UNUSED_PAD src0_sel:DWORD src1_sel:BYTE_1
	v_and_b32_e32 v124, 0xffffff00, v127
	v_or_b32_e32 v117, v122, v117
	v_add_u16_e32 v122, 0xf000, v123
	v_or_b32_sdwa v116, v116, v124 dst_sel:WORD_1 dst_unused:UNUSED_PAD src0_sel:BYTE_1 src1_sel:DWORD
	v_add_u16_e32 v118, 0xf000, v118
	v_add_u16_sdwa v121, v121, s9 dst_sel:WORD_1 dst_unused:UNUSED_PAD src0_sel:DWORD src1_sel:DWORD
	v_or_b32_e32 v116, v122, v116
	v_or_b32_e32 v118, v118, v121
	ds_write2_b32 v32, v117, v116 offset1:1
	v_lshrrev_b32_e32 v116, 4, v119
	v_lshrrev_b32_e32 v117, 12, v120
	;; [unrolled: 1-line block ×3, first 2 shown]
	v_lshlrev_b32_e32 v121, 2, v120
	v_and_b32_e32 v117, 16, v117
	v_and_b32_e32 v119, 0x1000, v119
	;; [unrolled: 1-line block ×3, first 2 shown]
	v_lshlrev_b32_e32 v120, 9, v120
	v_and_b32_e32 v116, 0xf0f0f0f, v116
	v_and_b32_e32 v120, 0x10000000, v120
	v_or3_b32 v117, v119, v117, v121
	v_or3_b32 v116, v117, v120, v116
	v_lshlrev_b16_e32 v119, 8, v116
	v_and_b32_e32 v117, 0x1f00, v116
	v_add_i16 v119, v119, s9 clamp
	v_or_b32_sdwa v117, v117, v119 dst_sel:DWORD dst_unused:UNUSED_PAD src0_sel:DWORD src1_sel:BYTE_1
	v_and_b32_sdwa v119, v116, s11 dst_sel:DWORD dst_unused:UNUSED_PAD src0_sel:WORD_1 src1_sel:DWORD
	v_add_i16 v119, v119, s9 clamp
	v_lshlrev_b16_sdwa v116, v113, v116 dst_sel:DWORD dst_unused:UNUSED_PAD src0_sel:DWORD src1_sel:WORD_1
	v_and_b32_e32 v119, 0xffffff00, v119
	v_add_i16 v116, v116, s9 clamp
	v_add_u16_e32 v117, 0xf000, v117
	v_or_b32_sdwa v116, v116, v119 dst_sel:WORD_1 dst_unused:UNUSED_PAD src0_sel:BYTE_1 src1_sel:DWORD
	v_ashrrev_i32_e32 v135, v26, v126
	v_or_b32_e32 v116, v117, v116
	ds_write2_b32 v36, v118, v116 offset1:1
	v_lshlrev_b32_e32 v117, 4, v135
	v_lshlrev_b32_e32 v118, 11, v135
	s_waitcnt vmcnt(1)
	v_and_b32_e32 v116, 0xf0f0f0f, v133
	v_and_b32_e32 v117, 16, v117
	;; [unrolled: 1-line block ×3, first 2 shown]
	v_or3_b32 v117, v117, v116, v118
	v_lshlrev_b32_e32 v118, 18, v135
	v_lshlrev_b32_e32 v119, 25, v135
	v_and_b32_e32 v118, 0x100000, v118
	v_and_b32_e32 v119, 0x10000000, v119
	v_or3_b32 v136, v116, v118, v119
	v_and_b32_e32 v116, 0x1f00, v117
	v_lshlrev_b16_e32 v117, 8, v117
	v_add_u16_e32 v117, 0xf000, v117
	v_or_b32_sdwa v116, v116, v117 dst_sel:DWORD dst_unused:UNUSED_PAD src0_sel:DWORD src1_sel:BYTE_1
	v_add_u16_e32 v137, 0xf000, v116
	v_mad_i64_i32 v[116:117], s[18:19], v48, 22, v[114:115]
	v_mad_i64_i32 v[120:121], s[18:19], v52, 22, v[114:115]
	;; [unrolled: 1-line block ×3, first 2 shown]
	v_lshl_add_u64 v[118:119], v[116:117], 0, v[26:27]
	v_lshl_add_u64 v[122:123], v[120:121], 0, v[26:27]
	v_mad_i64_i32 v[124:125], s[18:19], v56, 22, v[114:115]
	v_lshl_add_u64 v[130:131], v[128:129], 0, v[26:27]
	v_lshl_add_u64 v[126:127], v[124:125], 0, v[26:27]
	global_load_dword v138, v[130:131], off offset:6
	global_load_dword v139, v[128:129], off offset:2
	;; [unrolled: 1-line block ×3, first 2 shown]
	s_nop 0
	global_load_dword v124, v[124:125], off offset:2
	s_nop 0
	global_load_dword v122, v[122:123], off offset:6
	;; [unrolled: 2-line block ×5, first 2 shown]
	v_lshlrev_b16_sdwa v119, v113, v136 dst_sel:DWORD dst_unused:UNUSED_PAD src0_sel:DWORD src1_sel:WORD_1
	v_and_b32_sdwa v117, v136, s1 dst_sel:DWORD dst_unused:UNUSED_PAD src0_sel:WORD_1 src1_sel:DWORD
	v_add_u16_e32 v119, 0xf000, v119
	v_lshrrev_b32_e32 v121, 12, v135
	v_lshrrev_b32_e32 v123, 5, v135
	v_lshlrev_b32_e32 v125, 2, v135
	v_or_b32_sdwa v117, v117, v119 dst_sel:DWORD dst_unused:UNUSED_PAD src0_sel:DWORD src1_sel:BYTE_1
	v_lshrrev_b32_e32 v119, 4, v133
	v_and_b32_e32 v121, 16, v121
	v_and_b32_e32 v123, 0x1000, v123
	;; [unrolled: 1-line block ×3, first 2 shown]
	v_lshlrev_b32_e32 v126, 9, v135
	v_and_b32_e32 v119, 0xf0f0f0f, v119
	v_and_b32_e32 v126, 0x10000000, v126
	v_or3_b32 v121, v123, v121, v125
	v_or3_b32 v119, v121, v126, v119
	v_lshlrev_b16_e32 v123, 8, v119
	v_and_b32_e32 v121, 0x1f00, v119
	v_add_i16 v123, v123, s9 clamp
	v_or_b32_sdwa v121, v121, v123 dst_sel:DWORD dst_unused:UNUSED_PAD src0_sel:DWORD src1_sel:BYTE_1
	v_and_b32_sdwa v123, v119, s11 dst_sel:DWORD dst_unused:UNUSED_PAD src0_sel:WORD_1 src1_sel:DWORD
	v_add_i16 v123, v123, s9 clamp
	v_lshlrev_b16_sdwa v119, v113, v119 dst_sel:DWORD dst_unused:UNUSED_PAD src0_sel:DWORD src1_sel:WORD_1
	v_and_b32_e32 v123, 0xffffff00, v123
	v_add_i16 v119, v119, s9 clamp
	v_add_u16_sdwa v117, v117, s9 dst_sel:WORD_1 dst_unused:UNUSED_PAD src0_sel:DWORD src1_sel:DWORD
	v_add_u16_e32 v121, 0xf000, v121
	v_or_b32_sdwa v119, v119, v123 dst_sel:WORD_1 dst_unused:UNUSED_PAD src0_sel:BYTE_1 src1_sel:DWORD
	v_or_b32_e32 v117, v137, v117
	v_or_b32_e32 v119, v121, v119
	ds_write2_b32 v40, v117, v119 offset1:1
	v_ashrrev_i32_e32 v117, v26, v132
	v_lshlrev_b32_e32 v121, 4, v117
	v_lshlrev_b32_e32 v123, 11, v117
	s_waitcnt vmcnt(8)
	v_and_b32_e32 v119, 0xf0f0f0f, v134
	v_and_b32_e32 v121, 16, v121
	;; [unrolled: 1-line block ×3, first 2 shown]
	v_or3_b32 v121, v121, v119, v123
	v_lshlrev_b32_e32 v123, 18, v117
	v_lshlrev_b32_e32 v125, 25, v117
	v_and_b32_e32 v123, 0x100000, v123
	v_and_b32_e32 v125, 0x10000000, v125
	v_or3_b32 v119, v119, v123, v125
	v_and_b32_e32 v123, 0x1f00, v121
	v_lshlrev_b16_e32 v121, 8, v121
	v_add_u16_e32 v121, 0xf000, v121
	v_or_b32_sdwa v121, v123, v121 dst_sel:DWORD dst_unused:UNUSED_PAD src0_sel:DWORD src1_sel:BYTE_1
	v_and_b32_sdwa v123, v119, s1 dst_sel:DWORD dst_unused:UNUSED_PAD src0_sel:WORD_1 src1_sel:DWORD
	v_lshlrev_b16_sdwa v119, v113, v119 dst_sel:DWORD dst_unused:UNUSED_PAD src0_sel:DWORD src1_sel:WORD_1
	v_add_u16_e32 v119, 0xf000, v119
	v_or_b32_sdwa v119, v123, v119 dst_sel:DWORD dst_unused:UNUSED_PAD src0_sel:DWORD src1_sel:BYTE_1
	v_add_u16_e32 v121, 0xf000, v121
	v_add_u16_sdwa v119, v119, s9 dst_sel:WORD_1 dst_unused:UNUSED_PAD src0_sel:DWORD src1_sel:DWORD
	v_lshrrev_b32_e32 v123, 12, v117
	v_lshrrev_b32_e32 v125, 5, v117
	v_lshlrev_b32_e32 v126, 2, v117
	v_or_b32_e32 v119, v121, v119
	v_lshrrev_b32_e32 v121, 4, v134
	v_and_b32_e32 v123, 16, v123
	v_and_b32_e32 v125, 0x1000, v125
	v_and_b32_e32 v126, 0x100000, v126
	v_lshlrev_b32_e32 v117, 9, v117
	v_and_b32_e32 v121, 0xf0f0f0f, v121
	v_and_b32_e32 v117, 0x10000000, v117
	v_or3_b32 v123, v125, v123, v126
	v_or3_b32 v117, v123, v117, v121
	v_lshlrev_b16_e32 v123, 8, v117
	v_and_b32_e32 v121, 0x1f00, v117
	v_add_i16 v123, v123, s9 clamp
	v_or_b32_sdwa v121, v121, v123 dst_sel:DWORD dst_unused:UNUSED_PAD src0_sel:DWORD src1_sel:BYTE_1
	v_and_b32_sdwa v123, v117, s11 dst_sel:DWORD dst_unused:UNUSED_PAD src0_sel:WORD_1 src1_sel:DWORD
	v_add_i16 v123, v123, s9 clamp
	v_lshlrev_b16_sdwa v117, v113, v117 dst_sel:DWORD dst_unused:UNUSED_PAD src0_sel:DWORD src1_sel:WORD_1
	v_and_b32_e32 v123, 0xffffff00, v123
	v_add_i16 v117, v117, s9 clamp
	v_add_u16_e32 v121, 0xf000, v121
	v_or_b32_sdwa v117, v117, v123 dst_sel:WORD_1 dst_unused:UNUSED_PAD src0_sel:BYTE_1 src1_sel:DWORD
	s_waitcnt vmcnt(4)
	v_ashrrev_i32_e32 v132, v26, v124
	v_or_b32_e32 v117, v121, v117
	s_waitcnt vmcnt(0)
	v_ashrrev_i32_e32 v116, v26, v116
	ds_write2_b32 v44, v119, v117 offset1:1
	v_lshlrev_b32_e32 v119, 4, v116
	v_lshlrev_b32_e32 v121, 11, v116
	v_and_b32_e32 v117, 0xf0f0f0f, v118
	v_and_b32_e32 v119, 16, v119
	;; [unrolled: 1-line block ×3, first 2 shown]
	v_or3_b32 v119, v119, v117, v121
	v_lshlrev_b32_e32 v121, 18, v116
	v_lshlrev_b32_e32 v123, 25, v116
	v_and_b32_e32 v121, 0x100000, v121
	v_and_b32_e32 v123, 0x10000000, v123
	v_or3_b32 v117, v117, v121, v123
	v_and_b32_e32 v121, 0x1f00, v119
	v_lshlrev_b16_e32 v119, 8, v119
	v_add_u16_e32 v119, 0xf000, v119
	v_or_b32_sdwa v119, v121, v119 dst_sel:DWORD dst_unused:UNUSED_PAD src0_sel:DWORD src1_sel:BYTE_1
	v_and_b32_sdwa v121, v117, s1 dst_sel:DWORD dst_unused:UNUSED_PAD src0_sel:WORD_1 src1_sel:DWORD
	v_lshlrev_b16_sdwa v117, v113, v117 dst_sel:DWORD dst_unused:UNUSED_PAD src0_sel:DWORD src1_sel:WORD_1
	v_add_u16_e32 v117, 0xf000, v117
	v_or_b32_sdwa v117, v121, v117 dst_sel:DWORD dst_unused:UNUSED_PAD src0_sel:DWORD src1_sel:BYTE_1
	v_add_u16_e32 v119, 0xf000, v119
	v_add_u16_sdwa v117, v117, s9 dst_sel:WORD_1 dst_unused:UNUSED_PAD src0_sel:DWORD src1_sel:DWORD
	v_lshrrev_b32_e32 v121, 5, v116
	v_or_b32_e32 v117, v119, v117
	v_lshrrev_b32_e32 v119, 12, v116
	v_lshlrev_b32_e32 v123, 2, v116
	v_lshrrev_b32_e32 v118, 4, v118
	v_and_b32_e32 v119, 16, v119
	v_and_b32_e32 v121, 0x1000, v121
	;; [unrolled: 1-line block ×3, first 2 shown]
	v_lshlrev_b32_e32 v116, 9, v116
	v_and_b32_e32 v118, 0xf0f0f0f, v118
	v_and_b32_e32 v116, 0x10000000, v116
	v_or3_b32 v119, v121, v119, v123
	v_or3_b32 v116, v119, v116, v118
	v_lshlrev_b16_e32 v119, 8, v116
	v_and_b32_e32 v118, 0x1f00, v116
	v_add_i16 v119, v119, s9 clamp
	v_or_b32_sdwa v118, v118, v119 dst_sel:DWORD dst_unused:UNUSED_PAD src0_sel:DWORD src1_sel:BYTE_1
	v_and_b32_sdwa v119, v116, s11 dst_sel:DWORD dst_unused:UNUSED_PAD src0_sel:WORD_1 src1_sel:DWORD
	v_add_i16 v119, v119, s9 clamp
	v_lshlrev_b16_sdwa v116, v113, v116 dst_sel:DWORD dst_unused:UNUSED_PAD src0_sel:DWORD src1_sel:WORD_1
	v_and_b32_e32 v119, 0xffffff00, v119
	v_add_i16 v116, v116, s9 clamp
	v_add_u16_e32 v118, 0xf000, v118
	v_or_b32_sdwa v116, v116, v119 dst_sel:WORD_1 dst_unused:UNUSED_PAD src0_sel:BYTE_1 src1_sel:DWORD
	v_mad_i64_i32 v[128:129], s[18:19], v80, 22, v[114:115]
	v_or_b32_e32 v116, v118, v116
	ds_write2_b32 v50, v117, v116 offset1:1
	v_ashrrev_i32_e32 v116, v26, v120
	v_lshlrev_b32_e32 v118, 4, v116
	v_lshlrev_b32_e32 v119, 11, v116
	v_and_b32_e32 v117, 0xf0f0f0f, v122
	v_and_b32_e32 v118, 16, v118
	;; [unrolled: 1-line block ×3, first 2 shown]
	v_or3_b32 v118, v118, v117, v119
	v_lshlrev_b32_e32 v119, 18, v116
	v_lshlrev_b32_e32 v120, 25, v116
	v_and_b32_e32 v119, 0x100000, v119
	v_and_b32_e32 v120, 0x10000000, v120
	v_or3_b32 v117, v117, v119, v120
	v_and_b32_e32 v119, 0x1f00, v118
	v_lshlrev_b16_e32 v118, 8, v118
	v_add_u16_e32 v118, 0xf000, v118
	v_or_b32_sdwa v118, v119, v118 dst_sel:DWORD dst_unused:UNUSED_PAD src0_sel:DWORD src1_sel:BYTE_1
	v_and_b32_sdwa v119, v117, s1 dst_sel:DWORD dst_unused:UNUSED_PAD src0_sel:WORD_1 src1_sel:DWORD
	v_lshlrev_b16_sdwa v117, v113, v117 dst_sel:DWORD dst_unused:UNUSED_PAD src0_sel:DWORD src1_sel:WORD_1
	v_add_u16_e32 v117, 0xf000, v117
	v_or_b32_sdwa v117, v119, v117 dst_sel:DWORD dst_unused:UNUSED_PAD src0_sel:DWORD src1_sel:BYTE_1
	v_add_u16_e32 v118, 0xf000, v118
	v_add_u16_sdwa v117, v117, s9 dst_sel:WORD_1 dst_unused:UNUSED_PAD src0_sel:DWORD src1_sel:DWORD
	v_lshrrev_b32_e32 v119, 12, v116
	v_lshrrev_b32_e32 v120, 5, v116
	v_lshlrev_b32_e32 v121, 2, v116
	v_or_b32_e32 v117, v118, v117
	v_lshrrev_b32_e32 v118, 4, v122
	v_and_b32_e32 v119, 16, v119
	v_and_b32_e32 v120, 0x1000, v120
	;; [unrolled: 1-line block ×3, first 2 shown]
	v_lshlrev_b32_e32 v116, 9, v116
	v_and_b32_e32 v118, 0xf0f0f0f, v118
	v_and_b32_e32 v116, 0x10000000, v116
	v_or3_b32 v119, v120, v119, v121
	v_or3_b32 v116, v119, v116, v118
	v_lshlrev_b16_e32 v119, 8, v116
	v_and_b32_e32 v118, 0x1f00, v116
	v_add_i16 v119, v119, s9 clamp
	v_or_b32_sdwa v118, v118, v119 dst_sel:DWORD dst_unused:UNUSED_PAD src0_sel:DWORD src1_sel:BYTE_1
	v_and_b32_sdwa v119, v116, s11 dst_sel:DWORD dst_unused:UNUSED_PAD src0_sel:WORD_1 src1_sel:DWORD
	v_add_i16 v119, v119, s9 clamp
	v_lshlrev_b16_sdwa v116, v113, v116 dst_sel:DWORD dst_unused:UNUSED_PAD src0_sel:DWORD src1_sel:WORD_1
	v_and_b32_e32 v119, 0xffffff00, v119
	v_add_i16 v116, v116, s9 clamp
	v_add_u16_e32 v118, 0xf000, v118
	v_or_b32_sdwa v116, v116, v119 dst_sel:WORD_1 dst_unused:UNUSED_PAD src0_sel:BYTE_1 src1_sel:DWORD
	v_lshlrev_b32_e32 v119, 25, v132
	v_or_b32_e32 v116, v118, v116
	ds_write2_b32 v54, v117, v116 offset1:1
	v_lshlrev_b32_e32 v117, 4, v132
	v_lshlrev_b32_e32 v118, 11, v132
	v_and_b32_e32 v116, 0xf0f0f0f, v140
	v_and_b32_e32 v117, 16, v117
	;; [unrolled: 1-line block ×3, first 2 shown]
	v_or3_b32 v117, v117, v116, v118
	v_lshlrev_b32_e32 v118, 18, v132
	v_and_b32_e32 v118, 0x100000, v118
	v_and_b32_e32 v119, 0x10000000, v119
	v_or3_b32 v133, v116, v118, v119
	v_and_b32_e32 v116, 0x1f00, v117
	v_lshlrev_b16_e32 v117, 8, v117
	v_add_u16_e32 v117, 0xf000, v117
	v_or_b32_sdwa v116, v116, v117 dst_sel:DWORD dst_unused:UNUSED_PAD src0_sel:DWORD src1_sel:BYTE_1
	v_add_u16_e32 v134, 0xf000, v116
	v_mad_i64_i32 v[116:117], s[18:19], v66, 22, v[114:115]
	v_mad_i64_i32 v[120:121], s[18:19], v70, 22, v[114:115]
	v_lshl_add_u64 v[118:119], v[116:117], 0, v[26:27]
	v_lshl_add_u64 v[122:123], v[120:121], 0, v[26:27]
	v_mad_i64_i32 v[124:125], s[18:19], v74, 22, v[114:115]
	v_lshl_add_u64 v[130:131], v[128:129], 0, v[26:27]
	v_lshl_add_u64 v[126:127], v[124:125], 0, v[26:27]
	global_load_dword v130, v[130:131], off offset:6
	s_nop 0
	global_load_dword v131, v[128:129], off offset:2
	global_load_dword v135, v[126:127], off offset:6
	s_nop 0
	global_load_dword v124, v[124:125], off offset:2
	s_nop 0
	;; [unrolled: 2-line block ×5, first 2 shown]
	global_load_dword v116, v[116:117], off offset:2
	v_lshlrev_b16_sdwa v119, v113, v133 dst_sel:DWORD dst_unused:UNUSED_PAD src0_sel:DWORD src1_sel:WORD_1
	v_and_b32_sdwa v117, v133, s1 dst_sel:DWORD dst_unused:UNUSED_PAD src0_sel:WORD_1 src1_sel:DWORD
	v_add_u16_e32 v119, 0xf000, v119
	v_lshrrev_b32_e32 v121, 12, v132
	v_lshrrev_b32_e32 v123, 5, v132
	v_lshlrev_b32_e32 v125, 2, v132
	v_or_b32_sdwa v117, v117, v119 dst_sel:DWORD dst_unused:UNUSED_PAD src0_sel:DWORD src1_sel:BYTE_1
	v_lshrrev_b32_e32 v119, 4, v140
	v_and_b32_e32 v121, 16, v121
	v_and_b32_e32 v123, 0x1000, v123
	v_and_b32_e32 v125, 0x100000, v125
	v_lshlrev_b32_e32 v126, 9, v132
	v_and_b32_e32 v119, 0xf0f0f0f, v119
	v_and_b32_e32 v126, 0x10000000, v126
	v_or3_b32 v121, v123, v121, v125
	v_or3_b32 v119, v121, v126, v119
	v_lshlrev_b16_e32 v123, 8, v119
	v_and_b32_e32 v121, 0x1f00, v119
	v_add_i16 v123, v123, s9 clamp
	v_or_b32_sdwa v121, v121, v123 dst_sel:DWORD dst_unused:UNUSED_PAD src0_sel:DWORD src1_sel:BYTE_1
	v_and_b32_sdwa v123, v119, s11 dst_sel:DWORD dst_unused:UNUSED_PAD src0_sel:WORD_1 src1_sel:DWORD
	v_add_i16 v123, v123, s9 clamp
	v_lshlrev_b16_sdwa v119, v113, v119 dst_sel:DWORD dst_unused:UNUSED_PAD src0_sel:DWORD src1_sel:WORD_1
	v_and_b32_e32 v123, 0xffffff00, v123
	v_add_i16 v119, v119, s9 clamp
	v_add_u16_sdwa v117, v117, s9 dst_sel:WORD_1 dst_unused:UNUSED_PAD src0_sel:DWORD src1_sel:DWORD
	v_add_u16_e32 v121, 0xf000, v121
	v_or_b32_sdwa v119, v119, v123 dst_sel:WORD_1 dst_unused:UNUSED_PAD src0_sel:BYTE_1 src1_sel:DWORD
	v_or_b32_e32 v117, v134, v117
	v_or_b32_e32 v119, v121, v119
	ds_write2_b32 v58, v117, v119 offset1:1
	v_ashrrev_i32_e32 v117, v26, v139
	v_lshlrev_b32_e32 v121, 4, v117
	v_lshlrev_b32_e32 v123, 11, v117
	v_and_b32_e32 v119, 0xf0f0f0f, v138
	v_and_b32_e32 v121, 16, v121
	;; [unrolled: 1-line block ×3, first 2 shown]
	v_or3_b32 v121, v121, v119, v123
	v_lshlrev_b32_e32 v123, 18, v117
	v_lshlrev_b32_e32 v125, 25, v117
	v_and_b32_e32 v123, 0x100000, v123
	v_and_b32_e32 v125, 0x10000000, v125
	v_or3_b32 v119, v119, v123, v125
	v_and_b32_e32 v123, 0x1f00, v121
	v_lshlrev_b16_e32 v121, 8, v121
	v_add_u16_e32 v121, 0xf000, v121
	v_or_b32_sdwa v121, v123, v121 dst_sel:DWORD dst_unused:UNUSED_PAD src0_sel:DWORD src1_sel:BYTE_1
	v_and_b32_sdwa v123, v119, s1 dst_sel:DWORD dst_unused:UNUSED_PAD src0_sel:WORD_1 src1_sel:DWORD
	v_lshlrev_b16_sdwa v119, v113, v119 dst_sel:DWORD dst_unused:UNUSED_PAD src0_sel:DWORD src1_sel:WORD_1
	v_add_u16_e32 v119, 0xf000, v119
	v_or_b32_sdwa v119, v123, v119 dst_sel:DWORD dst_unused:UNUSED_PAD src0_sel:DWORD src1_sel:BYTE_1
	v_add_u16_e32 v121, 0xf000, v121
	v_add_u16_sdwa v119, v119, s9 dst_sel:WORD_1 dst_unused:UNUSED_PAD src0_sel:DWORD src1_sel:DWORD
	v_lshrrev_b32_e32 v123, 12, v117
	v_lshrrev_b32_e32 v125, 5, v117
	v_lshlrev_b32_e32 v126, 2, v117
	v_or_b32_e32 v119, v121, v119
	v_lshrrev_b32_e32 v121, 4, v138
	v_and_b32_e32 v123, 16, v123
	v_and_b32_e32 v125, 0x1000, v125
	;; [unrolled: 1-line block ×3, first 2 shown]
	v_lshlrev_b32_e32 v117, 9, v117
	v_and_b32_e32 v121, 0xf0f0f0f, v121
	v_and_b32_e32 v117, 0x10000000, v117
	v_or3_b32 v123, v125, v123, v126
	v_or3_b32 v117, v123, v117, v121
	v_lshlrev_b16_e32 v123, 8, v117
	v_and_b32_e32 v121, 0x1f00, v117
	v_add_i16 v123, v123, s9 clamp
	v_or_b32_sdwa v121, v121, v123 dst_sel:DWORD dst_unused:UNUSED_PAD src0_sel:DWORD src1_sel:BYTE_1
	v_and_b32_sdwa v123, v117, s11 dst_sel:DWORD dst_unused:UNUSED_PAD src0_sel:WORD_1 src1_sel:DWORD
	v_add_i16 v123, v123, s9 clamp
	v_lshlrev_b16_sdwa v117, v113, v117 dst_sel:DWORD dst_unused:UNUSED_PAD src0_sel:DWORD src1_sel:WORD_1
	v_and_b32_e32 v123, 0xffffff00, v123
	v_add_i16 v117, v117, s9 clamp
	v_add_u16_e32 v121, 0xf000, v121
	v_or_b32_sdwa v117, v117, v123 dst_sel:WORD_1 dst_unused:UNUSED_PAD src0_sel:BYTE_1 src1_sel:DWORD
	s_waitcnt vmcnt(4)
	v_ashrrev_i32_e32 v132, v26, v124
	v_or_b32_e32 v117, v121, v117
	s_waitcnt vmcnt(0)
	v_ashrrev_i32_e32 v116, v26, v116
	ds_write2_b32 v62, v119, v117 offset1:1
	v_lshlrev_b32_e32 v119, 4, v116
	v_lshlrev_b32_e32 v121, 11, v116
	v_and_b32_e32 v117, 0xf0f0f0f, v118
	v_and_b32_e32 v119, 16, v119
	;; [unrolled: 1-line block ×3, first 2 shown]
	v_or3_b32 v119, v119, v117, v121
	v_lshlrev_b32_e32 v121, 18, v116
	v_lshlrev_b32_e32 v123, 25, v116
	v_and_b32_e32 v121, 0x100000, v121
	v_and_b32_e32 v123, 0x10000000, v123
	v_or3_b32 v117, v117, v121, v123
	v_and_b32_e32 v121, 0x1f00, v119
	v_lshlrev_b16_e32 v119, 8, v119
	v_add_u16_e32 v119, 0xf000, v119
	v_or_b32_sdwa v119, v121, v119 dst_sel:DWORD dst_unused:UNUSED_PAD src0_sel:DWORD src1_sel:BYTE_1
	v_and_b32_sdwa v121, v117, s1 dst_sel:DWORD dst_unused:UNUSED_PAD src0_sel:WORD_1 src1_sel:DWORD
	v_lshlrev_b16_sdwa v117, v113, v117 dst_sel:DWORD dst_unused:UNUSED_PAD src0_sel:DWORD src1_sel:WORD_1
	v_add_u16_e32 v117, 0xf000, v117
	v_or_b32_sdwa v117, v121, v117 dst_sel:DWORD dst_unused:UNUSED_PAD src0_sel:DWORD src1_sel:BYTE_1
	v_add_u16_e32 v119, 0xf000, v119
	v_add_u16_sdwa v117, v117, s9 dst_sel:WORD_1 dst_unused:UNUSED_PAD src0_sel:DWORD src1_sel:DWORD
	v_lshrrev_b32_e32 v121, 5, v116
	v_or_b32_e32 v117, v119, v117
	v_lshrrev_b32_e32 v119, 12, v116
	v_lshlrev_b32_e32 v123, 2, v116
	v_lshrrev_b32_e32 v118, 4, v118
	v_and_b32_e32 v119, 16, v119
	v_and_b32_e32 v121, 0x1000, v121
	;; [unrolled: 1-line block ×3, first 2 shown]
	v_lshlrev_b32_e32 v116, 9, v116
	v_and_b32_e32 v118, 0xf0f0f0f, v118
	v_and_b32_e32 v116, 0x10000000, v116
	v_or3_b32 v119, v121, v119, v123
	v_or3_b32 v116, v119, v116, v118
	v_lshlrev_b16_e32 v119, 8, v116
	v_and_b32_e32 v118, 0x1f00, v116
	v_add_i16 v119, v119, s9 clamp
	v_or_b32_sdwa v118, v118, v119 dst_sel:DWORD dst_unused:UNUSED_PAD src0_sel:DWORD src1_sel:BYTE_1
	v_and_b32_sdwa v119, v116, s11 dst_sel:DWORD dst_unused:UNUSED_PAD src0_sel:WORD_1 src1_sel:DWORD
	v_add_i16 v119, v119, s9 clamp
	v_lshlrev_b16_sdwa v116, v113, v116 dst_sel:DWORD dst_unused:UNUSED_PAD src0_sel:DWORD src1_sel:WORD_1
	v_and_b32_e32 v119, 0xffffff00, v119
	v_add_i16 v116, v116, s9 clamp
	v_add_u16_e32 v118, 0xf000, v118
	v_or_b32_sdwa v116, v116, v119 dst_sel:WORD_1 dst_unused:UNUSED_PAD src0_sel:BYTE_1 src1_sel:DWORD
	v_mad_i64_i32 v[124:125], s[18:19], v92, 22, v[114:115]
	v_or_b32_e32 v116, v118, v116
	ds_write2_b32 v68, v117, v116 offset1:1
	v_ashrrev_i32_e32 v116, v26, v120
	v_lshlrev_b32_e32 v118, 4, v116
	v_lshlrev_b32_e32 v119, 11, v116
	v_and_b32_e32 v117, 0xf0f0f0f, v122
	v_and_b32_e32 v118, 16, v118
	;; [unrolled: 1-line block ×3, first 2 shown]
	v_or3_b32 v118, v118, v117, v119
	v_lshlrev_b32_e32 v119, 18, v116
	v_lshlrev_b32_e32 v120, 25, v116
	v_and_b32_e32 v119, 0x100000, v119
	v_and_b32_e32 v120, 0x10000000, v120
	v_or3_b32 v117, v117, v119, v120
	v_and_b32_e32 v119, 0x1f00, v118
	v_lshlrev_b16_e32 v118, 8, v118
	v_add_u16_e32 v118, 0xf000, v118
	v_or_b32_sdwa v118, v119, v118 dst_sel:DWORD dst_unused:UNUSED_PAD src0_sel:DWORD src1_sel:BYTE_1
	v_and_b32_sdwa v119, v117, s1 dst_sel:DWORD dst_unused:UNUSED_PAD src0_sel:WORD_1 src1_sel:DWORD
	v_lshlrev_b16_sdwa v117, v113, v117 dst_sel:DWORD dst_unused:UNUSED_PAD src0_sel:DWORD src1_sel:WORD_1
	v_add_u16_e32 v117, 0xf000, v117
	v_or_b32_sdwa v117, v119, v117 dst_sel:DWORD dst_unused:UNUSED_PAD src0_sel:DWORD src1_sel:BYTE_1
	v_add_u16_e32 v118, 0xf000, v118
	v_add_u16_sdwa v117, v117, s9 dst_sel:WORD_1 dst_unused:UNUSED_PAD src0_sel:DWORD src1_sel:DWORD
	v_lshrrev_b32_e32 v119, 12, v116
	v_lshrrev_b32_e32 v120, 5, v116
	v_lshlrev_b32_e32 v121, 2, v116
	v_or_b32_e32 v117, v118, v117
	v_lshrrev_b32_e32 v118, 4, v122
	v_and_b32_e32 v119, 16, v119
	v_and_b32_e32 v120, 0x1000, v120
	;; [unrolled: 1-line block ×3, first 2 shown]
	v_lshlrev_b32_e32 v116, 9, v116
	v_and_b32_e32 v118, 0xf0f0f0f, v118
	v_and_b32_e32 v116, 0x10000000, v116
	v_or3_b32 v119, v120, v119, v121
	v_or3_b32 v116, v119, v116, v118
	v_lshlrev_b16_e32 v119, 8, v116
	v_and_b32_e32 v118, 0x1f00, v116
	v_add_i16 v119, v119, s9 clamp
	v_or_b32_sdwa v118, v118, v119 dst_sel:DWORD dst_unused:UNUSED_PAD src0_sel:DWORD src1_sel:BYTE_1
	v_and_b32_sdwa v119, v116, s11 dst_sel:DWORD dst_unused:UNUSED_PAD src0_sel:WORD_1 src1_sel:DWORD
	v_add_i16 v119, v119, s9 clamp
	v_lshlrev_b16_sdwa v116, v113, v116 dst_sel:DWORD dst_unused:UNUSED_PAD src0_sel:DWORD src1_sel:WORD_1
	v_and_b32_e32 v119, 0xffffff00, v119
	v_add_i16 v116, v116, s9 clamp
	v_add_u16_e32 v118, 0xf000, v118
	v_or_b32_sdwa v116, v116, v119 dst_sel:WORD_1 dst_unused:UNUSED_PAD src0_sel:BYTE_1 src1_sel:DWORD
	v_lshlrev_b32_e32 v119, 25, v132
	v_or_b32_e32 v116, v118, v116
	ds_write2_b32 v72, v117, v116 offset1:1
	v_lshlrev_b32_e32 v117, 4, v132
	v_lshlrev_b32_e32 v118, 11, v132
	v_and_b32_e32 v116, 0xf0f0f0f, v135
	v_and_b32_e32 v117, 16, v117
	;; [unrolled: 1-line block ×3, first 2 shown]
	v_or3_b32 v117, v117, v116, v118
	v_lshlrev_b32_e32 v118, 18, v132
	v_and_b32_e32 v118, 0x100000, v118
	v_and_b32_e32 v119, 0x10000000, v119
	v_or3_b32 v133, v116, v118, v119
	v_and_b32_e32 v116, 0x1f00, v117
	v_lshlrev_b16_e32 v117, 8, v117
	v_add_u16_e32 v117, 0xf000, v117
	v_or_b32_sdwa v116, v116, v117 dst_sel:DWORD dst_unused:UNUSED_PAD src0_sel:DWORD src1_sel:BYTE_1
	v_add_u16_e32 v134, 0xf000, v116
	v_mad_i64_i32 v[116:117], s[18:19], v84, 22, v[114:115]
	v_mad_i64_i32 v[120:121], s[18:19], v88, 22, v[114:115]
	;; [unrolled: 1-line block ×3, first 2 shown]
	v_lshl_add_u64 v[118:119], v[116:117], 0, v[26:27]
	v_lshl_add_u64 v[122:123], v[120:121], 0, v[26:27]
	;; [unrolled: 1-line block ×4, first 2 shown]
	global_load_dword v136, v[128:129], off offset:6
	global_load_dword v137, v[114:115], off offset:2
	s_nop 0
	global_load_dword v114, v[126:127], off offset:6
	global_load_dword v115, v[124:125], off offset:2
	s_nop 0
	global_load_dword v122, v[122:123], off offset:6
	s_nop 0
	;; [unrolled: 2-line block ×4, first 2 shown]
	global_load_dword v116, v[116:117], off offset:2
	v_lshlrev_b16_sdwa v119, v113, v133 dst_sel:DWORD dst_unused:UNUSED_PAD src0_sel:DWORD src1_sel:WORD_1
	v_and_b32_sdwa v117, v133, s1 dst_sel:DWORD dst_unused:UNUSED_PAD src0_sel:WORD_1 src1_sel:DWORD
	v_add_u16_e32 v119, 0xf000, v119
	v_lshrrev_b32_e32 v121, 12, v132
	v_lshrrev_b32_e32 v123, 5, v132
	v_lshlrev_b32_e32 v124, 2, v132
	v_or_b32_sdwa v117, v117, v119 dst_sel:DWORD dst_unused:UNUSED_PAD src0_sel:DWORD src1_sel:BYTE_1
	v_lshrrev_b32_e32 v119, 4, v135
	v_and_b32_e32 v121, 16, v121
	v_and_b32_e32 v123, 0x1000, v123
	;; [unrolled: 1-line block ×3, first 2 shown]
	v_lshlrev_b32_e32 v125, 9, v132
	v_and_b32_e32 v119, 0xf0f0f0f, v119
	v_and_b32_e32 v125, 0x10000000, v125
	v_or3_b32 v121, v123, v121, v124
	v_or3_b32 v119, v121, v125, v119
	v_lshlrev_b16_e32 v123, 8, v119
	v_and_b32_e32 v121, 0x1f00, v119
	v_add_i16 v123, v123, s9 clamp
	v_or_b32_sdwa v121, v121, v123 dst_sel:DWORD dst_unused:UNUSED_PAD src0_sel:DWORD src1_sel:BYTE_1
	v_and_b32_sdwa v123, v119, s11 dst_sel:DWORD dst_unused:UNUSED_PAD src0_sel:WORD_1 src1_sel:DWORD
	v_add_i16 v123, v123, s9 clamp
	v_lshlrev_b16_sdwa v119, v113, v119 dst_sel:DWORD dst_unused:UNUSED_PAD src0_sel:DWORD src1_sel:WORD_1
	v_and_b32_e32 v123, 0xffffff00, v123
	v_add_i16 v119, v119, s9 clamp
	v_add_u16_sdwa v117, v117, s9 dst_sel:WORD_1 dst_unused:UNUSED_PAD src0_sel:DWORD src1_sel:DWORD
	v_add_u16_e32 v121, 0xf000, v121
	v_or_b32_sdwa v119, v119, v123 dst_sel:WORD_1 dst_unused:UNUSED_PAD src0_sel:BYTE_1 src1_sel:DWORD
	v_or_b32_e32 v117, v134, v117
	v_or_b32_e32 v119, v121, v119
	ds_write2_b32 v76, v117, v119 offset1:1
	v_ashrrev_i32_e32 v117, v26, v131
	v_lshlrev_b32_e32 v121, 4, v117
	v_lshlrev_b32_e32 v123, 11, v117
	v_and_b32_e32 v119, 0xf0f0f0f, v130
	v_and_b32_e32 v121, 16, v121
	;; [unrolled: 1-line block ×3, first 2 shown]
	v_or3_b32 v121, v121, v119, v123
	v_lshlrev_b32_e32 v123, 18, v117
	v_lshlrev_b32_e32 v124, 25, v117
	v_and_b32_e32 v123, 0x100000, v123
	v_and_b32_e32 v124, 0x10000000, v124
	v_or3_b32 v119, v119, v123, v124
	v_and_b32_e32 v123, 0x1f00, v121
	v_lshlrev_b16_e32 v121, 8, v121
	v_add_u16_e32 v121, 0xf000, v121
	v_or_b32_sdwa v121, v123, v121 dst_sel:DWORD dst_unused:UNUSED_PAD src0_sel:DWORD src1_sel:BYTE_1
	v_and_b32_sdwa v123, v119, s1 dst_sel:DWORD dst_unused:UNUSED_PAD src0_sel:WORD_1 src1_sel:DWORD
	v_lshlrev_b16_sdwa v119, v113, v119 dst_sel:DWORD dst_unused:UNUSED_PAD src0_sel:DWORD src1_sel:WORD_1
	v_add_u16_e32 v119, 0xf000, v119
	v_or_b32_sdwa v119, v123, v119 dst_sel:DWORD dst_unused:UNUSED_PAD src0_sel:DWORD src1_sel:BYTE_1
	v_add_u16_e32 v121, 0xf000, v121
	v_add_u16_sdwa v119, v119, s9 dst_sel:WORD_1 dst_unused:UNUSED_PAD src0_sel:DWORD src1_sel:DWORD
	v_lshrrev_b32_e32 v123, 12, v117
	v_lshrrev_b32_e32 v124, 5, v117
	v_lshlrev_b32_e32 v125, 2, v117
	v_or_b32_e32 v119, v121, v119
	v_lshrrev_b32_e32 v121, 4, v130
	v_and_b32_e32 v123, 16, v123
	v_and_b32_e32 v124, 0x1000, v124
	;; [unrolled: 1-line block ×3, first 2 shown]
	v_lshlrev_b32_e32 v117, 9, v117
	v_and_b32_e32 v121, 0xf0f0f0f, v121
	v_and_b32_e32 v117, 0x10000000, v117
	v_or3_b32 v123, v124, v123, v125
	v_or3_b32 v117, v123, v117, v121
	v_lshlrev_b16_e32 v123, 8, v117
	v_and_b32_e32 v121, 0x1f00, v117
	v_add_i16 v123, v123, s9 clamp
	v_or_b32_sdwa v121, v121, v123 dst_sel:DWORD dst_unused:UNUSED_PAD src0_sel:DWORD src1_sel:BYTE_1
	v_and_b32_sdwa v123, v117, s11 dst_sel:DWORD dst_unused:UNUSED_PAD src0_sel:WORD_1 src1_sel:DWORD
	v_add_i16 v123, v123, s9 clamp
	v_lshlrev_b16_sdwa v117, v113, v117 dst_sel:DWORD dst_unused:UNUSED_PAD src0_sel:DWORD src1_sel:WORD_1
	v_and_b32_e32 v123, 0xffffff00, v123
	v_add_i16 v117, v117, s9 clamp
	v_add_u16_e32 v121, 0xf000, v121
	v_or_b32_sdwa v117, v117, v123 dst_sel:WORD_1 dst_unused:UNUSED_PAD src0_sel:BYTE_1 src1_sel:DWORD
	s_waitcnt vmcnt(4)
	v_ashrrev_i32_e32 v115, v26, v115
	v_or_b32_e32 v117, v121, v117
	s_waitcnt vmcnt(0)
	v_ashrrev_i32_e32 v116, v26, v116
	ds_write2_b32 v82, v119, v117 offset1:1
	v_lshlrev_b32_e32 v119, 4, v116
	v_lshlrev_b32_e32 v121, 11, v116
	v_and_b32_e32 v117, 0xf0f0f0f, v118
	v_and_b32_e32 v119, 16, v119
	;; [unrolled: 1-line block ×3, first 2 shown]
	v_or3_b32 v119, v119, v117, v121
	v_lshlrev_b32_e32 v121, 18, v116
	v_lshlrev_b32_e32 v123, 25, v116
	v_and_b32_e32 v121, 0x100000, v121
	v_and_b32_e32 v123, 0x10000000, v123
	v_or3_b32 v117, v117, v121, v123
	v_and_b32_e32 v121, 0x1f00, v119
	v_lshlrev_b16_e32 v119, 8, v119
	v_add_u16_e32 v119, 0xf000, v119
	v_or_b32_sdwa v119, v121, v119 dst_sel:DWORD dst_unused:UNUSED_PAD src0_sel:DWORD src1_sel:BYTE_1
	v_and_b32_sdwa v121, v117, s1 dst_sel:DWORD dst_unused:UNUSED_PAD src0_sel:WORD_1 src1_sel:DWORD
	v_lshlrev_b16_sdwa v117, v113, v117 dst_sel:DWORD dst_unused:UNUSED_PAD src0_sel:DWORD src1_sel:WORD_1
	v_add_u16_e32 v117, 0xf000, v117
	v_or_b32_sdwa v117, v121, v117 dst_sel:DWORD dst_unused:UNUSED_PAD src0_sel:DWORD src1_sel:BYTE_1
	v_add_u16_e32 v119, 0xf000, v119
	v_add_u16_sdwa v117, v117, s9 dst_sel:WORD_1 dst_unused:UNUSED_PAD src0_sel:DWORD src1_sel:DWORD
	v_lshrrev_b32_e32 v121, 5, v116
	v_or_b32_e32 v117, v119, v117
	v_lshrrev_b32_e32 v119, 12, v116
	v_lshlrev_b32_e32 v123, 2, v116
	v_lshrrev_b32_e32 v118, 4, v118
	v_and_b32_e32 v119, 16, v119
	v_and_b32_e32 v121, 0x1000, v121
	;; [unrolled: 1-line block ×3, first 2 shown]
	v_lshlrev_b32_e32 v116, 9, v116
	v_and_b32_e32 v118, 0xf0f0f0f, v118
	v_and_b32_e32 v116, 0x10000000, v116
	v_or3_b32 v119, v121, v119, v123
	v_or3_b32 v116, v119, v116, v118
	v_lshlrev_b16_e32 v119, 8, v116
	v_and_b32_e32 v118, 0x1f00, v116
	v_add_i16 v119, v119, s9 clamp
	v_or_b32_sdwa v118, v118, v119 dst_sel:DWORD dst_unused:UNUSED_PAD src0_sel:DWORD src1_sel:BYTE_1
	v_and_b32_sdwa v119, v116, s11 dst_sel:DWORD dst_unused:UNUSED_PAD src0_sel:WORD_1 src1_sel:DWORD
	v_add_i16 v119, v119, s9 clamp
	v_lshlrev_b16_sdwa v116, v113, v116 dst_sel:DWORD dst_unused:UNUSED_PAD src0_sel:DWORD src1_sel:WORD_1
	v_and_b32_e32 v119, 0xffffff00, v119
	v_add_i16 v116, v116, s9 clamp
	v_add_u16_e32 v118, 0xf000, v118
	v_or_b32_sdwa v116, v116, v119 dst_sel:WORD_1 dst_unused:UNUSED_PAD src0_sel:BYTE_1 src1_sel:DWORD
	v_add_u32_e32 v130, s0, v35
	v_or_b32_e32 v116, v118, v116
	ds_write2_b32 v86, v117, v116 offset1:1
	v_ashrrev_i32_e32 v116, v26, v120
	v_lshlrev_b32_e32 v118, 4, v116
	v_lshlrev_b32_e32 v119, 11, v116
	v_and_b32_e32 v117, 0xf0f0f0f, v122
	v_and_b32_e32 v118, 16, v118
	;; [unrolled: 1-line block ×3, first 2 shown]
	v_or3_b32 v118, v118, v117, v119
	v_lshlrev_b32_e32 v119, 18, v116
	v_lshlrev_b32_e32 v120, 25, v116
	v_and_b32_e32 v119, 0x100000, v119
	v_and_b32_e32 v120, 0x10000000, v120
	v_or3_b32 v117, v117, v119, v120
	v_and_b32_e32 v119, 0x1f00, v118
	v_lshlrev_b16_e32 v118, 8, v118
	v_add_u16_e32 v118, 0xf000, v118
	v_or_b32_sdwa v118, v119, v118 dst_sel:DWORD dst_unused:UNUSED_PAD src0_sel:DWORD src1_sel:BYTE_1
	v_and_b32_sdwa v119, v117, s1 dst_sel:DWORD dst_unused:UNUSED_PAD src0_sel:WORD_1 src1_sel:DWORD
	v_lshlrev_b16_sdwa v117, v113, v117 dst_sel:DWORD dst_unused:UNUSED_PAD src0_sel:DWORD src1_sel:WORD_1
	v_add_u16_e32 v117, 0xf000, v117
	v_or_b32_sdwa v117, v119, v117 dst_sel:DWORD dst_unused:UNUSED_PAD src0_sel:DWORD src1_sel:BYTE_1
	v_add_u16_e32 v118, 0xf000, v118
	v_add_u16_sdwa v117, v117, s9 dst_sel:WORD_1 dst_unused:UNUSED_PAD src0_sel:DWORD src1_sel:DWORD
	v_lshrrev_b32_e32 v119, 12, v116
	v_lshrrev_b32_e32 v120, 5, v116
	v_lshlrev_b32_e32 v121, 2, v116
	v_or_b32_e32 v117, v118, v117
	v_lshrrev_b32_e32 v118, 4, v122
	v_and_b32_e32 v119, 16, v119
	v_and_b32_e32 v120, 0x1000, v120
	;; [unrolled: 1-line block ×3, first 2 shown]
	v_lshlrev_b32_e32 v116, 9, v116
	v_and_b32_e32 v118, 0xf0f0f0f, v118
	v_and_b32_e32 v116, 0x10000000, v116
	v_or3_b32 v119, v120, v119, v121
	v_or3_b32 v116, v119, v116, v118
	v_lshlrev_b16_e32 v119, 8, v116
	v_and_b32_e32 v118, 0x1f00, v116
	v_add_i16 v119, v119, s9 clamp
	v_or_b32_sdwa v118, v118, v119 dst_sel:DWORD dst_unused:UNUSED_PAD src0_sel:DWORD src1_sel:BYTE_1
	v_and_b32_sdwa v119, v116, s11 dst_sel:DWORD dst_unused:UNUSED_PAD src0_sel:WORD_1 src1_sel:DWORD
	v_add_i16 v119, v119, s9 clamp
	v_lshlrev_b16_sdwa v116, v113, v116 dst_sel:DWORD dst_unused:UNUSED_PAD src0_sel:DWORD src1_sel:WORD_1
	v_and_b32_e32 v119, 0xffffff00, v119
	v_add_i16 v116, v116, s9 clamp
	v_add_u16_e32 v118, 0xf000, v118
	v_or_b32_sdwa v116, v116, v119 dst_sel:WORD_1 dst_unused:UNUSED_PAD src0_sel:BYTE_1 src1_sel:DWORD
	v_lshlrev_b32_e32 v119, 25, v115
	v_or_b32_e32 v116, v118, v116
	ds_write2_b32 v90, v117, v116 offset1:1
	v_lshlrev_b32_e32 v117, 4, v115
	v_lshlrev_b32_e32 v118, 11, v115
	v_and_b32_e32 v116, 0xf0f0f0f, v114
	v_and_b32_e32 v117, 16, v117
	v_and_b32_e32 v118, 0x1000, v118
	v_or3_b32 v117, v117, v116, v118
	v_lshlrev_b32_e32 v118, 18, v115
	v_and_b32_e32 v118, 0x100000, v118
	v_and_b32_e32 v119, 0x10000000, v119
	v_or3_b32 v116, v116, v118, v119
	v_and_b32_e32 v118, 0x1f00, v117
	v_lshlrev_b16_e32 v117, 8, v117
	v_lshrrev_b32_e32 v114, 4, v114
	v_add_u16_e32 v117, 0xf000, v117
	v_and_b32_e32 v135, 0xf0f0f0f, v114
	v_lshrrev_b32_e32 v114, 12, v115
	v_or_b32_sdwa v117, v118, v117 dst_sel:DWORD dst_unused:UNUSED_PAD src0_sel:DWORD src1_sel:BYTE_1
	v_and_b32_sdwa v118, v116, s1 dst_sel:DWORD dst_unused:UNUSED_PAD src0_sel:WORD_1 src1_sel:DWORD
	v_lshlrev_b16_sdwa v116, v113, v116 dst_sel:DWORD dst_unused:UNUSED_PAD src0_sel:DWORD src1_sel:WORD_1
	v_and_b32_e32 v138, 16, v114
	v_lshrrev_b32_e32 v114, 5, v115
	v_add_u16_e32 v116, 0xf000, v116
	v_and_b32_e32 v139, 0x1000, v114
	v_lshlrev_b32_e32 v114, 2, v115
	v_or_b32_sdwa v116, v118, v116 dst_sel:DWORD dst_unused:UNUSED_PAD src0_sel:DWORD src1_sel:BYTE_1
	v_and_b32_e32 v140, 0x100000, v114
	v_lshlrev_b32_e32 v114, 9, v115
	v_add_u16_e32 v117, 0xf000, v117
	v_add_u16_sdwa v116, v116, s9 dst_sel:WORD_1 dst_unused:UNUSED_PAD src0_sel:DWORD src1_sel:DWORD
	v_and_b32_e32 v141, 0x10000000, v114
	v_mad_u64_u32 v[114:115], s[4:5], v100, 22, s[4:5]
	v_or_b32_e32 v134, v117, v116
	v_mad_i64_i32 v[116:117], s[4:5], v102, 22, v[114:115]
	v_mad_i64_i32 v[118:119], s[4:5], v104, 22, v[114:115]
	;; [unrolled: 1-line block ×4, first 2 shown]
	global_load_ushort v142, v[116:117], off
	global_load_ushort v143, v[118:119], off
	;; [unrolled: 1-line block ×3, first 2 shown]
	s_nop 0
	global_load_ushort v114, v[114:115], off
	v_add_u32_e32 v116, v130, v39
	v_add_u32_e32 v118, v130, v43
	;; [unrolled: 1-line block ×6, first 2 shown]
	v_mad_i64_i32 v[116:117], s[4:5], v116, 36, v[110:111]
	v_mad_i64_i32 v[118:119], s[4:5], v118, 36, v[110:111]
	;; [unrolled: 1-line block ×5, first 2 shown]
	v_add_u32_e32 v126, v130, v61
	v_add_u32_e32 v128, v130, v67
	;; [unrolled: 1-line block ×3, first 2 shown]
	v_mad_i64_i32 v[126:127], s[4:5], v126, 36, v[110:111]
	v_mad_i64_i32 v[128:129], s[4:5], v128, 36, v[110:111]
	;; [unrolled: 1-line block ×3, first 2 shown]
	v_mad_u64_u32 v[132:133], s[4:5], v115, 36, s[2:3]
	global_load_dword v116, v[116:117], off offset:4
	s_nop 0
	global_load_dword v117, v[118:119], off offset:4
	s_nop 0
	global_load_dword v118, v[120:121], off offset:4
	global_load_dword v119, v[122:123], off offset:4
	s_nop 0
	global_load_dword v120, v[124:125], off offset:4
	global_load_dword v121, v[132:133], off
	global_load_dword v122, v[126:127], off offset:4
	global_load_dword v123, v[128:129], off offset:4
	s_nop 0
	global_load_dword v124, v[130:131], off offset:4
	v_or3_b32 v125, v139, v138, v140
	v_or3_b32 v125, v125, v141, v135
	v_lshlrev_b16_e32 v127, 8, v125
	v_and_b32_e32 v126, 0x1f00, v125
	v_add_i16 v127, v127, s9 clamp
	v_or_b32_sdwa v126, v126, v127 dst_sel:DWORD dst_unused:UNUSED_PAD src0_sel:DWORD src1_sel:BYTE_1
	v_and_b32_sdwa v127, v125, s11 dst_sel:DWORD dst_unused:UNUSED_PAD src0_sel:WORD_1 src1_sel:DWORD
	v_add_i16 v127, v127, s9 clamp
	v_lshlrev_b16_sdwa v125, v113, v125 dst_sel:DWORD dst_unused:UNUSED_PAD src0_sel:DWORD src1_sel:WORD_1
	v_and_b32_e32 v127, 0xffffff00, v127
	v_add_i16 v125, v125, s9 clamp
	v_add_u16_e32 v126, 0xf000, v126
	v_or_b32_sdwa v125, v125, v127 dst_sel:WORD_1 dst_unused:UNUSED_PAD src0_sel:BYTE_1 src1_sel:DWORD
	s_mov_b32 s4, -4
	v_or_b32_e32 v125, v126, v125
	ds_write2_b32 v94, v134, v125 offset1:1
	v_ashrrev_i32_e32 v125, v26, v137
	v_lshlrev_b32_e32 v127, 4, v125
	v_lshlrev_b32_e32 v128, 11, v125
	v_and_b32_e32 v126, 0xf0f0f0f, v136
	v_and_b32_e32 v127, 16, v127
	;; [unrolled: 1-line block ×3, first 2 shown]
	v_or3_b32 v127, v127, v126, v128
	v_lshlrev_b32_e32 v128, 18, v125
	v_lshlrev_b32_e32 v129, 25, v125
	v_and_b32_e32 v128, 0x100000, v128
	v_and_b32_e32 v129, 0x10000000, v129
	v_or3_b32 v126, v126, v128, v129
	v_and_b32_e32 v128, 0x1f00, v127
	v_lshlrev_b16_e32 v127, 8, v127
	v_add_u16_e32 v127, 0xf000, v127
	v_or_b32_sdwa v127, v128, v127 dst_sel:DWORD dst_unused:UNUSED_PAD src0_sel:DWORD src1_sel:BYTE_1
	v_and_b32_sdwa v128, v126, s1 dst_sel:DWORD dst_unused:UNUSED_PAD src0_sel:WORD_1 src1_sel:DWORD
	v_lshlrev_b16_sdwa v126, v113, v126 dst_sel:DWORD dst_unused:UNUSED_PAD src0_sel:DWORD src1_sel:WORD_1
	v_add_u16_e32 v126, 0xf000, v126
	v_or_b32_sdwa v126, v128, v126 dst_sel:DWORD dst_unused:UNUSED_PAD src0_sel:DWORD src1_sel:BYTE_1
	v_add_u16_e32 v127, 0xf000, v127
	v_add_u16_sdwa v126, v126, s9 dst_sel:WORD_1 dst_unused:UNUSED_PAD src0_sel:DWORD src1_sel:DWORD
	v_lshrrev_b32_e32 v128, 12, v125
	v_lshrrev_b32_e32 v129, 5, v125
	v_lshlrev_b32_e32 v130, 2, v125
	v_or_b32_e32 v126, v127, v126
	v_lshrrev_b32_e32 v127, 4, v136
	v_and_b32_e32 v128, 16, v128
	v_and_b32_e32 v129, 0x1000, v129
	;; [unrolled: 1-line block ×3, first 2 shown]
	v_lshlrev_b32_e32 v125, 9, v125
	v_and_b32_e32 v127, 0xf0f0f0f, v127
	v_and_b32_e32 v125, 0x10000000, v125
	v_or3_b32 v128, v129, v128, v130
	v_or3_b32 v125, v128, v125, v127
	v_lshlrev_b16_e32 v128, 8, v125
	v_and_b32_e32 v127, 0x1f00, v125
	v_add_i16 v128, v128, s9 clamp
	v_or_b32_sdwa v127, v127, v128 dst_sel:DWORD dst_unused:UNUSED_PAD src0_sel:DWORD src1_sel:BYTE_1
	v_and_b32_sdwa v128, v125, s11 dst_sel:DWORD dst_unused:UNUSED_PAD src0_sel:WORD_1 src1_sel:DWORD
	v_add_i16 v128, v128, s9 clamp
	v_lshlrev_b16_sdwa v125, v113, v125 dst_sel:DWORD dst_unused:UNUSED_PAD src0_sel:DWORD src1_sel:WORD_1
	v_and_b32_e32 v128, 0xffffff00, v128
	v_add_i16 v125, v125, s9 clamp
	v_add_u16_e32 v127, 0xf000, v127
	v_or_b32_sdwa v125, v125, v128 dst_sel:WORD_1 dst_unused:UNUSED_PAD src0_sel:BYTE_1 src1_sel:DWORD
	s_waitcnt vmcnt(9)
	v_cvt_f32_f16_e32 v114, v114
	v_or_b32_e32 v125, v127, v125
	ds_write2_b32 v98, v126, v125 offset1:1
	v_cvt_f32_f16_e32 v125, v142
	v_cvt_f32_f16_e32 v126, v143
	v_cvt_f32_f16_e32 v127, v144
	ds_write_b32 v103, v125
	ds_write_b32 v105, v126
	;; [unrolled: 1-line block ×4, first 2 shown]
	s_waitcnt vmcnt(8)
	ds_write_b32 v41, v116
	s_waitcnt vmcnt(7)
	ds_write_b32 v45, v117
	;; [unrolled: 2-line block ×5, first 2 shown]
	s_waitcnt vmcnt(3)
	v_cvt_f32_f16_e32 v114, v121
	s_waitcnt vmcnt(2)
	ds_write_b32 v63, v122
	s_waitcnt vmcnt(1)
	ds_write_b32 v69, v123
	;; [unrolled: 2-line block ×3, first 2 shown]
	ds_write_b32 v37, v114
	v_mov_b32_e32 v117, v91
	v_mov_b32_e32 v119, v89
	v_mov_b32_e32 v123, v75
	s_waitcnt lgkmcnt(0)
	s_barrier
.LBB162_7:                              ;   Parent Loop BB162_6 Depth=1
                                        ; =>  This Inner Loop Header: Depth=2
	v_add_u32_e32 v116, 0x2080, v123
	ds_read_b128 v[160:163], v119
	ds_read_b128 v[164:167], v119 offset:16
	ds_read2_b32 v[154:155], v117 offset1:32
	ds_read_b32 v118, v156
	ds_read2_b32 v[126:127], v123 offset1:1
	ds_read2_b32 v[134:135], v123 offset0:2 offset1:3
	ds_read2_b32 v[140:141], v123 offset0:4 offset1:5
	;; [unrolled: 1-line block ×3, first 2 shown]
	ds_read_b32 v114, v157
	ds_read2_b32 v[120:121], v116 offset1:1
	v_add_u32_e32 v116, 0x2088, v123
	ds_read2_b32 v[128:129], v116 offset1:1
	v_add_u32_e32 v116, 0x2090, v123
	;; [unrolled: 2-line block ×3, first 2 shown]
	v_add_u32_e32 v122, 0x4100, v123
	ds_read2_b32 v[146:147], v116 offset1:1
	ds_read_b32 v116, v158
	ds_read2_b32 v[124:125], v122 offset1:1
	v_add_u32_e32 v122, 0x4108, v123
	ds_read2_b32 v[132:133], v122 offset1:1
	v_add_u32_e32 v122, 0x4110, v123
	;; [unrolled: 2-line block ×3, first 2 shown]
	v_add_u32_e32 v130, 0x6180, v123
	ds_read2_b32 v[150:151], v122 offset1:1
	ds_read_b32 v122, v159
	ds_read2_b32 v[130:131], v130 offset1:1
	v_add_u32_e32 v138, 0x6188, v123
	ds_read2_b32 v[138:139], v138 offset1:1
	v_add_u32_e32 v148, 0x6190, v123
	ds_read2_b32 v[148:149], v148 offset1:1
	v_mov_b32_e32 v170, 0
	v_mov_b32_e32 v172, 0
	;; [unrolled: 1-line block ×4, first 2 shown]
	s_waitcnt lgkmcnt(14)
	v_dot4c_i32_i8_e32 v170, v126, v160
	s_waitcnt lgkmcnt(12)
	v_dot4c_i32_i8_e32 v172, v120, v160
	;; [unrolled: 2-line block ×4, first 2 shown]
	v_add_u32_e32 v152, 0x6198, v123
	ds_read2_b32 v[152:153], v152 offset1:1
	v_dot4c_i32_i8_e32 v170, v127, v164
	v_dot4c_i32_i8_e32 v172, v121, v164
	v_dot4c_i32_i8_e32 v173, v125, v164
	v_dot4c_i32_i8_e32 v174, v131, v164
	v_dot4c_i32_i8_e32 v170, v134, v161
	v_dot4c_i32_i8_e32 v172, v128, v161
	v_dot4c_i32_i8_e32 v173, v132, v161
	s_waitcnt lgkmcnt(2)
	v_dot4c_i32_i8_e32 v174, v138, v161
	v_dot4c_i32_i8_e32 v170, v135, v165
	v_dot4c_i32_i8_e32 v172, v129, v165
	v_dot4c_i32_i8_e32 v173, v133, v165
	v_dot4c_i32_i8_e32 v174, v139, v165
	v_dot4c_i32_i8_e32 v170, v140, v162
	v_dot4c_i32_i8_e32 v172, v136, v162
	v_dot4c_i32_i8_e32 v173, v142, v162
	s_waitcnt lgkmcnt(1)
	v_dot4c_i32_i8_e32 v174, v148, v162
	;; [unrolled: 9-line block ×3, first 2 shown]
	v_dot4c_i32_i8_e32 v170, v145, v167
	v_dot4c_i32_i8_e32 v172, v147, v167
	;; [unrolled: 1-line block ×4, first 2 shown]
	ds_read_b128 v[160:163], v119 offset:1024
	ds_read_b128 v[164:167], v119 offset:1040
	v_mov_b32_e32 v171, 0
	v_cvt_f32_i32_e32 v170, v170
	v_pk_mul_f32 v[168:169], v[118:119], v[154:155] op_sel_hi:[0,1]
	s_waitcnt lgkmcnt(1)
	v_dot4c_i32_i8_e32 v171, v126, v160
	s_waitcnt lgkmcnt(0)
	v_dot4c_i32_i8_e32 v171, v127, v164
	v_dot4c_i32_i8_e32 v171, v134, v161
	;; [unrolled: 1-line block ×7, first 2 shown]
	s_add_i32 s4, s4, 4
	v_add_u32_e32 v159, 4, v159
	v_add_u32_e32 v158, 4, v158
	v_cvt_f32_i32_e32 v171, v171
	v_add_u32_e32 v157, 4, v157
	v_add_u32_e32 v156, 4, v156
	s_cmp_lt_u32 s4, 12
	v_pk_fma_f32 v[78:79], v[168:169], v[170:171], v[78:79]
	v_mov_b32_e32 v170, 0
	v_dot4c_i32_i8_e32 v170, v120, v160
	v_dot4c_i32_i8_e32 v170, v121, v164
	v_dot4c_i32_i8_e32 v170, v128, v161
	v_dot4c_i32_i8_e32 v170, v129, v165
	v_dot4c_i32_i8_e32 v170, v136, v162
	v_dot4c_i32_i8_e32 v170, v137, v166
	v_dot4c_i32_i8_e32 v170, v146, v163
	v_dot4c_i32_i8_e32 v170, v147, v167
	v_pk_mul_f32 v[168:169], v[114:115], v[154:155] op_sel_hi:[0,1]
	s_nop 1
	v_cvt_f32_i32_e32 v171, v170
	v_cvt_f32_i32_e32 v170, v172
	v_mov_b32_e32 v172, 0
	v_pk_fma_f32 v[64:65], v[168:169], v[170:171], v[64:65]
	v_mov_b32_e32 v170, 0
	v_dot4c_i32_i8_e32 v170, v124, v160
	v_dot4c_i32_i8_e32 v170, v125, v164
	;; [unrolled: 1-line block ×8, first 2 shown]
	v_pk_mul_f32 v[168:169], v[116:117], v[154:155] op_sel_hi:[0,1]
	v_pk_mul_f32 v[154:155], v[122:123], v[154:155] op_sel_hi:[0,1]
	s_nop 0
	v_cvt_f32_i32_e32 v171, v170
	v_cvt_f32_i32_e32 v170, v173
	v_mov_b32_e32 v173, 0
	v_pk_fma_f32 v[46:47], v[168:169], v[170:171], v[46:47]
	v_mov_b32_e32 v168, 0
	v_dot4c_i32_i8_e32 v168, v130, v160
	v_dot4c_i32_i8_e32 v168, v131, v164
	;; [unrolled: 1-line block ×8, first 2 shown]
	v_cvt_f32_i32_e32 v160, v174
	v_mov_b32_e32 v170, 0
	v_mov_b32_e32 v174, 0
	v_cvt_f32_i32_e32 v161, v168
	v_mov_b32_e32 v171, 0
	v_pk_fma_f32 v[28:29], v[154:155], v[160:161], v[28:29]
	ds_read_b128 v[160:163], v119 offset:2048
	ds_read_b128 v[164:167], v119 offset:2064
	ds_read2_b32 v[154:155], v117 offset0:64 offset1:96
	s_waitcnt lgkmcnt(2)
	v_dot4c_i32_i8_e32 v170, v126, v160
	v_dot4c_i32_i8_e32 v172, v120, v160
	;; [unrolled: 1-line block ×4, first 2 shown]
	s_waitcnt lgkmcnt(1)
	v_dot4c_i32_i8_e32 v170, v127, v164
	v_dot4c_i32_i8_e32 v172, v121, v164
	;; [unrolled: 1-line block ×28, first 2 shown]
	ds_read_b128 v[160:163], v119 offset:3072
	ds_read_b128 v[164:167], v119 offset:3088
	v_cvt_f32_i32_e32 v170, v170
	s_waitcnt lgkmcnt(2)
	v_pk_mul_f32 v[168:169], v[118:119], v[154:155] op_sel_hi:[0,1]
	s_waitcnt lgkmcnt(1)
	v_dot4c_i32_i8_e32 v171, v126, v160
	s_waitcnt lgkmcnt(0)
	v_dot4c_i32_i8_e32 v171, v127, v164
	v_dot4c_i32_i8_e32 v171, v134, v161
	;; [unrolled: 1-line block ×7, first 2 shown]
	s_nop 2
	v_cvt_f32_i32_e32 v171, v171
	v_pk_fma_f32 v[24:25], v[168:169], v[170:171], v[24:25]
	v_mov_b32_e32 v170, 0
	v_dot4c_i32_i8_e32 v170, v120, v160
	v_dot4c_i32_i8_e32 v170, v121, v164
	;; [unrolled: 1-line block ×8, first 2 shown]
	v_pk_mul_f32 v[168:169], v[114:115], v[154:155] op_sel_hi:[0,1]
	s_nop 1
	v_cvt_f32_i32_e32 v171, v170
	v_cvt_f32_i32_e32 v170, v172
	v_mov_b32_e32 v172, 0
	v_pk_fma_f32 v[22:23], v[168:169], v[170:171], v[22:23]
	v_mov_b32_e32 v170, 0
	v_dot4c_i32_i8_e32 v170, v124, v160
	v_dot4c_i32_i8_e32 v170, v125, v164
	v_dot4c_i32_i8_e32 v170, v132, v161
	v_dot4c_i32_i8_e32 v170, v133, v165
	v_dot4c_i32_i8_e32 v170, v142, v162
	v_dot4c_i32_i8_e32 v170, v143, v166
	v_dot4c_i32_i8_e32 v170, v150, v163
	v_dot4c_i32_i8_e32 v170, v151, v167
	v_pk_mul_f32 v[168:169], v[116:117], v[154:155] op_sel_hi:[0,1]
	v_pk_mul_f32 v[154:155], v[122:123], v[154:155] op_sel_hi:[0,1]
	s_nop 0
	v_cvt_f32_i32_e32 v171, v170
	v_cvt_f32_i32_e32 v170, v173
	v_mov_b32_e32 v173, 0
	v_pk_fma_f32 v[20:21], v[168:169], v[170:171], v[20:21]
	v_mov_b32_e32 v168, 0
	v_dot4c_i32_i8_e32 v168, v130, v160
	v_dot4c_i32_i8_e32 v168, v131, v164
	;; [unrolled: 1-line block ×8, first 2 shown]
	v_cvt_f32_i32_e32 v160, v174
	v_mov_b32_e32 v170, 0
	v_mov_b32_e32 v174, 0
	v_cvt_f32_i32_e32 v161, v168
	v_mov_b32_e32 v171, 0
	v_pk_fma_f32 v[18:19], v[154:155], v[160:161], v[18:19]
	ds_read_b128 v[160:163], v119 offset:4096
	ds_read_b128 v[164:167], v119 offset:4112
	ds_read2_b32 v[154:155], v117 offset0:128 offset1:160
	s_waitcnt lgkmcnt(2)
	v_dot4c_i32_i8_e32 v170, v126, v160
	v_dot4c_i32_i8_e32 v172, v120, v160
	v_dot4c_i32_i8_e32 v173, v124, v160
	v_dot4c_i32_i8_e32 v174, v130, v160
	s_waitcnt lgkmcnt(1)
	v_dot4c_i32_i8_e32 v170, v127, v164
	v_dot4c_i32_i8_e32 v172, v121, v164
	;; [unrolled: 1-line block ×28, first 2 shown]
	ds_read_b128 v[160:163], v119 offset:5120
	ds_read_b128 v[164:167], v119 offset:5136
	v_cvt_f32_i32_e32 v170, v170
	s_waitcnt lgkmcnt(2)
	v_pk_mul_f32 v[168:169], v[118:119], v[154:155] op_sel_hi:[0,1]
	s_waitcnt lgkmcnt(1)
	v_dot4c_i32_i8_e32 v171, v126, v160
	s_waitcnt lgkmcnt(0)
	v_dot4c_i32_i8_e32 v171, v127, v164
	v_dot4c_i32_i8_e32 v171, v134, v161
	v_dot4c_i32_i8_e32 v171, v135, v165
	v_dot4c_i32_i8_e32 v171, v140, v162
	v_dot4c_i32_i8_e32 v171, v141, v166
	v_dot4c_i32_i8_e32 v171, v144, v163
	v_dot4c_i32_i8_e32 v171, v145, v167
	s_nop 2
	v_cvt_f32_i32_e32 v171, v171
	v_pk_fma_f32 v[16:17], v[168:169], v[170:171], v[16:17]
	v_mov_b32_e32 v170, 0
	v_dot4c_i32_i8_e32 v170, v120, v160
	v_dot4c_i32_i8_e32 v170, v121, v164
	;; [unrolled: 1-line block ×8, first 2 shown]
	v_pk_mul_f32 v[168:169], v[114:115], v[154:155] op_sel_hi:[0,1]
	s_nop 1
	v_cvt_f32_i32_e32 v171, v170
	v_cvt_f32_i32_e32 v170, v172
	v_mov_b32_e32 v172, 0
	v_pk_fma_f32 v[14:15], v[168:169], v[170:171], v[14:15]
	v_mov_b32_e32 v170, 0
	v_dot4c_i32_i8_e32 v170, v124, v160
	v_dot4c_i32_i8_e32 v170, v125, v164
	;; [unrolled: 1-line block ×8, first 2 shown]
	v_pk_mul_f32 v[168:169], v[116:117], v[154:155] op_sel_hi:[0,1]
	v_pk_mul_f32 v[154:155], v[122:123], v[154:155] op_sel_hi:[0,1]
	s_nop 0
	v_cvt_f32_i32_e32 v171, v170
	v_cvt_f32_i32_e32 v170, v173
	v_pk_fma_f32 v[12:13], v[168:169], v[170:171], v[12:13]
	v_mov_b32_e32 v168, 0
	v_dot4c_i32_i8_e32 v168, v130, v160
	v_dot4c_i32_i8_e32 v168, v131, v164
	v_dot4c_i32_i8_e32 v168, v138, v161
	v_dot4c_i32_i8_e32 v168, v139, v165
	v_dot4c_i32_i8_e32 v168, v148, v162
	v_dot4c_i32_i8_e32 v168, v149, v166
	v_dot4c_i32_i8_e32 v168, v152, v163
	v_dot4c_i32_i8_e32 v168, v153, v167
	v_cvt_f32_i32_e32 v160, v174
	v_mov_b32_e32 v169, 0
	v_mov_b32_e32 v170, 0
	v_cvt_f32_i32_e32 v161, v168
	v_mov_b32_e32 v168, 0
	v_mov_b32_e32 v171, 0
	v_pk_fma_f32 v[10:11], v[154:155], v[160:161], v[10:11]
	ds_read_b128 v[160:163], v119 offset:6144
	ds_read_b128 v[164:167], v119 offset:6160
	ds_read2_b32 v[154:155], v117 offset0:192 offset1:224
	s_waitcnt lgkmcnt(2)
	v_dot4c_i32_i8_e32 v168, v126, v160
	v_dot4c_i32_i8_e32 v169, v120, v160
	;; [unrolled: 1-line block ×4, first 2 shown]
	s_waitcnt lgkmcnt(1)
	v_dot4c_i32_i8_e32 v168, v127, v164
	v_dot4c_i32_i8_e32 v169, v121, v164
	;; [unrolled: 1-line block ×28, first 2 shown]
	ds_read_b128 v[160:163], v119 offset:7168
	ds_read_b128 v[164:167], v119 offset:7184
	s_waitcnt lgkmcnt(1)
	v_dot4c_i32_i8_e32 v172, v126, v160
	s_waitcnt lgkmcnt(0)
	v_dot4c_i32_i8_e32 v172, v127, v164
	v_pk_mul_f32 v[126:127], v[118:119], v[154:155] op_sel_hi:[0,1]
	v_mov_b32_e32 v118, 0
	v_dot4c_i32_i8_e32 v118, v120, v160
	v_dot4c_i32_i8_e32 v118, v121, v164
	v_pk_mul_f32 v[120:121], v[114:115], v[154:155] op_sel_hi:[0,1]
	v_mov_b32_e32 v114, 0
	v_dot4c_i32_i8_e32 v114, v124, v160
	v_dot4c_i32_i8_e32 v114, v125, v164
	;; [unrolled: 1-line block ×16, first 2 shown]
	v_cvt_f32_i32_e32 v134, v168
	v_cvt_f32_i32_e32 v135, v172
	v_dot4c_i32_i8_e32 v118, v136, v162
	v_cvt_f32_i32_e32 v125, v114
	v_mov_b32_e32 v114, 0
	v_dot4c_i32_i8_e32 v118, v137, v166
	v_dot4c_i32_i8_e32 v114, v130, v160
	;; [unrolled: 1-line block ×6, first 2 shown]
	v_pk_fma_f32 v[8:9], v[126:127], v[134:135], v[8:9]
	v_cvt_f32_i32_e32 v126, v169
	v_cvt_f32_i32_e32 v127, v118
	v_dot4c_i32_i8_e32 v114, v139, v165
	v_cvt_f32_i32_e32 v124, v170
	v_dot4c_i32_i8_e32 v114, v148, v162
	v_dot4c_i32_i8_e32 v114, v149, v166
	;; [unrolled: 1-line block ×3, first 2 shown]
	v_pk_fma_f32 v[6:7], v[120:121], v[126:127], v[6:7]
	v_pk_mul_f32 v[120:121], v[116:117], v[154:155] op_sel_hi:[0,1]
	v_dot4c_i32_i8_e32 v114, v153, v167
	v_pk_fma_f32 v[4:5], v[120:121], v[124:125], v[4:5]
	v_cvt_f32_i32_e32 v124, v171
	v_pk_mul_f32 v[120:121], v[122:123], v[154:155] op_sel_hi:[0,1]
	v_cvt_f32_i32_e32 v125, v114
	v_add_u32_e32 v123, 32, v123
	v_add_u32_e32 v119, 32, v119
	;; [unrolled: 1-line block ×3, first 2 shown]
	v_pk_fma_f32 v[2:3], v[120:121], v[124:125], v[2:3]
	s_cbranch_scc1 .LBB162_7
; %bb.8:                                ;   in Loop: Header=BB162_6 Depth=1
	s_or_b32 s4, s0, 4
	s_cmp_ge_i32 s4, s6
	s_barrier
	s_cbranch_scc1 .LBB162_5
; %bb.9:                                ;   in Loop: Header=BB162_6 Depth=1
	v_add_u32_e32 v114, s0, v77
	v_add_u32_e32 v116, v114, v39
	;; [unrolled: 1-line block ×9, first 2 shown]
	v_mad_i64_i32 v[130:131], s[4:5], v114, 36, v[110:111]
	v_add_u32_e32 v114, 4, v115
	v_mad_i64_i32 v[116:117], s[4:5], v116, 36, v[110:111]
	v_mad_i64_i32 v[118:119], s[4:5], v118, 36, v[110:111]
	;; [unrolled: 1-line block ×6, first 2 shown]
	v_mad_u64_u32 v[114:115], s[4:5], v114, 36, s[2:3]
	v_mad_i64_i32 v[128:129], s[4:5], v128, 36, v[110:111]
	global_load_dword v114, v[114:115], off
	s_nop 0
	global_load_dword v116, v[116:117], off offset:4
	s_nop 0
	global_load_dword v118, v[118:119], off offset:4
	;; [unrolled: 2-line block ×6, first 2 shown]
	global_load_dword v125, v[128:129], off offset:4
                                        ; kill: killed $vgpr128_vgpr129
                                        ; kill: killed $vgpr126_vgpr127
	s_nop 0
	global_load_dword v126, v[130:131], off offset:4
	s_mov_b32 s4, 12
	v_mov_b32_e32 v115, v91
	v_mov_b32_e32 v117, v89
	v_mov_b32_e32 v119, v101
	v_mov_b32_e32 v123, v99
	v_mov_b32_e32 v156, v97
	v_mov_b32_e32 v157, v95
	v_mov_b32_e32 v158, v93
	s_waitcnt vmcnt(8)
	v_cvt_f32_f16_e32 v114, v114
	s_waitcnt vmcnt(7)
	ds_write_b32 v41, v116
	s_waitcnt vmcnt(6)
	ds_write_b32 v45, v118
	;; [unrolled: 2-line block ×8, first 2 shown]
	ds_write_b32 v37, v114
	s_waitcnt lgkmcnt(0)
	s_barrier
.LBB162_10:                             ;   Parent Loop BB162_6 Depth=1
                                        ; =>  This Inner Loop Header: Depth=2
	v_add_u32_e32 v116, 0x2080, v119
	ds_read_b128 v[160:163], v117
	ds_read_b128 v[164:167], v117 offset:16
	ds_read2_b32 v[154:155], v115 offset1:32
	ds_read_b32 v118, v123
	ds_read2_b32 v[126:127], v119 offset1:1
	ds_read2_b32 v[134:135], v119 offset0:2 offset1:3
	ds_read2_b32 v[140:141], v119 offset0:4 offset1:5
	;; [unrolled: 1-line block ×3, first 2 shown]
	ds_read_b32 v114, v156
	ds_read2_b32 v[120:121], v116 offset1:1
	v_add_u32_e32 v116, 0x2088, v119
	ds_read2_b32 v[128:129], v116 offset1:1
	v_add_u32_e32 v116, 0x2090, v119
	;; [unrolled: 2-line block ×3, first 2 shown]
	v_add_u32_e32 v122, 0x4100, v119
	ds_read2_b32 v[146:147], v116 offset1:1
	ds_read_b32 v116, v157
	ds_read2_b32 v[124:125], v122 offset1:1
	v_add_u32_e32 v122, 0x4108, v119
	ds_read2_b32 v[132:133], v122 offset1:1
	v_add_u32_e32 v122, 0x4110, v119
	;; [unrolled: 2-line block ×3, first 2 shown]
	v_add_u32_e32 v130, 0x6180, v119
	ds_read2_b32 v[150:151], v122 offset1:1
	ds_read_b32 v122, v158
	ds_read2_b32 v[130:131], v130 offset1:1
	v_add_u32_e32 v138, 0x6188, v119
	ds_read2_b32 v[138:139], v138 offset1:1
	v_add_u32_e32 v148, 0x6190, v119
	ds_read2_b32 v[148:149], v148 offset1:1
	v_mov_b32_e32 v159, 0
	v_mov_b32_e32 v172, 0
	;; [unrolled: 1-line block ×4, first 2 shown]
	s_waitcnt lgkmcnt(14)
	v_dot4c_i32_i8_e32 v159, v126, v160
	s_waitcnt lgkmcnt(12)
	v_dot4c_i32_i8_e32 v172, v120, v160
	;; [unrolled: 2-line block ×4, first 2 shown]
	v_add_u32_e32 v152, 0x6198, v119
	ds_read2_b32 v[152:153], v152 offset1:1
	v_dot4c_i32_i8_e32 v159, v127, v164
	v_dot4c_i32_i8_e32 v172, v121, v164
	v_dot4c_i32_i8_e32 v173, v125, v164
	v_dot4c_i32_i8_e32 v174, v131, v164
	v_dot4c_i32_i8_e32 v159, v134, v161
	v_dot4c_i32_i8_e32 v172, v128, v161
	v_dot4c_i32_i8_e32 v173, v132, v161
	s_waitcnt lgkmcnt(2)
	v_dot4c_i32_i8_e32 v174, v138, v161
	v_dot4c_i32_i8_e32 v159, v135, v165
	v_dot4c_i32_i8_e32 v172, v129, v165
	v_dot4c_i32_i8_e32 v173, v133, v165
	v_dot4c_i32_i8_e32 v174, v139, v165
	v_dot4c_i32_i8_e32 v159, v140, v162
	v_dot4c_i32_i8_e32 v172, v136, v162
	v_dot4c_i32_i8_e32 v173, v142, v162
	s_waitcnt lgkmcnt(1)
	v_dot4c_i32_i8_e32 v174, v148, v162
	v_dot4c_i32_i8_e32 v159, v141, v166
	v_dot4c_i32_i8_e32 v172, v137, v166
	v_dot4c_i32_i8_e32 v173, v143, v166
	v_dot4c_i32_i8_e32 v174, v149, v166
	v_dot4c_i32_i8_e32 v159, v144, v163
	v_dot4c_i32_i8_e32 v172, v146, v163
	v_dot4c_i32_i8_e32 v173, v150, v163
	s_waitcnt lgkmcnt(0)
	v_dot4c_i32_i8_e32 v174, v152, v163
	v_dot4c_i32_i8_e32 v159, v145, v167
	v_dot4c_i32_i8_e32 v172, v147, v167
	;; [unrolled: 1-line block ×4, first 2 shown]
	ds_read_b128 v[160:163], v117 offset:1024
	ds_read_b128 v[164:167], v117 offset:1040
	v_mov_b32_e32 v170, 0
	v_pk_mul_f32 v[168:169], v[118:119], v[154:155] op_sel_hi:[0,1]
	s_add_i32 s4, s4, 4
	s_waitcnt lgkmcnt(1)
	v_dot4c_i32_i8_e32 v170, v126, v160
	s_waitcnt lgkmcnt(0)
	v_dot4c_i32_i8_e32 v170, v127, v164
	v_dot4c_i32_i8_e32 v170, v134, v161
	;; [unrolled: 1-line block ×7, first 2 shown]
	v_add_u32_e32 v158, 4, v158
	v_add_u32_e32 v157, 4, v157
	;; [unrolled: 1-line block ×3, first 2 shown]
	v_cvt_f32_i32_e32 v171, v170
	v_cvt_f32_i32_e32 v170, v159
	v_mov_b32_e32 v159, 0
	v_dot4c_i32_i8_e32 v159, v120, v160
	v_dot4c_i32_i8_e32 v159, v121, v164
	;; [unrolled: 1-line block ×8, first 2 shown]
	v_pk_fma_f32 v[78:79], v[168:169], v[170:171], v[78:79]
	v_cvt_f32_i32_e32 v170, v172
	v_pk_mul_f32 v[168:169], v[114:115], v[154:155] op_sel_hi:[0,1]
	v_cvt_f32_i32_e32 v171, v159
	v_mov_b32_e32 v159, 0
	v_dot4c_i32_i8_e32 v159, v124, v160
	v_dot4c_i32_i8_e32 v159, v125, v164
	;; [unrolled: 1-line block ×8, first 2 shown]
	v_pk_fma_f32 v[64:65], v[168:169], v[170:171], v[64:65]
	v_pk_mul_f32 v[168:169], v[116:117], v[154:155] op_sel_hi:[0,1]
	v_pk_mul_f32 v[154:155], v[122:123], v[154:155] op_sel_hi:[0,1]
	v_cvt_f32_i32_e32 v171, v159
	v_mov_b32_e32 v159, 0
	v_dot4c_i32_i8_e32 v159, v130, v160
	v_dot4c_i32_i8_e32 v159, v131, v164
	;; [unrolled: 1-line block ×8, first 2 shown]
	v_cvt_f32_i32_e32 v160, v174
	v_cvt_f32_i32_e32 v170, v173
	v_mov_b32_e32 v172, 0
	v_cvt_f32_i32_e32 v161, v159
	v_mov_b32_e32 v159, 0
	v_mov_b32_e32 v173, 0
	;; [unrolled: 1-line block ×3, first 2 shown]
	v_pk_fma_f32 v[28:29], v[154:155], v[160:161], v[28:29]
	ds_read_b128 v[160:163], v117 offset:2048
	ds_read_b128 v[164:167], v117 offset:2064
	ds_read2_b32 v[154:155], v115 offset0:64 offset1:96
	v_pk_fma_f32 v[46:47], v[168:169], v[170:171], v[46:47]
	v_mov_b32_e32 v170, 0
	s_waitcnt lgkmcnt(2)
	v_dot4c_i32_i8_e32 v159, v126, v160
	v_dot4c_i32_i8_e32 v172, v120, v160
	;; [unrolled: 1-line block ×4, first 2 shown]
	s_waitcnt lgkmcnt(1)
	v_dot4c_i32_i8_e32 v159, v127, v164
	v_dot4c_i32_i8_e32 v172, v121, v164
	;; [unrolled: 1-line block ×28, first 2 shown]
	ds_read_b128 v[160:163], v117 offset:3072
	ds_read_b128 v[164:167], v117 offset:3088
	s_waitcnt lgkmcnt(2)
	v_pk_mul_f32 v[168:169], v[118:119], v[154:155] op_sel_hi:[0,1]
	s_cmp_lt_u32 s4, 28
	s_waitcnt lgkmcnt(1)
	v_dot4c_i32_i8_e32 v170, v126, v160
	s_waitcnt lgkmcnt(0)
	v_dot4c_i32_i8_e32 v170, v127, v164
	v_dot4c_i32_i8_e32 v170, v134, v161
	;; [unrolled: 1-line block ×7, first 2 shown]
	s_nop 2
	v_cvt_f32_i32_e32 v171, v170
	v_cvt_f32_i32_e32 v170, v159
	v_mov_b32_e32 v159, 0
	v_dot4c_i32_i8_e32 v159, v120, v160
	v_dot4c_i32_i8_e32 v159, v121, v164
	;; [unrolled: 1-line block ×8, first 2 shown]
	v_pk_fma_f32 v[24:25], v[168:169], v[170:171], v[24:25]
	v_cvt_f32_i32_e32 v170, v172
	v_pk_mul_f32 v[168:169], v[114:115], v[154:155] op_sel_hi:[0,1]
	v_cvt_f32_i32_e32 v171, v159
	v_mov_b32_e32 v159, 0
	v_dot4c_i32_i8_e32 v159, v124, v160
	v_dot4c_i32_i8_e32 v159, v125, v164
	v_dot4c_i32_i8_e32 v159, v132, v161
	v_dot4c_i32_i8_e32 v159, v133, v165
	v_dot4c_i32_i8_e32 v159, v142, v162
	v_dot4c_i32_i8_e32 v159, v143, v166
	v_dot4c_i32_i8_e32 v159, v150, v163
	v_dot4c_i32_i8_e32 v159, v151, v167
	v_pk_fma_f32 v[22:23], v[168:169], v[170:171], v[22:23]
	v_pk_mul_f32 v[168:169], v[116:117], v[154:155] op_sel_hi:[0,1]
	v_pk_mul_f32 v[154:155], v[122:123], v[154:155] op_sel_hi:[0,1]
	v_cvt_f32_i32_e32 v171, v159
	v_mov_b32_e32 v159, 0
	v_dot4c_i32_i8_e32 v159, v130, v160
	v_dot4c_i32_i8_e32 v159, v131, v164
	;; [unrolled: 1-line block ×8, first 2 shown]
	v_cvt_f32_i32_e32 v160, v174
	v_cvt_f32_i32_e32 v170, v173
	v_mov_b32_e32 v172, 0
	v_cvt_f32_i32_e32 v161, v159
	v_mov_b32_e32 v159, 0
	v_mov_b32_e32 v173, 0
	;; [unrolled: 1-line block ×3, first 2 shown]
	v_pk_fma_f32 v[18:19], v[154:155], v[160:161], v[18:19]
	ds_read_b128 v[160:163], v117 offset:4096
	ds_read_b128 v[164:167], v117 offset:4112
	ds_read2_b32 v[154:155], v115 offset0:128 offset1:160
	v_pk_fma_f32 v[20:21], v[168:169], v[170:171], v[20:21]
	v_mov_b32_e32 v170, 0
	s_waitcnt lgkmcnt(2)
	v_dot4c_i32_i8_e32 v159, v126, v160
	v_dot4c_i32_i8_e32 v172, v120, v160
	;; [unrolled: 1-line block ×4, first 2 shown]
	s_waitcnt lgkmcnt(1)
	v_dot4c_i32_i8_e32 v159, v127, v164
	v_dot4c_i32_i8_e32 v172, v121, v164
	;; [unrolled: 1-line block ×28, first 2 shown]
	ds_read_b128 v[160:163], v117 offset:5120
	ds_read_b128 v[164:167], v117 offset:5136
	s_waitcnt lgkmcnt(2)
	v_pk_mul_f32 v[168:169], v[118:119], v[154:155] op_sel_hi:[0,1]
	s_waitcnt lgkmcnt(1)
	v_dot4c_i32_i8_e32 v170, v126, v160
	s_waitcnt lgkmcnt(0)
	v_dot4c_i32_i8_e32 v170, v127, v164
	v_dot4c_i32_i8_e32 v170, v134, v161
	;; [unrolled: 1-line block ×7, first 2 shown]
	s_nop 2
	v_cvt_f32_i32_e32 v171, v170
	v_cvt_f32_i32_e32 v170, v159
	v_mov_b32_e32 v159, 0
	v_dot4c_i32_i8_e32 v159, v120, v160
	v_dot4c_i32_i8_e32 v159, v121, v164
	;; [unrolled: 1-line block ×8, first 2 shown]
	v_pk_fma_f32 v[16:17], v[168:169], v[170:171], v[16:17]
	v_cvt_f32_i32_e32 v170, v172
	v_pk_mul_f32 v[168:169], v[114:115], v[154:155] op_sel_hi:[0,1]
	v_cvt_f32_i32_e32 v171, v159
	v_mov_b32_e32 v159, 0
	v_dot4c_i32_i8_e32 v159, v124, v160
	v_dot4c_i32_i8_e32 v159, v125, v164
	;; [unrolled: 1-line block ×8, first 2 shown]
	v_pk_fma_f32 v[14:15], v[168:169], v[170:171], v[14:15]
	v_cvt_f32_i32_e32 v170, v173
	v_pk_mul_f32 v[168:169], v[116:117], v[154:155] op_sel_hi:[0,1]
	v_cvt_f32_i32_e32 v171, v159
	v_mov_b32_e32 v159, 0
	v_dot4c_i32_i8_e32 v159, v130, v160
	v_dot4c_i32_i8_e32 v159, v131, v164
	;; [unrolled: 1-line block ×8, first 2 shown]
	v_cvt_f32_i32_e32 v160, v174
	v_pk_mul_f32 v[154:155], v[122:123], v[154:155] op_sel_hi:[0,1]
	v_pk_fma_f32 v[12:13], v[168:169], v[170:171], v[12:13]
	v_cvt_f32_i32_e32 v161, v159
	v_mov_b32_e32 v159, 0
	v_mov_b32_e32 v168, 0
	;; [unrolled: 1-line block ×3, first 2 shown]
	v_pk_fma_f32 v[10:11], v[154:155], v[160:161], v[10:11]
	ds_read_b128 v[160:163], v117 offset:6144
	ds_read_b128 v[164:167], v117 offset:6160
	ds_read2_b32 v[154:155], v115 offset0:192 offset1:224
	v_mov_b32_e32 v170, 0
	v_mov_b32_e32 v171, 0
	s_waitcnt lgkmcnt(2)
	v_dot4c_i32_i8_e32 v159, v126, v160
	v_dot4c_i32_i8_e32 v168, v120, v160
	;; [unrolled: 1-line block ×4, first 2 shown]
	s_waitcnt lgkmcnt(1)
	v_dot4c_i32_i8_e32 v159, v127, v164
	v_dot4c_i32_i8_e32 v168, v121, v164
	;; [unrolled: 1-line block ×28, first 2 shown]
	ds_read_b128 v[160:163], v117 offset:7168
	ds_read_b128 v[164:167], v117 offset:7184
	s_waitcnt lgkmcnt(1)
	v_dot4c_i32_i8_e32 v171, v126, v160
	s_waitcnt lgkmcnt(0)
	v_dot4c_i32_i8_e32 v171, v127, v164
	v_pk_mul_f32 v[126:127], v[118:119], v[154:155] op_sel_hi:[0,1]
	v_mov_b32_e32 v118, 0
	v_dot4c_i32_i8_e32 v118, v120, v160
	v_dot4c_i32_i8_e32 v118, v121, v164
	v_pk_mul_f32 v[120:121], v[114:115], v[154:155] op_sel_hi:[0,1]
	v_mov_b32_e32 v114, 0
	v_dot4c_i32_i8_e32 v114, v124, v160
	v_dot4c_i32_i8_e32 v114, v125, v164
	;; [unrolled: 1-line block ×16, first 2 shown]
	v_cvt_f32_i32_e32 v134, v159
	v_cvt_f32_i32_e32 v135, v171
	v_dot4c_i32_i8_e32 v118, v136, v162
	v_cvt_f32_i32_e32 v125, v114
	v_mov_b32_e32 v114, 0
	v_dot4c_i32_i8_e32 v118, v137, v166
	v_dot4c_i32_i8_e32 v114, v130, v160
	;; [unrolled: 1-line block ×6, first 2 shown]
	v_pk_fma_f32 v[8:9], v[126:127], v[134:135], v[8:9]
	v_cvt_f32_i32_e32 v126, v168
	v_cvt_f32_i32_e32 v127, v118
	v_dot4c_i32_i8_e32 v114, v139, v165
	v_cvt_f32_i32_e32 v124, v169
	v_dot4c_i32_i8_e32 v114, v148, v162
	v_dot4c_i32_i8_e32 v114, v149, v166
	;; [unrolled: 1-line block ×3, first 2 shown]
	v_pk_fma_f32 v[6:7], v[120:121], v[126:127], v[6:7]
	v_pk_mul_f32 v[120:121], v[116:117], v[154:155] op_sel_hi:[0,1]
	v_dot4c_i32_i8_e32 v114, v153, v167
	v_pk_fma_f32 v[4:5], v[120:121], v[124:125], v[4:5]
	v_cvt_f32_i32_e32 v124, v170
	v_pk_mul_f32 v[120:121], v[122:123], v[154:155] op_sel_hi:[0,1]
	v_cvt_f32_i32_e32 v125, v114
	v_add_u32_e32 v123, 4, v123
	v_add_u32_e32 v119, 32, v119
	;; [unrolled: 1-line block ×3, first 2 shown]
	v_pk_fma_f32 v[2:3], v[120:121], v[124:125], v[2:3]
	v_add_u32_e32 v115, 4, v115
	s_cbranch_scc1 .LBB162_10
; %bb.11:                               ;   in Loop: Header=BB162_6 Depth=1
	s_barrier
	s_branch .LBB162_5
.LBB162_12:
	v_mov_b32_e32 v26, v31
.LBB162_13:
	v_cmp_gt_u32_e32 vcc, s10, v33
	s_and_saveexec_b64 s[0:1], vcc
	s_cbranch_execz .LBB162_64
; %bb.14:
	v_add_u32_e32 v0, s16, v1
	v_mul_lo_u32 v31, v33, s14
	v_cmp_gt_u32_e32 vcc, s14, v0
	s_and_saveexec_b64 s[2:3], vcc
	s_cbranch_execz .LBB162_16
; %bb.15:
	v_bfe_u32 v1, v78, 16, 1
	s_movk_i32 s0, 0x7fff
	v_add3_u32 v1, v78, v1, s0
	v_lshrrev_b32_e32 v1, 16, v1
	v_mov_b32_e32 v27, 0x7fc0
	v_cmp_o_f32_e64 s[0:1], v78, v78
	v_add_u32_e32 v32, v0, v31
	v_mov_b32_e32 v33, 0
	v_cndmask_b32_e64 v1, v27, v1, s[0:1]
	s_waitcnt lgkmcnt(0)
	v_lshl_add_u64 v[32:33], v[32:33], 1, s[12:13]
	global_store_short v[32:33], v1, off
.LBB162_16:
	s_or_b64 exec, exec, s[2:3]
	v_add_u32_e32 v1, 32, v0
	v_cmp_gt_u32_e64 s[0:1], s14, v1
	s_and_saveexec_b64 s[4:5], s[0:1]
	s_cbranch_execz .LBB162_18
; %bb.17:
	v_bfe_u32 v27, v64, 16, 1
	s_movk_i32 s2, 0x7fff
	v_add3_u32 v27, v64, v27, s2
	v_lshrrev_b32_e32 v27, 16, v27
	v_mov_b32_e32 v30, 0x7fc0
	v_cmp_o_f32_e64 s[2:3], v64, v64
	v_add_u32_e32 v32, v1, v31
	v_mov_b32_e32 v33, 0
	v_cndmask_b32_e64 v27, v30, v27, s[2:3]
	s_waitcnt lgkmcnt(0)
	v_lshl_add_u64 v[32:33], v[32:33], 1, s[12:13]
	global_store_short v[32:33], v27, off
.LBB162_18:
	s_or_b64 exec, exec, s[4:5]
	v_add_u32_e32 v27, 64, v0
	v_cmp_gt_u32_e64 s[2:3], s14, v27
	s_and_saveexec_b64 s[6:7], s[2:3]
	s_cbranch_execz .LBB162_20
; %bb.19:
	v_bfe_u32 v30, v46, 16, 1
	s_movk_i32 s4, 0x7fff
	v_add3_u32 v30, v46, v30, s4
	v_lshrrev_b32_e32 v30, 16, v30
	v_mov_b32_e32 v32, 0x7fc0
	v_cmp_o_f32_e64 s[4:5], v46, v46
	v_mov_b32_e32 v33, 0
	s_nop 0
	v_cndmask_b32_e64 v30, v32, v30, s[4:5]
	v_add_u32_e32 v32, v27, v31
	s_waitcnt lgkmcnt(0)
	v_lshl_add_u64 v[32:33], v[32:33], 1, s[12:13]
	global_store_short v[32:33], v30, off
.LBB162_20:
	s_or_b64 exec, exec, s[6:7]
	v_add_u32_e32 v30, 0x60, v0
	v_cmp_gt_u32_e64 s[4:5], s14, v30
	s_and_saveexec_b64 s[8:9], s[4:5]
	s_cbranch_execz .LBB162_22
; %bb.21:
	v_bfe_u32 v32, v28, 16, 1
	s_movk_i32 s6, 0x7fff
	v_add3_u32 v32, v28, v32, s6
	v_lshrrev_b32_e32 v32, 16, v32
	v_mov_b32_e32 v33, 0x7fc0
	v_cmp_o_f32_e64 s[6:7], v28, v28
	s_nop 1
	v_cndmask_b32_e64 v28, v33, v32, s[6:7]
	v_add_u32_e32 v32, v30, v31
	v_mov_b32_e32 v33, 0
	s_waitcnt lgkmcnt(0)
	v_lshl_add_u64 v[32:33], v[32:33], 1, s[12:13]
	global_store_short v[32:33], v28, off
.LBB162_22:
	s_or_b64 exec, exec, s[8:9]
	v_add3_u32 v28, v26, s15, 8
	v_cmp_gt_u32_e64 s[6:7], s10, v28
	s_and_b64 exec, exec, s[6:7]
	s_cbranch_execz .LBB162_64
; %bb.23:
	v_mul_lo_u32 v28, v28, s14
	s_and_saveexec_b64 s[8:9], vcc
	s_cbranch_execnz .LBB162_65
; %bb.24:
	s_or_b64 exec, exec, s[8:9]
	s_and_saveexec_b64 s[8:9], s[0:1]
	s_cbranch_execnz .LBB162_66
.LBB162_25:
	s_or_b64 exec, exec, s[8:9]
	s_and_saveexec_b64 s[8:9], s[2:3]
	s_cbranch_execnz .LBB162_67
.LBB162_26:
	s_or_b64 exec, exec, s[8:9]
	s_and_saveexec_b64 s[8:9], s[4:5]
	s_cbranch_execz .LBB162_28
.LBB162_27:
	v_bfe_u32 v31, v29, 16, 1
	s_movk_i32 s6, 0x7fff
	v_add3_u32 v31, v29, v31, s6
	v_lshrrev_b32_e32 v31, 16, v31
	v_mov_b32_e32 v32, 0x7fc0
	v_cmp_o_f32_e64 s[6:7], v29, v29
	v_add_u32_e32 v28, v28, v30
	v_mov_b32_e32 v29, 0
	v_cndmask_b32_e64 v31, v32, v31, s[6:7]
	s_waitcnt lgkmcnt(0)
	v_lshl_add_u64 v[28:29], v[28:29], 1, s[12:13]
	global_store_short v[28:29], v31, off
.LBB162_28:
	s_or_b64 exec, exec, s[8:9]
	v_add3_u32 v28, v26, s15, 16
	v_cmp_gt_u32_e64 s[6:7], s10, v28
	s_and_b64 exec, exec, s[6:7]
	s_cbranch_execz .LBB162_64
; %bb.29:
	v_mul_lo_u32 v28, v28, s14
	s_and_saveexec_b64 s[8:9], vcc
	s_cbranch_execnz .LBB162_68
; %bb.30:
	s_or_b64 exec, exec, s[8:9]
	s_and_saveexec_b64 s[8:9], s[0:1]
	s_cbranch_execnz .LBB162_69
.LBB162_31:
	s_or_b64 exec, exec, s[8:9]
	s_and_saveexec_b64 s[8:9], s[2:3]
	s_cbranch_execnz .LBB162_70
.LBB162_32:
	s_or_b64 exec, exec, s[8:9]
	s_and_saveexec_b64 s[8:9], s[4:5]
	s_cbranch_execz .LBB162_34
.LBB162_33:
	v_bfe_u32 v20, v18, 16, 1
	s_movk_i32 s6, 0x7fff
	v_add3_u32 v20, v18, v20, s6
	v_lshrrev_b32_e32 v20, 16, v20
	v_mov_b32_e32 v22, 0x7fc0
	v_cmp_o_f32_e64 s[6:7], v18, v18
	v_add_u32_e32 v28, v28, v30
	v_mov_b32_e32 v29, 0
	v_cndmask_b32_e64 v18, v22, v20, s[6:7]
	s_waitcnt lgkmcnt(0)
	v_lshl_add_u64 v[28:29], v[28:29], 1, s[12:13]
	global_store_short v[28:29], v18, off
.LBB162_34:
	s_or_b64 exec, exec, s[8:9]
	v_add3_u32 v18, v26, s15, 24
	v_cmp_gt_u32_e64 s[6:7], s10, v18
	s_and_b64 exec, exec, s[6:7]
	s_cbranch_execz .LBB162_64
; %bb.35:
	v_mul_lo_u32 v18, v18, s14
	s_and_saveexec_b64 s[8:9], vcc
	s_cbranch_execnz .LBB162_71
; %bb.36:
	s_or_b64 exec, exec, s[8:9]
	s_and_saveexec_b64 s[8:9], s[0:1]
	s_cbranch_execnz .LBB162_72
.LBB162_37:
	s_or_b64 exec, exec, s[8:9]
	s_and_saveexec_b64 s[8:9], s[2:3]
	s_cbranch_execnz .LBB162_73
.LBB162_38:
	s_or_b64 exec, exec, s[8:9]
	s_and_saveexec_b64 s[8:9], s[4:5]
	s_cbranch_execz .LBB162_40
.LBB162_39:
	v_bfe_u32 v20, v19, 16, 1
	s_movk_i32 s6, 0x7fff
	v_add3_u32 v20, v19, v20, s6
	v_lshrrev_b32_e32 v20, 16, v20
	v_mov_b32_e32 v21, 0x7fc0
	v_cmp_o_f32_e64 s[6:7], v19, v19
	v_add_u32_e32 v18, v18, v30
	v_mov_b32_e32 v19, 0
	v_cndmask_b32_e64 v20, v21, v20, s[6:7]
	s_waitcnt lgkmcnt(0)
	v_lshl_add_u64 v[18:19], v[18:19], 1, s[12:13]
	global_store_short v[18:19], v20, off
.LBB162_40:
	s_or_b64 exec, exec, s[8:9]
	v_add3_u32 v18, v26, s15, 32
	v_cmp_gt_u32_e64 s[6:7], s10, v18
	s_and_b64 exec, exec, s[6:7]
	s_cbranch_execz .LBB162_64
; %bb.41:
	v_mul_lo_u32 v18, v18, s14
	s_and_saveexec_b64 s[8:9], vcc
	s_cbranch_execnz .LBB162_74
; %bb.42:
	s_or_b64 exec, exec, s[8:9]
	s_and_saveexec_b64 s[8:9], s[0:1]
	s_cbranch_execnz .LBB162_75
.LBB162_43:
	s_or_b64 exec, exec, s[8:9]
	s_and_saveexec_b64 s[8:9], s[2:3]
	s_cbranch_execnz .LBB162_76
.LBB162_44:
	s_or_b64 exec, exec, s[8:9]
	s_and_saveexec_b64 s[8:9], s[4:5]
	s_cbranch_execz .LBB162_46
.LBB162_45:
	v_bfe_u32 v12, v10, 16, 1
	s_movk_i32 s6, 0x7fff
	v_add3_u32 v12, v10, v12, s6
	v_lshrrev_b32_e32 v12, 16, v12
	v_mov_b32_e32 v14, 0x7fc0
	v_cmp_o_f32_e64 s[6:7], v10, v10
	v_add_u32_e32 v18, v18, v30
	v_mov_b32_e32 v19, 0
	v_cndmask_b32_e64 v10, v14, v12, s[6:7]
	s_waitcnt lgkmcnt(0)
	v_lshl_add_u64 v[18:19], v[18:19], 1, s[12:13]
	global_store_short v[18:19], v10, off
.LBB162_46:
	s_or_b64 exec, exec, s[8:9]
	v_add3_u32 v10, v26, s15, 40
	v_cmp_gt_u32_e64 s[6:7], s10, v10
	s_and_b64 exec, exec, s[6:7]
	s_cbranch_execz .LBB162_64
; %bb.47:
	v_mul_lo_u32 v10, v10, s14
	s_and_saveexec_b64 s[8:9], vcc
	s_cbranch_execnz .LBB162_77
; %bb.48:
	s_or_b64 exec, exec, s[8:9]
	s_and_saveexec_b64 s[8:9], s[0:1]
	s_cbranch_execnz .LBB162_78
.LBB162_49:
	s_or_b64 exec, exec, s[8:9]
	s_and_saveexec_b64 s[8:9], s[2:3]
	s_cbranch_execnz .LBB162_79
.LBB162_50:
	s_or_b64 exec, exec, s[8:9]
	s_and_saveexec_b64 s[8:9], s[4:5]
	s_cbranch_execz .LBB162_52
.LBB162_51:
	v_bfe_u32 v12, v11, 16, 1
	s_movk_i32 s6, 0x7fff
	v_add3_u32 v12, v11, v12, s6
	v_lshrrev_b32_e32 v12, 16, v12
	v_mov_b32_e32 v13, 0x7fc0
	v_cmp_o_f32_e64 s[6:7], v11, v11
	v_add_u32_e32 v10, v10, v30
	v_mov_b32_e32 v11, 0
	v_cndmask_b32_e64 v12, v13, v12, s[6:7]
	s_waitcnt lgkmcnt(0)
	v_lshl_add_u64 v[10:11], v[10:11], 1, s[12:13]
	global_store_short v[10:11], v12, off
.LBB162_52:
	s_or_b64 exec, exec, s[8:9]
	v_add3_u32 v10, v26, s15, 48
	v_cmp_gt_u32_e64 s[6:7], s10, v10
	s_and_b64 exec, exec, s[6:7]
	s_cbranch_execz .LBB162_64
; %bb.53:
	v_mul_lo_u32 v10, v10, s14
	s_and_saveexec_b64 s[8:9], vcc
	s_cbranch_execnz .LBB162_80
; %bb.54:
	s_or_b64 exec, exec, s[8:9]
	s_and_saveexec_b64 s[8:9], s[0:1]
	s_cbranch_execnz .LBB162_81
.LBB162_55:
	s_or_b64 exec, exec, s[8:9]
	s_and_saveexec_b64 s[8:9], s[2:3]
	s_cbranch_execnz .LBB162_82
.LBB162_56:
	s_or_b64 exec, exec, s[8:9]
	s_and_saveexec_b64 s[8:9], s[4:5]
	s_cbranch_execz .LBB162_58
.LBB162_57:
	v_bfe_u32 v4, v2, 16, 1
	s_movk_i32 s6, 0x7fff
	v_add3_u32 v4, v2, v4, s6
	v_lshrrev_b32_e32 v4, 16, v4
	v_mov_b32_e32 v6, 0x7fc0
	v_cmp_o_f32_e64 s[6:7], v2, v2
	v_add_u32_e32 v10, v10, v30
	v_mov_b32_e32 v11, 0
	v_cndmask_b32_e64 v2, v6, v4, s[6:7]
	s_waitcnt lgkmcnt(0)
	v_lshl_add_u64 v[10:11], v[10:11], 1, s[12:13]
	global_store_short v[10:11], v2, off
.LBB162_58:
	s_or_b64 exec, exec, s[8:9]
	v_add3_u32 v2, v26, s15, 56
	v_cmp_gt_u32_e64 s[6:7], s10, v2
	s_and_b64 exec, exec, s[6:7]
	s_cbranch_execz .LBB162_64
; %bb.59:
	v_mul_lo_u32 v2, v2, s14
	s_and_saveexec_b64 s[6:7], vcc
	s_cbranch_execnz .LBB162_83
; %bb.60:
	s_or_b64 exec, exec, s[6:7]
	s_and_saveexec_b64 s[6:7], s[0:1]
	s_cbranch_execnz .LBB162_84
.LBB162_61:
	s_or_b64 exec, exec, s[6:7]
	s_and_saveexec_b64 s[0:1], s[2:3]
	s_cbranch_execnz .LBB162_85
.LBB162_62:
	s_or_b64 exec, exec, s[0:1]
	s_and_b64 exec, exec, s[4:5]
	s_cbranch_execz .LBB162_64
.LBB162_63:
	v_bfe_u32 v0, v3, 16, 1
	s_movk_i32 s0, 0x7fff
	v_add3_u32 v0, v3, v0, s0
	v_lshrrev_b32_e32 v0, 16, v0
	v_mov_b32_e32 v1, 0x7fc0
	v_cmp_o_f32_e32 vcc, v3, v3
	s_nop 1
	v_cndmask_b32_e32 v3, v1, v0, vcc
	v_add_u32_e32 v0, v2, v30
	v_mov_b32_e32 v1, 0
	s_waitcnt lgkmcnt(0)
	v_lshl_add_u64 v[0:1], v[0:1], 1, s[12:13]
	global_store_short v[0:1], v3, off
.LBB162_64:
	s_endpgm
.LBB162_65:
	v_bfe_u32 v31, v79, 16, 1
	s_movk_i32 s6, 0x7fff
	v_add3_u32 v31, v79, v31, s6
	v_lshrrev_b32_e32 v31, 16, v31
	v_mov_b32_e32 v32, 0x7fc0
	v_cmp_o_f32_e64 s[6:7], v79, v79
	v_mov_b32_e32 v33, 0
	s_nop 0
	v_cndmask_b32_e64 v31, v32, v31, s[6:7]
	v_add_u32_e32 v32, v28, v0
	s_waitcnt lgkmcnt(0)
	v_lshl_add_u64 v[32:33], v[32:33], 1, s[12:13]
	global_store_short v[32:33], v31, off
	s_or_b64 exec, exec, s[8:9]
	s_and_saveexec_b64 s[8:9], s[0:1]
	s_cbranch_execz .LBB162_25
.LBB162_66:
	v_bfe_u32 v31, v65, 16, 1
	s_movk_i32 s6, 0x7fff
	v_add3_u32 v31, v65, v31, s6
	v_lshrrev_b32_e32 v31, 16, v31
	v_mov_b32_e32 v32, 0x7fc0
	v_cmp_o_f32_e64 s[6:7], v65, v65
	v_mov_b32_e32 v33, 0
	s_nop 0
	v_cndmask_b32_e64 v31, v32, v31, s[6:7]
	v_add_u32_e32 v32, v28, v1
	s_waitcnt lgkmcnt(0)
	v_lshl_add_u64 v[32:33], v[32:33], 1, s[12:13]
	global_store_short v[32:33], v31, off
	s_or_b64 exec, exec, s[8:9]
	s_and_saveexec_b64 s[8:9], s[2:3]
	s_cbranch_execz .LBB162_26
.LBB162_67:
	v_bfe_u32 v31, v47, 16, 1
	s_movk_i32 s6, 0x7fff
	v_add3_u32 v31, v47, v31, s6
	v_lshrrev_b32_e32 v31, 16, v31
	v_mov_b32_e32 v32, 0x7fc0
	v_cmp_o_f32_e64 s[6:7], v47, v47
	v_mov_b32_e32 v33, 0
	s_nop 0
	v_cndmask_b32_e64 v31, v32, v31, s[6:7]
	v_add_u32_e32 v32, v28, v27
	s_waitcnt lgkmcnt(0)
	v_lshl_add_u64 v[32:33], v[32:33], 1, s[12:13]
	global_store_short v[32:33], v31, off
	s_or_b64 exec, exec, s[8:9]
	s_and_saveexec_b64 s[8:9], s[4:5]
	s_cbranch_execnz .LBB162_27
	s_branch .LBB162_28
.LBB162_68:
	v_bfe_u32 v29, v24, 16, 1
	s_movk_i32 s6, 0x7fff
	v_add3_u32 v29, v24, v29, s6
	v_lshrrev_b32_e32 v29, 16, v29
	v_mov_b32_e32 v31, 0x7fc0
	v_cmp_o_f32_e64 s[6:7], v24, v24
	v_add_u32_e32 v32, v28, v0
	v_mov_b32_e32 v33, 0
	v_cndmask_b32_e64 v24, v31, v29, s[6:7]
	s_waitcnt lgkmcnt(0)
	v_lshl_add_u64 v[32:33], v[32:33], 1, s[12:13]
	global_store_short v[32:33], v24, off
	s_or_b64 exec, exec, s[8:9]
	s_and_saveexec_b64 s[8:9], s[0:1]
	s_cbranch_execz .LBB162_31
.LBB162_69:
	v_bfe_u32 v24, v22, 16, 1
	s_movk_i32 s6, 0x7fff
	v_add3_u32 v24, v22, v24, s6
	v_lshrrev_b32_e32 v24, 16, v24
	v_mov_b32_e32 v29, 0x7fc0
	v_cmp_o_f32_e64 s[6:7], v22, v22
	v_add_u32_e32 v32, v28, v1
	v_mov_b32_e32 v33, 0
	v_cndmask_b32_e64 v22, v29, v24, s[6:7]
	s_waitcnt lgkmcnt(0)
	v_lshl_add_u64 v[32:33], v[32:33], 1, s[12:13]
	global_store_short v[32:33], v22, off
	s_or_b64 exec, exec, s[8:9]
	s_and_saveexec_b64 s[8:9], s[2:3]
	s_cbranch_execz .LBB162_32
.LBB162_70:
	v_bfe_u32 v22, v20, 16, 1
	s_movk_i32 s6, 0x7fff
	v_add3_u32 v22, v20, v22, s6
	v_lshrrev_b32_e32 v22, 16, v22
	v_mov_b32_e32 v24, 0x7fc0
	v_cmp_o_f32_e64 s[6:7], v20, v20
	v_add_u32_e32 v32, v28, v27
	v_mov_b32_e32 v33, 0
	v_cndmask_b32_e64 v20, v24, v22, s[6:7]
	s_waitcnt lgkmcnt(0)
	v_lshl_add_u64 v[32:33], v[32:33], 1, s[12:13]
	global_store_short v[32:33], v20, off
	s_or_b64 exec, exec, s[8:9]
	s_and_saveexec_b64 s[8:9], s[4:5]
	s_cbranch_execnz .LBB162_33
	s_branch .LBB162_34
.LBB162_71:
	v_bfe_u32 v20, v25, 16, 1
	s_movk_i32 s6, 0x7fff
	v_add3_u32 v20, v25, v20, s6
	v_lshrrev_b32_e32 v20, 16, v20
	v_mov_b32_e32 v22, 0x7fc0
	v_cmp_o_f32_e64 s[6:7], v25, v25
	v_add_u32_e32 v24, v18, v0
	v_mov_b32_e32 v25, 0
	v_cndmask_b32_e64 v20, v22, v20, s[6:7]
	s_waitcnt lgkmcnt(0)
	v_lshl_add_u64 v[24:25], v[24:25], 1, s[12:13]
	global_store_short v[24:25], v20, off
	s_or_b64 exec, exec, s[8:9]
	s_and_saveexec_b64 s[8:9], s[0:1]
	s_cbranch_execz .LBB162_37
.LBB162_72:
	v_bfe_u32 v20, v23, 16, 1
	s_movk_i32 s6, 0x7fff
	v_add3_u32 v20, v23, v20, s6
	v_lshrrev_b32_e32 v20, 16, v20
	v_mov_b32_e32 v22, 0x7fc0
	v_cmp_o_f32_e64 s[6:7], v23, v23
	v_mov_b32_e32 v23, 0
	s_nop 0
	v_cndmask_b32_e64 v20, v22, v20, s[6:7]
	v_add_u32_e32 v22, v18, v1
	s_waitcnt lgkmcnt(0)
	v_lshl_add_u64 v[22:23], v[22:23], 1, s[12:13]
	global_store_short v[22:23], v20, off
	s_or_b64 exec, exec, s[8:9]
	s_and_saveexec_b64 s[8:9], s[2:3]
	s_cbranch_execz .LBB162_38
.LBB162_73:
	v_bfe_u32 v20, v21, 16, 1
	s_movk_i32 s6, 0x7fff
	v_add3_u32 v20, v21, v20, s6
	v_lshrrev_b32_e32 v20, 16, v20
	v_mov_b32_e32 v22, 0x7fc0
	v_cmp_o_f32_e64 s[6:7], v21, v21
	v_mov_b32_e32 v21, 0
	s_nop 0
	v_cndmask_b32_e64 v22, v22, v20, s[6:7]
	v_add_u32_e32 v20, v18, v27
	s_waitcnt lgkmcnt(0)
	v_lshl_add_u64 v[20:21], v[20:21], 1, s[12:13]
	global_store_short v[20:21], v22, off
	s_or_b64 exec, exec, s[8:9]
	s_and_saveexec_b64 s[8:9], s[4:5]
	s_cbranch_execnz .LBB162_39
	s_branch .LBB162_40
.LBB162_74:
	v_bfe_u32 v19, v16, 16, 1
	s_movk_i32 s6, 0x7fff
	v_add3_u32 v19, v16, v19, s6
	v_lshrrev_b32_e32 v19, 16, v19
	v_mov_b32_e32 v20, 0x7fc0
	v_cmp_o_f32_e64 s[6:7], v16, v16
	v_mov_b32_e32 v21, 0
	s_nop 0
	v_cndmask_b32_e64 v16, v20, v19, s[6:7]
	v_add_u32_e32 v20, v18, v0
	s_waitcnt lgkmcnt(0)
	v_lshl_add_u64 v[20:21], v[20:21], 1, s[12:13]
	global_store_short v[20:21], v16, off
	s_or_b64 exec, exec, s[8:9]
	s_and_saveexec_b64 s[8:9], s[0:1]
	s_cbranch_execz .LBB162_43
.LBB162_75:
	v_bfe_u32 v16, v14, 16, 1
	s_movk_i32 s6, 0x7fff
	v_add3_u32 v16, v14, v16, s6
	v_lshrrev_b32_e32 v16, 16, v16
	v_mov_b32_e32 v19, 0x7fc0
	v_cmp_o_f32_e64 s[6:7], v14, v14
	v_add_u32_e32 v20, v18, v1
	v_mov_b32_e32 v21, 0
	v_cndmask_b32_e64 v14, v19, v16, s[6:7]
	s_waitcnt lgkmcnt(0)
	v_lshl_add_u64 v[20:21], v[20:21], 1, s[12:13]
	global_store_short v[20:21], v14, off
	s_or_b64 exec, exec, s[8:9]
	s_and_saveexec_b64 s[8:9], s[2:3]
	s_cbranch_execz .LBB162_44
.LBB162_76:
	v_bfe_u32 v14, v12, 16, 1
	s_movk_i32 s6, 0x7fff
	v_add3_u32 v14, v12, v14, s6
	v_lshrrev_b32_e32 v14, 16, v14
	v_mov_b32_e32 v16, 0x7fc0
	v_cmp_o_f32_e64 s[6:7], v12, v12
	v_add_u32_e32 v20, v18, v27
	v_mov_b32_e32 v21, 0
	v_cndmask_b32_e64 v12, v16, v14, s[6:7]
	s_waitcnt lgkmcnt(0)
	v_lshl_add_u64 v[20:21], v[20:21], 1, s[12:13]
	global_store_short v[20:21], v12, off
	s_or_b64 exec, exec, s[8:9]
	s_and_saveexec_b64 s[8:9], s[4:5]
	s_cbranch_execnz .LBB162_45
	s_branch .LBB162_46
.LBB162_77:
	v_bfe_u32 v12, v17, 16, 1
	s_movk_i32 s6, 0x7fff
	v_add3_u32 v12, v17, v12, s6
	v_lshrrev_b32_e32 v12, 16, v12
	v_mov_b32_e32 v14, 0x7fc0
	v_cmp_o_f32_e64 s[6:7], v17, v17
	v_add_u32_e32 v16, v10, v0
	v_mov_b32_e32 v17, 0
	v_cndmask_b32_e64 v12, v14, v12, s[6:7]
	s_waitcnt lgkmcnt(0)
	v_lshl_add_u64 v[16:17], v[16:17], 1, s[12:13]
	global_store_short v[16:17], v12, off
	s_or_b64 exec, exec, s[8:9]
	s_and_saveexec_b64 s[8:9], s[0:1]
	s_cbranch_execz .LBB162_49
.LBB162_78:
	v_bfe_u32 v12, v15, 16, 1
	s_movk_i32 s6, 0x7fff
	v_add3_u32 v12, v15, v12, s6
	v_lshrrev_b32_e32 v12, 16, v12
	v_mov_b32_e32 v14, 0x7fc0
	v_cmp_o_f32_e64 s[6:7], v15, v15
	v_mov_b32_e32 v15, 0
	s_nop 0
	v_cndmask_b32_e64 v12, v14, v12, s[6:7]
	v_add_u32_e32 v14, v10, v1
	s_waitcnt lgkmcnt(0)
	v_lshl_add_u64 v[14:15], v[14:15], 1, s[12:13]
	global_store_short v[14:15], v12, off
	s_or_b64 exec, exec, s[8:9]
	s_and_saveexec_b64 s[8:9], s[2:3]
	s_cbranch_execz .LBB162_50
.LBB162_79:
	v_bfe_u32 v12, v13, 16, 1
	s_movk_i32 s6, 0x7fff
	v_add3_u32 v12, v13, v12, s6
	v_lshrrev_b32_e32 v12, 16, v12
	v_mov_b32_e32 v14, 0x7fc0
	v_cmp_o_f32_e64 s[6:7], v13, v13
	v_mov_b32_e32 v13, 0
	s_nop 0
	v_cndmask_b32_e64 v14, v14, v12, s[6:7]
	v_add_u32_e32 v12, v10, v27
	s_waitcnt lgkmcnt(0)
	v_lshl_add_u64 v[12:13], v[12:13], 1, s[12:13]
	global_store_short v[12:13], v14, off
	s_or_b64 exec, exec, s[8:9]
	s_and_saveexec_b64 s[8:9], s[4:5]
	s_cbranch_execnz .LBB162_51
	s_branch .LBB162_52
.LBB162_80:
	v_bfe_u32 v11, v8, 16, 1
	s_movk_i32 s6, 0x7fff
	v_add3_u32 v11, v8, v11, s6
	v_lshrrev_b32_e32 v11, 16, v11
	v_mov_b32_e32 v12, 0x7fc0
	v_cmp_o_f32_e64 s[6:7], v8, v8
	v_mov_b32_e32 v13, 0
	s_nop 0
	v_cndmask_b32_e64 v8, v12, v11, s[6:7]
	v_add_u32_e32 v12, v10, v0
	s_waitcnt lgkmcnt(0)
	v_lshl_add_u64 v[12:13], v[12:13], 1, s[12:13]
	global_store_short v[12:13], v8, off
	s_or_b64 exec, exec, s[8:9]
	s_and_saveexec_b64 s[8:9], s[0:1]
	s_cbranch_execz .LBB162_55
.LBB162_81:
	v_bfe_u32 v8, v6, 16, 1
	s_movk_i32 s6, 0x7fff
	v_add3_u32 v8, v6, v8, s6
	v_lshrrev_b32_e32 v8, 16, v8
	v_mov_b32_e32 v11, 0x7fc0
	v_cmp_o_f32_e64 s[6:7], v6, v6
	v_add_u32_e32 v12, v10, v1
	v_mov_b32_e32 v13, 0
	v_cndmask_b32_e64 v6, v11, v8, s[6:7]
	s_waitcnt lgkmcnt(0)
	v_lshl_add_u64 v[12:13], v[12:13], 1, s[12:13]
	global_store_short v[12:13], v6, off
	s_or_b64 exec, exec, s[8:9]
	s_and_saveexec_b64 s[8:9], s[2:3]
	s_cbranch_execz .LBB162_56
.LBB162_82:
	v_bfe_u32 v6, v4, 16, 1
	s_movk_i32 s6, 0x7fff
	v_add3_u32 v6, v4, v6, s6
	v_lshrrev_b32_e32 v6, 16, v6
	v_mov_b32_e32 v8, 0x7fc0
	v_cmp_o_f32_e64 s[6:7], v4, v4
	v_add_u32_e32 v12, v10, v27
	v_mov_b32_e32 v13, 0
	v_cndmask_b32_e64 v4, v8, v6, s[6:7]
	s_waitcnt lgkmcnt(0)
	v_lshl_add_u64 v[12:13], v[12:13], 1, s[12:13]
	global_store_short v[12:13], v4, off
	s_or_b64 exec, exec, s[8:9]
	s_and_saveexec_b64 s[8:9], s[4:5]
	s_cbranch_execnz .LBB162_57
	s_branch .LBB162_58
.LBB162_83:
	v_bfe_u32 v4, v9, 16, 1
	s_movk_i32 s8, 0x7fff
	v_add3_u32 v4, v9, v4, s8
	v_lshrrev_b32_e32 v4, 16, v4
	v_mov_b32_e32 v6, 0x7fc0
	v_cmp_o_f32_e32 vcc, v9, v9
	v_add_u32_e32 v8, v2, v0
	v_mov_b32_e32 v9, 0
	v_cndmask_b32_e32 v4, v6, v4, vcc
	s_waitcnt lgkmcnt(0)
	v_lshl_add_u64 v[8:9], v[8:9], 1, s[12:13]
	global_store_short v[8:9], v4, off
	s_or_b64 exec, exec, s[6:7]
	s_and_saveexec_b64 s[6:7], s[0:1]
	s_cbranch_execz .LBB162_61
.LBB162_84:
	v_bfe_u32 v0, v7, 16, 1
	s_movk_i32 s0, 0x7fff
	v_add3_u32 v0, v7, v0, s0
	v_lshrrev_b32_e32 v0, 16, v0
	v_mov_b32_e32 v4, 0x7fc0
	v_cmp_o_f32_e32 vcc, v7, v7
	s_nop 1
	v_cndmask_b32_e32 v4, v4, v0, vcc
	v_add_u32_e32 v0, v2, v1
	v_mov_b32_e32 v1, 0
	s_waitcnt lgkmcnt(0)
	v_lshl_add_u64 v[0:1], v[0:1], 1, s[12:13]
	global_store_short v[0:1], v4, off
	s_or_b64 exec, exec, s[6:7]
	s_and_saveexec_b64 s[0:1], s[2:3]
	s_cbranch_execz .LBB162_62
.LBB162_85:
	v_bfe_u32 v0, v5, 16, 1
	s_movk_i32 s2, 0x7fff
	v_add3_u32 v0, v5, v0, s2
	v_lshrrev_b32_e32 v0, 16, v0
	v_mov_b32_e32 v1, 0x7fc0
	v_cmp_o_f32_e32 vcc, v5, v5
	s_nop 1
	v_cndmask_b32_e32 v4, v1, v0, vcc
	v_add_u32_e32 v0, v2, v27
	v_mov_b32_e32 v1, 0
	s_waitcnt lgkmcnt(0)
	v_lshl_add_u64 v[0:1], v[0:1], 1, s[12:13]
	global_store_short v[0:1], v4, off
	s_or_b64 exec, exec, s[0:1]
	s_and_b64 exec, exec, s[4:5]
	s_cbranch_execnz .LBB162_63
	s_branch .LBB162_64
	.section	.rodata,"a",@progbits
	.p2align	6, 0x0
	.amdhsa_kernel _ZL12mul_mat_q5_0IN3c108BFloat16ELb1EEvPKvS3_PT_iiiii
		.amdhsa_group_segment_fixed_size 46720
		.amdhsa_private_segment_fixed_size 0
		.amdhsa_kernarg_size 44
		.amdhsa_user_sgpr_count 2
		.amdhsa_user_sgpr_dispatch_ptr 0
		.amdhsa_user_sgpr_queue_ptr 0
		.amdhsa_user_sgpr_kernarg_segment_ptr 1
		.amdhsa_user_sgpr_dispatch_id 0
		.amdhsa_user_sgpr_kernarg_preload_length 0
		.amdhsa_user_sgpr_kernarg_preload_offset 0
		.amdhsa_user_sgpr_private_segment_size 0
		.amdhsa_uses_dynamic_stack 0
		.amdhsa_enable_private_segment 0
		.amdhsa_system_sgpr_workgroup_id_x 1
		.amdhsa_system_sgpr_workgroup_id_y 1
		.amdhsa_system_sgpr_workgroup_id_z 0
		.amdhsa_system_sgpr_workgroup_info 0
		.amdhsa_system_vgpr_workitem_id 1
		.amdhsa_next_free_vgpr 175
		.amdhsa_next_free_sgpr 20
		.amdhsa_accum_offset 176
		.amdhsa_reserve_vcc 1
		.amdhsa_float_round_mode_32 0
		.amdhsa_float_round_mode_16_64 0
		.amdhsa_float_denorm_mode_32 3
		.amdhsa_float_denorm_mode_16_64 3
		.amdhsa_dx10_clamp 1
		.amdhsa_ieee_mode 1
		.amdhsa_fp16_overflow 0
		.amdhsa_tg_split 0
		.amdhsa_exception_fp_ieee_invalid_op 0
		.amdhsa_exception_fp_denorm_src 0
		.amdhsa_exception_fp_ieee_div_zero 0
		.amdhsa_exception_fp_ieee_overflow 0
		.amdhsa_exception_fp_ieee_underflow 0
		.amdhsa_exception_fp_ieee_inexact 0
		.amdhsa_exception_int_div_zero 0
	.end_amdhsa_kernel
	.section	.text._ZL12mul_mat_q5_0IN3c108BFloat16ELb1EEvPKvS3_PT_iiiii,"axG",@progbits,_ZL12mul_mat_q5_0IN3c108BFloat16ELb1EEvPKvS3_PT_iiiii,comdat
.Lfunc_end162:
	.size	_ZL12mul_mat_q5_0IN3c108BFloat16ELb1EEvPKvS3_PT_iiiii, .Lfunc_end162-_ZL12mul_mat_q5_0IN3c108BFloat16ELb1EEvPKvS3_PT_iiiii
                                        ; -- End function
	.section	.AMDGPU.csdata,"",@progbits
; Kernel info:
; codeLenInByte = 15880
; NumSgprs: 26
; NumVgprs: 175
; NumAgprs: 0
; TotalNumVgprs: 175
; ScratchSize: 0
; MemoryBound: 0
; FloatMode: 240
; IeeeMode: 1
; LDSByteSize: 46720 bytes/workgroup (compile time only)
; SGPRBlocks: 3
; VGPRBlocks: 21
; NumSGPRsForWavesPerEU: 26
; NumVGPRsForWavesPerEU: 175
; AccumOffset: 176
; Occupancy: 1
; WaveLimiterHint : 0
; COMPUTE_PGM_RSRC2:SCRATCH_EN: 0
; COMPUTE_PGM_RSRC2:USER_SGPR: 2
; COMPUTE_PGM_RSRC2:TRAP_HANDLER: 0
; COMPUTE_PGM_RSRC2:TGID_X_EN: 1
; COMPUTE_PGM_RSRC2:TGID_Y_EN: 1
; COMPUTE_PGM_RSRC2:TGID_Z_EN: 0
; COMPUTE_PGM_RSRC2:TIDIG_COMP_CNT: 1
; COMPUTE_PGM_RSRC3_GFX90A:ACCUM_OFFSET: 43
; COMPUTE_PGM_RSRC3_GFX90A:TG_SPLIT: 0
	.section	.text._ZL12mul_mat_q5_1IN3c108BFloat16ELb0EEvPKvS3_PT_iiiii,"axG",@progbits,_ZL12mul_mat_q5_1IN3c108BFloat16ELb0EEvPKvS3_PT_iiiii,comdat
	.globl	_ZL12mul_mat_q5_1IN3c108BFloat16ELb0EEvPKvS3_PT_iiiii ; -- Begin function _ZL12mul_mat_q5_1IN3c108BFloat16ELb0EEvPKvS3_PT_iiiii
	.p2align	8
	.type	_ZL12mul_mat_q5_1IN3c108BFloat16ELb0EEvPKvS3_PT_iiiii,@function
_ZL12mul_mat_q5_1IN3c108BFloat16ELb0EEvPKvS3_PT_iiiii: ; @_ZL12mul_mat_q5_1IN3c108BFloat16ELb0EEvPKvS3_PT_iiiii
; %bb.0:
	s_load_dword s7, s[0:1], 0x18
	s_load_dwordx4 s[8:11], s[0:1], 0x20
	s_waitcnt lgkmcnt(0)
	s_lshl_b32 s11, s3, 6
	v_bfe_u32 v85, v0, 10, 10
	s_cmp_gt_i32 s7, 31
	s_cbranch_scc1 .LBB163_2
; %bb.1:
	v_bfe_u32 v2, v0, 10, 10
	v_and_b32_e32 v84, 0x3ff, v0
	v_add_u32_e32 v89, s11, v2
	s_mov_b64 s[4:5], 0
	s_mov_b32 s3, 0
	s_branch .LBB163_3
.LBB163_2:
	s_mov_b64 s[4:5], -1
                                        ; implicit-def: $sgpr3
                                        ; implicit-def: $vgpr2
                                        ; implicit-def: $vgpr84
                                        ; implicit-def: $vgpr89
.LBB163_3:
	s_load_dwordx2 s[12:13], s[0:1], 0x10
	s_lshl_b32 s6, s2, 7
	s_andn2_b64 vcc, exec, s[4:5]
	v_mov_b32_e32 v1, s3
	v_mov_b32_e32 v11, s3
	;; [unrolled: 1-line block ×32, first 2 shown]
	s_cbranch_vccnz .LBB163_13
; %bb.4:
	s_ashr_i32 s4, s7, 31
	s_load_dwordx4 s[0:3], s[0:1], 0x0
	s_lshr_b32 s4, s4, 27
	s_ashr_i32 s5, s9, 31
	s_add_i32 s14, s7, s4
	s_lshr_b32 s5, s5, 27
	s_ashr_i32 s4, s14, 5
	s_add_i32 s5, s9, s5
	s_ashr_i32 s15, s5, 5
	s_mul_i32 s5, s4, s6
	s_mul_hi_i32 s7, s5, 24
	s_mul_i32 s5, s5, 24
	s_waitcnt lgkmcnt(0)
	s_add_u32 s5, s0, s5
	s_addc_u32 s7, s1, s7
	v_mul_lo_u32 v4, s4, v85
	s_lshl_b32 s0, s4, 3
	v_add_u32_e32 v6, s0, v4
	v_add_u32_e32 v8, s0, v6
	;; [unrolled: 1-line block ×10, first 2 shown]
	v_and_b32_e32 v84, 0x3ff, v0
	v_add_u32_e32 v26, s0, v24
	v_lshlrev_b32_e32 v1, 3, v84
	s_movk_i32 s16, 0x104
	v_add_u32_e32 v28, s0, v26
	v_lshrrev_b32_e32 v111, 3, v84
	v_lshrrev_b32_e32 v0, 2, v84
	v_mad_u32_u24 v93, v85, s16, v1
	v_add_u32_e32 v30, s0, v28
	v_lshl_add_u32 v1, v85, 2, v111
	v_lshlrev_b32_e32 v21, 2, v84
	v_add_u32_e32 v32, s0, v30
	v_and_b32_e32 v36, 7, v84
	v_mul_lo_u32 v38, s4, v1
	v_and_b32_e32 v5, 0x7fc, v1
	v_lshlrev_b32_e32 v9, 5, v1
	v_add_u32_e32 v11, 32, v1
	v_add_u32_e32 v15, 64, v1
	;; [unrolled: 1-line block ×3, first 2 shown]
	v_and_b32_e32 v46, 28, v21
	v_lshl_add_u32 v21, v85, 3, v0
	v_add_u32_e32 v34, s0, v32
	v_lshlrev_b32_e32 v7, 2, v36
	s_mov_b32 s0, 0xa200
	v_and_b32_e32 v13, 0xffc, v11
	v_and_b32_e32 v17, 0xffc, v15
	;; [unrolled: 1-line block ×5, first 2 shown]
	v_add3_u32 v5, v5, v7, s0
	v_add3_u32 v13, v13, v7, s0
	;; [unrolled: 1-line block ×4, first 2 shown]
	v_add_u32_e32 v89, s11, v85
	s_add_i32 s0, s8, -1
	v_or_b32_e32 v23, s11, v21
	v_lshlrev_b32_e32 v2, 2, v48
	v_cvt_f64_i32_e32 v[50:51], s0
	v_min_i32_e32 v23, s0, v23
	v_cvt_f64_u32_e32 v[52:53], v89
	v_mad_u64_u32 v[48:49], s[0:1], v23, s15, v[48:49]
	v_lshl_or_b32 v21, v21, 4, v2
	v_min_f64 v[52:53], v[52:53], v[50:51]
	v_add_u32_e32 v23, 8, v89
	v_add_u32_e32 v113, 0xb280, v21
	v_cvt_i32_f64_e32 v21, v[52:53]
	v_cvt_f64_u32_e32 v[52:53], v23
	v_min_f64 v[52:53], v[52:53], v[50:51]
	v_cvt_i32_f64_e32 v23, v[52:53]
	v_mul_lo_u32 v116, s15, v23
	v_add_u32_e32 v23, 16, v89
	v_cvt_f64_u32_e32 v[52:53], v23
	v_min_f64 v[52:53], v[52:53], v[50:51]
	v_cvt_i32_f64_e32 v23, v[52:53]
	v_mul_lo_u32 v118, s15, v23
	v_add_u32_e32 v23, 24, v89
	;; [unrolled: 5-line block ×6, first 2 shown]
	v_and_b32_e32 v19, 31, v84
	v_mul_lo_u32 v114, s15, v21
	v_lshlrev_b32_e32 v21, 7, v85
	v_cvt_f64_u32_e32 v[52:53], v23
	v_lshl_or_b32 v19, v19, 2, v21
	v_min_f64 v[50:51], v[52:53], v[50:51]
	v_add_u32_e32 v115, 0x8200, v19
	v_add_u32_e32 v117, 0x8600, v19
	;; [unrolled: 1-line block ×7, first 2 shown]
	v_cvt_i32_f64_e32 v23, v[50:51]
	v_add_u32_e32 v129, 0x9e00, v19
	v_add_u32_e32 v19, 32, v84
	s_andn2_b32 s14, s14, 31
	v_mul_lo_u32 v128, s15, v23
	v_add_u32_e32 v23, 64, v84
	v_add_u32_e32 v25, 0x60, v84
	v_lshlrev_b32_e32 v27, 5, v84
	v_lshrrev_b32_e32 v131, 3, v19
	v_and_b32_e32 v19, 0x1fc, v19
	v_mov_b32_e32 v3, 0
	v_add_u32_e32 v40, s14, v38
	v_and_b32_e32 v25, 0x1fc, v25
	v_and_b32_e32 v23, 0x1fc, v23
	v_add_u32_e32 v19, v27, v19
	v_and_b32_e32 v29, 0xfc, v84
	v_lshlrev_b32_e32 v11, 5, v11
	v_add_u32_e32 v42, s14, v40
	v_lshlrev_b32_e32 v15, 5, v15
	v_lshlrev_b32_e32 v1, 5, v1
	v_mov_b32_e32 v47, v3
	v_add_u32_e32 v25, v27, v25
	v_add_u32_e32 v23, v27, v23
	v_add_u32_e32 v134, 0xa600, v19
	v_add_u32_e32 v27, v27, v29
	v_add_u32_e32 v136, 0x8200, v21
	v_mov_b32_e32 v21, 0xb280
	v_add_u32_e32 v140, 0xa610, v19
	v_mov_b32_e32 v19, 0x80
	s_mov_b32 s9, 0
	v_add_u32_e32 v94, 0x820, v93
	v_add_u32_e32 v95, 0x1040, v93
	;; [unrolled: 1-line block ×16, first 2 shown]
	v_lshl_add_u64 v[46:47], s[2:3], 0, v[46:47]
	v_mul_u32_u24_e32 v130, 0x104, v84
	v_add_u32_e32 v132, 0xae00, v25
	v_add_u32_e32 v133, 0xaa00, v23
	;; [unrolled: 1-line block ×3, first 2 shown]
	v_lshl_add_u32 v137, v85, 4, v21
	v_add_u32_e32 v138, 0xae10, v25
	v_add_u32_e32 v139, 0xaa10, v23
	;; [unrolled: 1-line block ×3, first 2 shown]
	v_mad_u32_u24 v142, v84, s16, v19
	v_add_u32_e32 v143, v5, v9
	v_add_u32_e32 v144, v13, v11
	;; [unrolled: 1-line block ×4, first 2 shown]
	v_mov_b32_e32 v112, v3
	v_mov_b32_e32 v91, v3
	;; [unrolled: 1-line block ×32, first 2 shown]
	s_branch .LBB163_6
.LBB163_5:                              ;   in Loop: Header=BB163_6 Depth=1
	s_add_i32 s9, s9, 8
	s_cmp_ge_i32 s9, s4
	s_cbranch_scc1 .LBB163_12
.LBB163_6:                              ; =>This Loop Header: Depth=1
                                        ;     Child Loop BB163_7 Depth 2
                                        ;     Child Loop BB163_10 Depth 2
	s_mul_i32 s0, s9, 24
	s_mul_hi_u32 s1, s9, 24
	s_add_u32 s0, s5, s0
	s_addc_u32 s1, s7, s1
	v_mad_u64_u32 v[50:51], s[14:15], v0, 24, s[0:1]
	v_mad_u64_u32 v[52:53], s[14:15], v4, 24, v[50:51]
	v_mad_u64_u32 v[60:61], s[14:15], v10, 24, v[50:51]
	v_lshl_add_u64 v[54:55], v[52:53], 0, v[2:3]
	v_mad_u64_u32 v[56:57], s[14:15], v6, 24, v[50:51]
	v_mad_u64_u32 v[58:59], s[14:15], v8, 24, v[50:51]
	global_load_dword v68, v[60:61], off offset:4
	global_load_dword v69, v[58:59], off offset:4
	;; [unrolled: 1-line block ×5, first 2 shown]
	v_lshl_add_u64 v[52:53], v[56:57], 0, v[2:3]
	global_load_dword v73, v[52:53], off offset:8
	v_lshl_add_u64 v[52:53], v[58:59], 0, v[2:3]
	global_load_dword v74, v[52:53], off offset:8
	;; [unrolled: 2-line block ×3, first 2 shown]
	v_mad_u64_u32 v[58:59], s[14:15], v18, 24, v[50:51]
	v_mad_u64_u32 v[52:53], s[14:15], v12, 24, v[50:51]
	;; [unrolled: 1-line block ×4, first 2 shown]
	v_lshl_add_u64 v[66:67], v[58:59], 0, v[2:3]
	v_lshl_add_u64 v[60:61], v[52:53], 0, v[2:3]
	;; [unrolled: 1-line block ×4, first 2 shown]
	global_load_dword v76, v[66:67], off offset:8
	global_load_dword v77, v[58:59], off offset:4
	global_load_dword v78, v[64:65], off offset:8
	global_load_dword v79, v[56:57], off offset:4
	global_load_dword v80, v[62:63], off offset:8
	global_load_dword v81, v[54:55], off offset:4
	s_nop 0
	global_load_dword v54, v[60:61], off offset:8
	s_nop 0
	global_load_dword v52, v[52:53], off offset:4
	v_add_u32_e32 v147, s9, v48
	v_mov_b32_e32 v148, v137
	v_mov_b32_e32 v149, v136
	;; [unrolled: 1-line block ×7, first 2 shown]
	s_waitcnt vmcnt(13)
	v_ashrrev_i32_e32 v57, v2, v70
	s_waitcnt vmcnt(12)
	v_ashrrev_i32_e32 v53, v2, v71
	s_waitcnt vmcnt(11)
	v_lshrrev_b32_e32 v55, 4, v72
	v_lshlrev_b32_e32 v60, 4, v53
	v_lshlrev_b32_e32 v61, 11, v53
	v_lshrrev_b32_e32 v62, 12, v53
	v_lshrrev_b32_e32 v63, 5, v53
	v_and_b32_e32 v56, 0xf0f0f0f, v72
	v_and_b32_e32 v55, 0xf0f0f0f, v55
	v_lshlrev_b32_e32 v64, 2, v53
	v_lshlrev_b32_e32 v65, 18, v53
	;; [unrolled: 1-line block ×4, first 2 shown]
	v_and_b32_e32 v62, 16, v62
	v_and_b32_e32 v60, 16, v60
	;; [unrolled: 1-line block ×4, first 2 shown]
	s_waitcnt vmcnt(10)
	v_lshrrev_b32_e32 v58, 4, v73
	v_lshlrev_b32_e32 v67, 4, v57
	v_lshlrev_b32_e32 v70, 11, v57
	v_lshrrev_b32_e32 v71, 12, v57
	v_lshrrev_b32_e32 v72, 5, v57
	v_and_b32_e32 v65, 0x100000, v65
	v_and_b32_e32 v64, 0x100000, v64
	;; [unrolled: 1-line block ×4, first 2 shown]
	v_or3_b32 v56, v60, v56, v61
	v_or3_b32 v55, v62, v55, v63
	v_and_b32_e32 v59, 0xf0f0f0f, v73
	v_and_b32_e32 v58, 0xf0f0f0f, v58
	v_lshlrev_b32_e32 v73, 2, v57
	v_lshlrev_b32_e32 v82, 18, v57
	;; [unrolled: 1-line block ×4, first 2 shown]
	v_and_b32_e32 v71, 16, v71
	v_and_b32_e32 v67, 16, v67
	v_and_b32_e32 v72, 0x1000, v72
	v_and_b32_e32 v70, 0x1000, v70
	v_or3_b32 v55, v55, v64, v66
	v_or3_b32 v53, v56, v65, v53
	v_and_b32_e32 v82, 0x100000, v82
	v_and_b32_e32 v73, 0x100000, v73
	;; [unrolled: 1-line block ×3, first 2 shown]
	v_or3_b32 v59, v67, v59, v70
	v_or3_b32 v58, v71, v58, v72
	ds_write2_b32 v93, v53, v55 offset1:1
	v_and_b32_e32 v53, 0x10000000, v83
	v_or3_b32 v53, v58, v73, v53
	v_or3_b32 v55, v59, v82, v57
	ds_write2_b32 v94, v55, v53 offset1:1
	v_ashrrev_i32_e32 v53, v2, v69
	v_lshlrev_b32_e32 v55, 4, v53
	v_lshlrev_b32_e32 v56, 11, v53
	s_waitcnt vmcnt(9)
	v_lshrrev_b32_e32 v57, 4, v74
	v_lshrrev_b32_e32 v58, 12, v53
	;; [unrolled: 1-line block ×3, first 2 shown]
	v_and_b32_e32 v57, 0xf0f0f0f, v57
	v_and_b32_e32 v60, 0xf0f0f0f, v74
	;; [unrolled: 1-line block ×6, first 2 shown]
	v_or3_b32 v55, v55, v60, v56
	v_or3_b32 v56, v58, v57, v59
	v_lshlrev_b32_e32 v57, 2, v53
	v_lshlrev_b32_e32 v58, 18, v53
	v_lshlrev_b32_e32 v59, 9, v53
	v_lshlrev_b32_e32 v53, 25, v53
	v_and_b32_e32 v58, 0x100000, v58
	v_and_b32_e32 v57, 0x100000, v57
	;; [unrolled: 1-line block ×4, first 2 shown]
	v_or3_b32 v56, v56, v57, v59
	v_or3_b32 v53, v55, v58, v53
	ds_write2_b32 v95, v53, v56 offset1:1
	v_ashrrev_i32_e32 v53, v2, v68
	v_lshlrev_b32_e32 v55, 4, v53
	v_lshlrev_b32_e32 v56, 11, v53
	s_waitcnt vmcnt(8)
	v_lshrrev_b32_e32 v57, 4, v75
	v_lshrrev_b32_e32 v58, 12, v53
	v_lshrrev_b32_e32 v59, 5, v53
	v_and_b32_e32 v57, 0xf0f0f0f, v57
	v_and_b32_e32 v60, 0xf0f0f0f, v75
	;; [unrolled: 1-line block ×6, first 2 shown]
	v_or3_b32 v55, v55, v60, v56
	v_or3_b32 v56, v58, v57, v59
	v_lshlrev_b32_e32 v57, 2, v53
	v_lshlrev_b32_e32 v58, 18, v53
	;; [unrolled: 1-line block ×4, first 2 shown]
	v_and_b32_e32 v58, 0x100000, v58
	v_and_b32_e32 v57, 0x100000, v57
	;; [unrolled: 1-line block ×4, first 2 shown]
	v_or3_b32 v56, v56, v57, v59
	v_or3_b32 v53, v55, v58, v53
	s_waitcnt vmcnt(0)
	v_ashrrev_i32_e32 v52, v2, v52
	ds_write2_b32 v96, v53, v56 offset1:1
	v_lshlrev_b32_e32 v53, 4, v52
	v_lshlrev_b32_e32 v55, 11, v52
	v_lshrrev_b32_e32 v56, 4, v54
	v_and_b32_e32 v54, 0xf0f0f0f, v54
	v_and_b32_e32 v53, 16, v53
	;; [unrolled: 1-line block ×3, first 2 shown]
	v_lshrrev_b32_e32 v57, 12, v52
	v_lshrrev_b32_e32 v58, 5, v52
	v_or3_b32 v68, v53, v54, v55
	v_lshlrev_b32_e32 v53, 2, v52
	v_lshlrev_b32_e32 v54, 18, v52
	;; [unrolled: 1-line block ×4, first 2 shown]
	v_and_b32_e32 v56, 0xf0f0f0f, v56
	v_and_b32_e32 v57, 16, v57
	;; [unrolled: 1-line block ×5, first 2 shown]
	v_mad_u64_u32 v[52:53], s[14:15], v20, 24, v[50:51]
	v_mad_u64_u32 v[64:65], s[14:15], v26, 24, v[50:51]
	v_or3_b32 v69, v57, v56, v58
	v_and_b32_e32 v70, 0x100000, v54
	v_lshl_add_u64 v[54:55], v[52:53], 0, v[2:3]
	v_mad_u64_u32 v[56:57], s[14:15], v22, 24, v[50:51]
	v_mad_u64_u32 v[60:61], s[14:15], v24, 24, v[50:51]
	v_lshl_add_u64 v[66:67], v[64:65], 0, v[2:3]
	v_lshl_add_u64 v[58:59], v[56:57], 0, v[2:3]
	;; [unrolled: 1-line block ×3, first 2 shown]
	global_load_dword v66, v[66:67], off offset:8
	s_nop 0
	global_load_dword v67, v[64:65], off offset:4
	global_load_dword v74, v[62:63], off offset:8
	;; [unrolled: 1-line block ×5, first 2 shown]
	s_nop 0
	global_load_dword v54, v[54:55], off offset:8
	s_nop 0
	global_load_dword v52, v[52:53], off offset:4
	v_and_b32_e32 v53, 0x10000000, v72
	v_or3_b32 v53, v69, v71, v53
	v_or3_b32 v55, v68, v70, v73
	ds_write2_b32 v97, v55, v53 offset1:1
	v_ashrrev_i32_e32 v53, v2, v81
	v_lshlrev_b32_e32 v55, 4, v53
	v_lshlrev_b32_e32 v56, 11, v53
	v_lshrrev_b32_e32 v57, 4, v80
	v_lshrrev_b32_e32 v58, 12, v53
	v_lshrrev_b32_e32 v59, 5, v53
	v_and_b32_e32 v57, 0xf0f0f0f, v57
	v_and_b32_e32 v60, 0xf0f0f0f, v80
	v_and_b32_e32 v58, 16, v58
	v_and_b32_e32 v55, 16, v55
	v_and_b32_e32 v59, 0x1000, v59
	v_and_b32_e32 v56, 0x1000, v56
	v_or3_b32 v55, v55, v60, v56
	v_or3_b32 v56, v58, v57, v59
	v_lshlrev_b32_e32 v57, 2, v53
	v_lshlrev_b32_e32 v58, 18, v53
	v_lshlrev_b32_e32 v59, 9, v53
	v_lshlrev_b32_e32 v53, 25, v53
	v_and_b32_e32 v58, 0x100000, v58
	v_and_b32_e32 v57, 0x100000, v57
	v_and_b32_e32 v53, 0x10000000, v53
	v_and_b32_e32 v59, 0x10000000, v59
	v_or3_b32 v56, v56, v57, v59
	v_or3_b32 v53, v55, v58, v53
	ds_write2_b32 v98, v53, v56 offset1:1
	v_ashrrev_i32_e32 v53, v2, v79
	v_lshlrev_b32_e32 v55, 4, v53
	v_lshlrev_b32_e32 v56, 11, v53
	v_lshrrev_b32_e32 v57, 4, v78
	v_lshrrev_b32_e32 v58, 12, v53
	v_lshrrev_b32_e32 v59, 5, v53
	v_and_b32_e32 v57, 0xf0f0f0f, v57
	v_and_b32_e32 v60, 0xf0f0f0f, v78
	v_and_b32_e32 v58, 16, v58
	v_and_b32_e32 v55, 16, v55
	v_and_b32_e32 v59, 0x1000, v59
	v_and_b32_e32 v56, 0x1000, v56
	v_or3_b32 v55, v55, v60, v56
	v_or3_b32 v56, v58, v57, v59
	v_lshlrev_b32_e32 v57, 2, v53
	v_lshlrev_b32_e32 v58, 18, v53
	v_lshlrev_b32_e32 v59, 9, v53
	v_lshlrev_b32_e32 v53, 25, v53
	v_and_b32_e32 v58, 0x100000, v58
	v_and_b32_e32 v57, 0x100000, v57
	v_and_b32_e32 v53, 0x10000000, v53
	;; [unrolled: 25-line block ×3, first 2 shown]
	v_and_b32_e32 v59, 0x10000000, v59
	v_or3_b32 v56, v56, v57, v59
	v_or3_b32 v53, v55, v58, v53
	ds_write2_b32 v100, v53, v56 offset1:1
	s_waitcnt vmcnt(0)
	v_ashrrev_i32_e32 v52, v2, v52
	v_lshlrev_b32_e32 v53, 4, v52
	v_lshlrev_b32_e32 v55, 11, v52
	v_lshrrev_b32_e32 v56, 4, v54
	v_lshrrev_b32_e32 v57, 12, v52
	;; [unrolled: 1-line block ×3, first 2 shown]
	v_and_b32_e32 v54, 0xf0f0f0f, v54
	v_and_b32_e32 v53, 16, v53
	;; [unrolled: 1-line block ×6, first 2 shown]
	v_or3_b32 v68, v53, v54, v55
	v_lshlrev_b32_e32 v53, 2, v52
	v_lshlrev_b32_e32 v54, 18, v52
	;; [unrolled: 1-line block ×4, first 2 shown]
	v_or3_b32 v69, v57, v56, v58
	v_and_b32_e32 v71, 0x100000, v53
	v_and_b32_e32 v73, 0x10000000, v52
	v_mad_u64_u32 v[52:53], s[14:15], v28, 24, v[50:51]
	v_mad_u64_u32 v[56:57], s[14:15], v30, 24, v[50:51]
	;; [unrolled: 1-line block ×4, first 2 shown]
	v_and_b32_e32 v70, 0x100000, v54
	v_lshl_add_u64 v[54:55], v[52:53], 0, v[2:3]
	v_lshl_add_u64 v[64:65], v[50:51], 0, v[2:3]
	;; [unrolled: 1-line block ×4, first 2 shown]
	global_load_dword v76, v[64:65], off offset:8
	global_load_dword v77, v[50:51], off offset:4
	;; [unrolled: 1-line block ×4, first 2 shown]
	s_nop 0
	global_load_dword v50, v[58:59], off offset:8
	global_load_dword v51, v[56:57], off offset:4
	s_nop 0
	global_load_dword v54, v[54:55], off offset:8
	s_nop 0
	global_load_dword v52, v[52:53], off offset:4
	v_and_b32_e32 v53, 0x10000000, v72
	v_or3_b32 v53, v69, v71, v53
	v_or3_b32 v55, v68, v70, v73
	ds_write2_b32 v102, v55, v53 offset1:1
	v_ashrrev_i32_e32 v53, v2, v83
	v_lshlrev_b32_e32 v55, 4, v53
	v_lshlrev_b32_e32 v56, 11, v53
	v_lshrrev_b32_e32 v57, 4, v82
	v_lshrrev_b32_e32 v58, 12, v53
	v_lshrrev_b32_e32 v59, 5, v53
	v_and_b32_e32 v57, 0xf0f0f0f, v57
	v_and_b32_e32 v60, 0xf0f0f0f, v82
	v_and_b32_e32 v58, 16, v58
	v_and_b32_e32 v55, 16, v55
	v_and_b32_e32 v59, 0x1000, v59
	v_and_b32_e32 v56, 0x1000, v56
	v_or3_b32 v55, v55, v60, v56
	v_or3_b32 v56, v58, v57, v59
	v_lshlrev_b32_e32 v57, 2, v53
	v_lshlrev_b32_e32 v58, 18, v53
	v_lshlrev_b32_e32 v59, 9, v53
	v_lshlrev_b32_e32 v53, 25, v53
	v_and_b32_e32 v58, 0x100000, v58
	v_and_b32_e32 v57, 0x100000, v57
	v_and_b32_e32 v53, 0x10000000, v53
	v_and_b32_e32 v59, 0x10000000, v59
	v_or3_b32 v56, v56, v57, v59
	v_or3_b32 v53, v55, v58, v53
	ds_write2_b32 v103, v53, v56 offset1:1
	v_ashrrev_i32_e32 v53, v2, v75
	v_lshlrev_b32_e32 v55, 4, v53
	v_lshlrev_b32_e32 v56, 11, v53
	v_lshrrev_b32_e32 v57, 4, v74
	v_lshrrev_b32_e32 v58, 12, v53
	v_lshrrev_b32_e32 v59, 5, v53
	v_and_b32_e32 v57, 0xf0f0f0f, v57
	v_and_b32_e32 v60, 0xf0f0f0f, v74
	v_and_b32_e32 v58, 16, v58
	v_and_b32_e32 v55, 16, v55
	v_and_b32_e32 v59, 0x1000, v59
	v_and_b32_e32 v56, 0x1000, v56
	v_or3_b32 v55, v55, v60, v56
	v_or3_b32 v56, v58, v57, v59
	v_lshlrev_b32_e32 v57, 2, v53
	v_lshlrev_b32_e32 v58, 18, v53
	v_lshlrev_b32_e32 v59, 9, v53
	v_lshlrev_b32_e32 v53, 25, v53
	v_and_b32_e32 v58, 0x100000, v58
	v_and_b32_e32 v57, 0x100000, v57
	v_and_b32_e32 v53, 0x10000000, v53
	;; [unrolled: 25-line block ×3, first 2 shown]
	v_and_b32_e32 v59, 0x10000000, v59
	v_or3_b32 v56, v56, v57, v59
	v_or3_b32 v53, v55, v58, v53
	ds_write2_b32 v105, v53, v56 offset1:1
	s_waitcnt vmcnt(0)
	v_ashrrev_i32_e32 v52, v2, v52
	v_lshlrev_b32_e32 v53, 4, v52
	v_lshlrev_b32_e32 v55, 11, v52
	v_lshrrev_b32_e32 v56, 4, v54
	v_lshrrev_b32_e32 v57, 12, v52
	;; [unrolled: 1-line block ×3, first 2 shown]
	v_and_b32_e32 v56, 0xf0f0f0f, v56
	v_and_b32_e32 v54, 0xf0f0f0f, v54
	;; [unrolled: 1-line block ×6, first 2 shown]
	v_or3_b32 v53, v53, v54, v55
	v_or3_b32 v54, v57, v56, v58
	v_lshlrev_b32_e32 v55, 2, v52
	v_lshlrev_b32_e32 v56, 18, v52
	;; [unrolled: 1-line block ×4, first 2 shown]
	v_and_b32_e32 v56, 0x100000, v56
	v_and_b32_e32 v55, 0x100000, v55
	;; [unrolled: 1-line block ×4, first 2 shown]
	v_ashrrev_i32_e32 v66, v2, v51
	v_lshrrev_b32_e32 v51, 4, v50
	v_or3_b32 v54, v54, v55, v57
	v_or3_b32 v52, v53, v56, v52
	v_and_b32_e32 v71, 0xf0f0f0f, v51
	v_and_b32_e32 v72, 0xf0f0f0f, v50
	v_mad_u64_u32 v[50:51], s[0:1], v36, 24, s[0:1]
	ds_write2_b32 v106, v52, v54 offset1:1
	v_mad_u64_u32 v[52:53], s[0:1], v38, 24, v[50:51]
	v_mad_u64_u32 v[54:55], s[0:1], v40, 24, v[50:51]
	;; [unrolled: 1-line block ×4, first 2 shown]
	v_add_u32_e32 v64, s9, v111
	global_load_dword v73, v[52:53], off
	global_load_dword v74, v[54:55], off
	;; [unrolled: 1-line block ×4, first 2 shown]
	v_add_u32_e32 v50, v64, v114
	v_add_u32_e32 v52, v64, v116
	;; [unrolled: 1-line block ×5, first 2 shown]
	v_mad_i64_i32 v[50:51], s[0:1], v50, 36, v[46:47]
	v_mad_i64_i32 v[52:53], s[0:1], v52, 36, v[46:47]
	;; [unrolled: 1-line block ×5, first 2 shown]
	v_add_u32_e32 v60, v64, v124
	v_add_u32_e32 v62, v64, v126
	;; [unrolled: 1-line block ×3, first 2 shown]
	v_mad_i64_i32 v[60:61], s[0:1], v60, 36, v[46:47]
	v_mad_i64_i32 v[62:63], s[0:1], v62, 36, v[46:47]
	;; [unrolled: 1-line block ×3, first 2 shown]
	global_load_dword v81, v[50:51], off offset:4
	s_nop 0
	global_load_dword v52, v[52:53], off offset:4
	s_nop 0
	;; [unrolled: 2-line block ×3, first 2 shown]
	global_load_dword v54, v[56:57], off offset:4
	global_load_dword v55, v[58:59], off offset:4
	s_nop 0
	global_load_dword v56, v[60:61], off offset:4
	global_load_dword v57, v[62:63], off offset:4
	global_load_dword v58, v[64:65], off offset:4
	v_mad_u64_u32 v[50:51], s[0:1], v147, 36, s[2:3]
	global_load_dword v50, v[50:51], off
	v_lshlrev_b32_e32 v67, 4, v66
	v_lshlrev_b32_e32 v68, 11, v66
	v_lshrrev_b32_e32 v69, 12, v66
	v_lshrrev_b32_e32 v70, 5, v66
	v_and_b32_e32 v51, 16, v69
	v_and_b32_e32 v59, 16, v67
	;; [unrolled: 1-line block ×4, first 2 shown]
	v_or3_b32 v59, v59, v72, v61
	v_or3_b32 v51, v51, v71, v60
	v_lshlrev_b32_e32 v60, 2, v66
	v_lshlrev_b32_e32 v61, 18, v66
	v_lshlrev_b32_e32 v62, 9, v66
	v_lshlrev_b32_e32 v63, 25, v66
	v_and_b32_e32 v61, 0x100000, v61
	v_and_b32_e32 v60, 0x100000, v60
	;; [unrolled: 1-line block ×4, first 2 shown]
	v_or3_b32 v51, v51, v60, v62
	v_or3_b32 v59, v59, v61, v63
	ds_write2_b32 v107, v59, v51 offset1:1
	v_ashrrev_i32_e32 v51, v2, v79
	v_lshlrev_b32_e32 v59, 4, v51
	v_lshlrev_b32_e32 v60, 11, v51
	v_lshrrev_b32_e32 v61, 4, v78
	v_lshrrev_b32_e32 v62, 12, v51
	;; [unrolled: 1-line block ×3, first 2 shown]
	v_and_b32_e32 v61, 0xf0f0f0f, v61
	v_and_b32_e32 v64, 0xf0f0f0f, v78
	;; [unrolled: 1-line block ×6, first 2 shown]
	v_or3_b32 v59, v59, v64, v60
	v_or3_b32 v60, v62, v61, v63
	v_lshlrev_b32_e32 v61, 2, v51
	v_lshlrev_b32_e32 v62, 18, v51
	;; [unrolled: 1-line block ×4, first 2 shown]
	v_and_b32_e32 v62, 0x100000, v62
	v_and_b32_e32 v61, 0x100000, v61
	;; [unrolled: 1-line block ×4, first 2 shown]
	v_or3_b32 v60, v60, v61, v63
	v_or3_b32 v51, v59, v62, v51
	ds_write2_b32 v108, v51, v60 offset1:1
	v_ashrrev_i32_e32 v51, v2, v77
	v_lshlrev_b32_e32 v59, 4, v51
	v_lshlrev_b32_e32 v60, 11, v51
	v_lshrrev_b32_e32 v61, 4, v76
	v_lshrrev_b32_e32 v62, 12, v51
	;; [unrolled: 1-line block ×3, first 2 shown]
	v_and_b32_e32 v61, 0xf0f0f0f, v61
	v_and_b32_e32 v64, 0xf0f0f0f, v76
	;; [unrolled: 1-line block ×6, first 2 shown]
	v_or3_b32 v59, v59, v64, v60
	v_or3_b32 v60, v62, v61, v63
	v_lshlrev_b32_e32 v61, 2, v51
	v_lshlrev_b32_e32 v62, 18, v51
	;; [unrolled: 1-line block ×4, first 2 shown]
	v_and_b32_e32 v62, 0x100000, v62
	v_and_b32_e32 v61, 0x100000, v61
	;; [unrolled: 1-line block ×4, first 2 shown]
	v_or3_b32 v60, v60, v61, v63
	v_or3_b32 v51, v59, v62, v51
	s_mov_b32 s0, -4
	ds_write2_b32 v109, v51, v60 offset1:1
	s_waitcnt vmcnt(12)
	ds_write_b32 v143, v73
	s_waitcnt vmcnt(11)
	ds_write_b32 v144, v74
	;; [unrolled: 2-line block ×13, first 2 shown]
	s_waitcnt lgkmcnt(0)
	s_barrier
.LBB163_7:                              ;   Parent Loop BB163_6 Depth=1
                                        ; =>  This Inner Loop Header: Depth=2
	ds_read_b128 v[160:163], v149
	ds_read_b128 v[164:167], v149 offset:16
	ds_read2_b32 v[82:83], v148 offset1:32
	ds_read_b32 v155, v151
	ds_read2_b32 v[50:51], v150 offset1:1
	ds_read2_b32 v[54:55], v150 offset0:2 offset1:3
	ds_read2_b32 v[56:57], v150 offset0:4 offset1:5
	;; [unrolled: 1-line block ×3, first 2 shown]
	v_mov_b32_e32 v52, 0
	s_waitcnt lgkmcnt(3)
	v_dot4c_i32_i8_e32 v52, v50, v160
	v_dot4c_i32_i8_e32 v52, v51, v164
	s_waitcnt lgkmcnt(2)
	v_dot4c_i32_i8_e32 v52, v54, v161
	v_dot4c_i32_i8_e32 v52, v55, v165
	;; [unrolled: 3-line block ×4, first 2 shown]
	v_pk_mul_f16 v53, v82, v155
	v_add_u32_e32 v58, 0x2088, v150
	v_add_u32_e32 v63, 0x2090, v150
	v_cvt_f32_i32_e32 v52, v52
	v_mov_b32_e32 v62, 0
	v_add_u32_e32 v66, 0x4108, v150
	v_add_u32_e32 v70, 0x4110, v150
	v_fma_mix_f32 v52, v53, v52, v53 op_sel:[0,0,1] op_sel_hi:[1,0,1]
	v_mov_b32_e32 v72, 0
	v_add_f32_e32 v112, v112, v52
	v_add_u32_e32 v52, 0x2080, v150
	ds_read_b32 v156, v152
	ds_read2_b32 v[52:53], v52 offset1:1
	ds_read2_b32 v[58:59], v58 offset1:1
	ds_read2_b32 v[64:65], v63 offset1:1
	v_add_u32_e32 v63, 0x2098, v150
	ds_read2_b32 v[68:69], v63 offset1:1
	s_waitcnt lgkmcnt(3)
	v_dot4c_i32_i8_e32 v62, v52, v160
	v_dot4c_i32_i8_e32 v62, v53, v164
	s_waitcnt lgkmcnt(2)
	v_dot4c_i32_i8_e32 v62, v58, v161
	v_dot4c_i32_i8_e32 v62, v59, v165
	;; [unrolled: 3-line block ×4, first 2 shown]
	v_pk_mul_f16 v63, v82, v156
	v_add_u32_e32 v73, 0x4118, v150
	v_add_u32_e32 v76, 0x6188, v150
	v_cvt_f32_i32_e32 v62, v62
	v_add_u32_e32 v78, 0x6190, v150
	v_mov_b32_e32 v159, 0
	v_add_u32_e32 v80, 0x6198, v150
	v_fma_mix_f32 v62, v63, v62, v63 op_sel:[0,0,1] op_sel_hi:[1,0,1]
	s_add_i32 s0, s0, 4
	v_add_f32_e32 v110, v110, v62
	v_add_u32_e32 v62, 0x4100, v150
	ds_read_b32 v157, v153
	ds_read2_b32 v[62:63], v62 offset1:1
	ds_read2_b32 v[66:67], v66 offset1:1
	;; [unrolled: 1-line block ×4, first 2 shown]
	s_waitcnt lgkmcnt(4)
	v_pk_mul_f16 v73, v82, v157
	s_waitcnt lgkmcnt(3)
	v_dot4c_i32_i8_e32 v72, v62, v160
	v_dot4c_i32_i8_e32 v72, v63, v164
	s_waitcnt lgkmcnt(2)
	v_dot4c_i32_i8_e32 v72, v66, v161
	v_dot4c_i32_i8_e32 v72, v67, v165
	;; [unrolled: 3-line block ×4, first 2 shown]
	v_add_u32_e32 v153, 4, v153
	v_add_u32_e32 v152, 4, v152
	;; [unrolled: 1-line block ×3, first 2 shown]
	v_cvt_f32_i32_e32 v72, v72
	s_cmp_lt_u32 s0, 12
	v_fma_mix_f32 v72, v73, v72, v73 op_sel:[0,0,1] op_sel_hi:[1,0,1]
	s_nop 0
	v_add_f32_e32 v101, v101, v72
	v_add_u32_e32 v72, 0x6180, v150
	ds_read_b32 v158, v154
	ds_read2_b32 v[72:73], v72 offset1:1
	ds_read2_b32 v[76:77], v76 offset1:1
	;; [unrolled: 1-line block ×4, first 2 shown]
	s_waitcnt lgkmcnt(4)
	v_pk_mul_f16 v82, v82, v158
	s_waitcnt lgkmcnt(3)
	v_dot4c_i32_i8_e32 v159, v72, v160
	v_dot4c_i32_i8_e32 v159, v73, v164
	s_waitcnt lgkmcnt(2)
	v_dot4c_i32_i8_e32 v159, v76, v161
	v_dot4c_i32_i8_e32 v159, v77, v165
	s_waitcnt lgkmcnt(1)
	v_dot4c_i32_i8_e32 v159, v78, v162
	v_dot4c_i32_i8_e32 v159, v79, v166
	s_waitcnt lgkmcnt(0)
	v_dot4c_i32_i8_e32 v159, v80, v163
	v_dot4c_i32_i8_e32 v159, v81, v167
	ds_read_b128 v[160:163], v149 offset:1024
	ds_read_b128 v[164:167], v149 offset:1040
	v_add_u32_e32 v154, 4, v154
	v_cvt_f32_i32_e32 v159, v159
	v_add_u32_e32 v150, 32, v150
	v_fma_mix_f32 v82, v82, v159, v82 op_sel:[0,0,1] op_sel_hi:[1,0,1]
	s_nop 0
	v_add_f32_e32 v92, v92, v82
	v_mov_b32_e32 v82, 0
	s_waitcnt lgkmcnt(1)
	v_dot4c_i32_i8_e32 v82, v50, v160
	s_waitcnt lgkmcnt(0)
	v_dot4c_i32_i8_e32 v82, v51, v164
	v_dot4c_i32_i8_e32 v82, v54, v161
	;; [unrolled: 1-line block ×7, first 2 shown]
	v_pk_mul_f16 v159, v155, v83
	s_nop 1
	v_cvt_f32_i32_e32 v82, v82
	v_fma_mix_f32 v82, v82, v159, v159 op_sel:[0,0,1] op_sel_hi:[0,1,1]
	v_add_f32_e32 v91, v91, v82
	v_mov_b32_e32 v82, 0
	v_dot4c_i32_i8_e32 v82, v52, v160
	v_dot4c_i32_i8_e32 v82, v53, v164
	;; [unrolled: 1-line block ×8, first 2 shown]
	v_pk_mul_f16 v159, v156, v83
	s_nop 1
	v_cvt_f32_i32_e32 v82, v82
	v_fma_mix_f32 v82, v82, v159, v159 op_sel:[0,0,1] op_sel_hi:[0,1,1]
	v_add_f32_e32 v90, v90, v82
	v_mov_b32_e32 v82, 0
	v_dot4c_i32_i8_e32 v82, v62, v160
	v_dot4c_i32_i8_e32 v82, v63, v164
	;; [unrolled: 1-line block ×8, first 2 shown]
	v_pk_mul_f16 v159, v157, v83
	v_pk_mul_f16 v83, v158, v83
	s_nop 0
	v_cvt_f32_i32_e32 v82, v82
	v_fma_mix_f32 v82, v82, v159, v159 op_sel:[0,0,1] op_sel_hi:[0,1,1]
	v_add_f32_e32 v88, v88, v82
	v_mov_b32_e32 v82, 0
	v_dot4c_i32_i8_e32 v82, v72, v160
	v_dot4c_i32_i8_e32 v82, v73, v164
	v_dot4c_i32_i8_e32 v82, v76, v161
	v_dot4c_i32_i8_e32 v82, v77, v165
	v_dot4c_i32_i8_e32 v82, v78, v162
	v_dot4c_i32_i8_e32 v82, v79, v166
	v_dot4c_i32_i8_e32 v82, v80, v163
	v_dot4c_i32_i8_e32 v82, v81, v167
	v_mov_b32_e32 v159, 0
	s_nop 1
	v_cvt_f32_i32_e32 v82, v82
	v_fma_mix_f32 v82, v82, v83, v83 op_sel:[0,0,1] op_sel_hi:[0,1,1]
	v_add_f32_e32 v87, v87, v82
	ds_read_b128 v[160:163], v149 offset:2048
	ds_read_b128 v[164:167], v149 offset:2064
	ds_read2_b32 v[82:83], v148 offset0:64 offset1:96
	s_waitcnt lgkmcnt(2)
	v_dot4c_i32_i8_e32 v159, v50, v160
	s_waitcnt lgkmcnt(1)
	v_dot4c_i32_i8_e32 v159, v51, v164
	v_dot4c_i32_i8_e32 v159, v54, v161
	;; [unrolled: 1-line block ×7, first 2 shown]
	s_waitcnt lgkmcnt(0)
	v_pk_mul_f16 v168, v155, v82
	s_nop 0
	v_cvt_f32_i32_e32 v159, v159
	v_fma_mix_f32 v159, v159, v168, v168 op_sel:[0,0,1] op_sel_hi:[0,1,1]
	v_add_f32_e32 v86, v86, v159
	v_mov_b32_e32 v159, 0
	v_dot4c_i32_i8_e32 v159, v52, v160
	v_dot4c_i32_i8_e32 v159, v53, v164
	v_dot4c_i32_i8_e32 v159, v58, v161
	v_dot4c_i32_i8_e32 v159, v59, v165
	v_dot4c_i32_i8_e32 v159, v64, v162
	v_dot4c_i32_i8_e32 v159, v65, v166
	v_dot4c_i32_i8_e32 v159, v68, v163
	v_dot4c_i32_i8_e32 v159, v69, v167
	v_pk_mul_f16 v168, v156, v82
	s_nop 1
	v_cvt_f32_i32_e32 v159, v159
	v_fma_mix_f32 v159, v159, v168, v168 op_sel:[0,0,1] op_sel_hi:[0,1,1]
	v_add_f32_e32 v49, v49, v159
	v_mov_b32_e32 v159, 0
	v_dot4c_i32_i8_e32 v159, v62, v160
	v_dot4c_i32_i8_e32 v159, v63, v164
	;; [unrolled: 1-line block ×8, first 2 shown]
	v_pk_mul_f16 v168, v157, v82
	v_pk_mul_f16 v82, v158, v82
	s_nop 0
	v_cvt_f32_i32_e32 v159, v159
	v_fma_mix_f32 v159, v159, v168, v168 op_sel:[0,0,1] op_sel_hi:[0,1,1]
	v_add_f32_e32 v45, v45, v159
	v_mov_b32_e32 v159, 0
	v_dot4c_i32_i8_e32 v159, v72, v160
	v_dot4c_i32_i8_e32 v159, v73, v164
	;; [unrolled: 1-line block ×8, first 2 shown]
	ds_read_b128 v[160:163], v149 offset:3072
	ds_read_b128 v[164:167], v149 offset:3088
	s_nop 0
	v_cvt_f32_i32_e32 v159, v159
	v_fma_mix_f32 v82, v159, v82, v82 op_sel:[0,0,1] op_sel_hi:[0,1,1]
	v_add_f32_e32 v43, v43, v82
	v_mov_b32_e32 v82, 0
	s_waitcnt lgkmcnt(1)
	v_dot4c_i32_i8_e32 v82, v50, v160
	s_waitcnt lgkmcnt(0)
	v_dot4c_i32_i8_e32 v82, v51, v164
	v_dot4c_i32_i8_e32 v82, v54, v161
	;; [unrolled: 1-line block ×7, first 2 shown]
	v_pk_mul_f16 v159, v155, v83
	s_nop 1
	v_cvt_f32_i32_e32 v82, v82
	v_fma_mix_f32 v82, v82, v159, v159 op_sel:[0,0,1] op_sel_hi:[0,1,1]
	v_add_f32_e32 v41, v41, v82
	v_mov_b32_e32 v82, 0
	v_dot4c_i32_i8_e32 v82, v52, v160
	v_dot4c_i32_i8_e32 v82, v53, v164
	;; [unrolled: 1-line block ×8, first 2 shown]
	v_pk_mul_f16 v159, v156, v83
	s_nop 1
	v_cvt_f32_i32_e32 v82, v82
	v_fma_mix_f32 v82, v82, v159, v159 op_sel:[0,0,1] op_sel_hi:[0,1,1]
	v_add_f32_e32 v39, v39, v82
	v_mov_b32_e32 v82, 0
	v_dot4c_i32_i8_e32 v82, v62, v160
	v_dot4c_i32_i8_e32 v82, v63, v164
	v_dot4c_i32_i8_e32 v82, v66, v161
	v_dot4c_i32_i8_e32 v82, v67, v165
	v_dot4c_i32_i8_e32 v82, v70, v162
	v_dot4c_i32_i8_e32 v82, v71, v166
	v_dot4c_i32_i8_e32 v82, v74, v163
	v_dot4c_i32_i8_e32 v82, v75, v167
	v_pk_mul_f16 v159, v157, v83
	v_pk_mul_f16 v83, v158, v83
	s_nop 0
	v_cvt_f32_i32_e32 v82, v82
	v_fma_mix_f32 v82, v82, v159, v159 op_sel:[0,0,1] op_sel_hi:[0,1,1]
	v_add_f32_e32 v37, v37, v82
	v_mov_b32_e32 v82, 0
	v_dot4c_i32_i8_e32 v82, v72, v160
	v_dot4c_i32_i8_e32 v82, v73, v164
	;; [unrolled: 1-line block ×8, first 2 shown]
	v_mov_b32_e32 v159, 0
	s_nop 1
	v_cvt_f32_i32_e32 v82, v82
	v_fma_mix_f32 v82, v82, v83, v83 op_sel:[0,0,1] op_sel_hi:[0,1,1]
	v_add_f32_e32 v35, v35, v82
	ds_read_b128 v[160:163], v149 offset:4096
	ds_read_b128 v[164:167], v149 offset:4112
	ds_read2_b32 v[82:83], v148 offset0:128 offset1:160
	s_waitcnt lgkmcnt(2)
	v_dot4c_i32_i8_e32 v159, v50, v160
	s_waitcnt lgkmcnt(1)
	v_dot4c_i32_i8_e32 v159, v51, v164
	v_dot4c_i32_i8_e32 v159, v54, v161
	;; [unrolled: 1-line block ×7, first 2 shown]
	s_waitcnt lgkmcnt(0)
	v_pk_mul_f16 v168, v155, v82
	s_nop 0
	v_cvt_f32_i32_e32 v159, v159
	v_fma_mix_f32 v159, v159, v168, v168 op_sel:[0,0,1] op_sel_hi:[0,1,1]
	v_add_f32_e32 v33, v33, v159
	v_mov_b32_e32 v159, 0
	v_dot4c_i32_i8_e32 v159, v52, v160
	v_dot4c_i32_i8_e32 v159, v53, v164
	;; [unrolled: 1-line block ×8, first 2 shown]
	v_pk_mul_f16 v168, v156, v82
	s_nop 1
	v_cvt_f32_i32_e32 v159, v159
	v_fma_mix_f32 v159, v159, v168, v168 op_sel:[0,0,1] op_sel_hi:[0,1,1]
	v_add_f32_e32 v31, v31, v159
	v_mov_b32_e32 v159, 0
	v_dot4c_i32_i8_e32 v159, v62, v160
	v_dot4c_i32_i8_e32 v159, v63, v164
	;; [unrolled: 1-line block ×8, first 2 shown]
	v_pk_mul_f16 v168, v157, v82
	v_pk_mul_f16 v82, v158, v82
	s_nop 0
	v_cvt_f32_i32_e32 v159, v159
	v_fma_mix_f32 v159, v159, v168, v168 op_sel:[0,0,1] op_sel_hi:[0,1,1]
	v_add_f32_e32 v29, v29, v159
	v_mov_b32_e32 v159, 0
	v_dot4c_i32_i8_e32 v159, v72, v160
	v_dot4c_i32_i8_e32 v159, v73, v164
	;; [unrolled: 1-line block ×8, first 2 shown]
	ds_read_b128 v[160:163], v149 offset:5120
	ds_read_b128 v[164:167], v149 offset:5136
	s_nop 0
	v_cvt_f32_i32_e32 v159, v159
	v_fma_mix_f32 v82, v159, v82, v82 op_sel:[0,0,1] op_sel_hi:[0,1,1]
	v_add_f32_e32 v27, v27, v82
	v_mov_b32_e32 v82, 0
	s_waitcnt lgkmcnt(1)
	v_dot4c_i32_i8_e32 v82, v50, v160
	s_waitcnt lgkmcnt(0)
	v_dot4c_i32_i8_e32 v82, v51, v164
	v_dot4c_i32_i8_e32 v82, v54, v161
	;; [unrolled: 1-line block ×7, first 2 shown]
	v_pk_mul_f16 v159, v155, v83
	s_nop 1
	v_cvt_f32_i32_e32 v82, v82
	v_fma_mix_f32 v82, v82, v159, v159 op_sel:[0,0,1] op_sel_hi:[0,1,1]
	v_add_f32_e32 v25, v25, v82
	v_mov_b32_e32 v82, 0
	v_dot4c_i32_i8_e32 v82, v52, v160
	v_dot4c_i32_i8_e32 v82, v53, v164
	;; [unrolled: 1-line block ×8, first 2 shown]
	v_pk_mul_f16 v159, v156, v83
	s_nop 1
	v_cvt_f32_i32_e32 v82, v82
	v_fma_mix_f32 v82, v82, v159, v159 op_sel:[0,0,1] op_sel_hi:[0,1,1]
	v_add_f32_e32 v23, v23, v82
	v_mov_b32_e32 v82, 0
	v_dot4c_i32_i8_e32 v82, v62, v160
	v_dot4c_i32_i8_e32 v82, v63, v164
	;; [unrolled: 1-line block ×8, first 2 shown]
	v_pk_mul_f16 v159, v157, v83
	v_pk_mul_f16 v83, v158, v83
	s_nop 0
	v_cvt_f32_i32_e32 v82, v82
	v_fma_mix_f32 v82, v82, v159, v159 op_sel:[0,0,1] op_sel_hi:[0,1,1]
	v_add_f32_e32 v21, v21, v82
	v_mov_b32_e32 v82, 0
	v_dot4c_i32_i8_e32 v82, v72, v160
	v_dot4c_i32_i8_e32 v82, v73, v164
	;; [unrolled: 1-line block ×8, first 2 shown]
	v_mov_b32_e32 v159, 0
	s_nop 1
	v_cvt_f32_i32_e32 v82, v82
	v_fma_mix_f32 v82, v82, v83, v83 op_sel:[0,0,1] op_sel_hi:[0,1,1]
	v_add_f32_e32 v19, v19, v82
	ds_read_b128 v[160:163], v149 offset:6144
	ds_read_b128 v[164:167], v149 offset:6160
	ds_read2_b32 v[82:83], v148 offset0:192 offset1:224
	v_add_u32_e32 v148, 4, v148
	s_waitcnt lgkmcnt(2)
	v_dot4c_i32_i8_e32 v159, v50, v160
	s_waitcnt lgkmcnt(1)
	v_dot4c_i32_i8_e32 v159, v51, v164
	v_dot4c_i32_i8_e32 v159, v54, v161
	;; [unrolled: 1-line block ×7, first 2 shown]
	s_waitcnt lgkmcnt(0)
	v_pk_mul_f16 v168, v155, v82
	s_nop 0
	v_cvt_f32_i32_e32 v159, v159
	v_fma_mix_f32 v159, v159, v168, v168 op_sel:[0,0,1] op_sel_hi:[0,1,1]
	v_add_f32_e32 v17, v17, v159
	v_mov_b32_e32 v159, 0
	v_dot4c_i32_i8_e32 v159, v52, v160
	v_dot4c_i32_i8_e32 v159, v53, v164
	;; [unrolled: 1-line block ×8, first 2 shown]
	v_pk_mul_f16 v168, v156, v82
	s_nop 1
	v_cvt_f32_i32_e32 v159, v159
	v_fma_mix_f32 v159, v159, v168, v168 op_sel:[0,0,1] op_sel_hi:[0,1,1]
	v_add_f32_e32 v15, v15, v159
	v_mov_b32_e32 v159, 0
	v_dot4c_i32_i8_e32 v159, v62, v160
	v_dot4c_i32_i8_e32 v159, v63, v164
	;; [unrolled: 1-line block ×8, first 2 shown]
	v_pk_mul_f16 v168, v157, v82
	v_pk_mul_f16 v82, v158, v82
	s_nop 0
	v_cvt_f32_i32_e32 v159, v159
	v_fma_mix_f32 v159, v159, v168, v168 op_sel:[0,0,1] op_sel_hi:[0,1,1]
	v_add_f32_e32 v13, v13, v159
	v_mov_b32_e32 v159, 0
	v_dot4c_i32_i8_e32 v159, v72, v160
	v_dot4c_i32_i8_e32 v159, v73, v164
	;; [unrolled: 1-line block ×8, first 2 shown]
	ds_read_b128 v[160:163], v149 offset:7168
	ds_read_b128 v[164:167], v149 offset:7184
	v_add_u32_e32 v149, 32, v149
	v_cvt_f32_i32_e32 v159, v159
	v_fma_mix_f32 v82, v159, v82, v82 op_sel:[0,0,1] op_sel_hi:[0,1,1]
	v_add_f32_e32 v11, v11, v82
	v_mov_b32_e32 v82, 0
	s_waitcnt lgkmcnt(1)
	v_dot4c_i32_i8_e32 v82, v50, v160
	s_waitcnt lgkmcnt(0)
	v_dot4c_i32_i8_e32 v82, v51, v164
	v_dot4c_i32_i8_e32 v82, v54, v161
	v_dot4c_i32_i8_e32 v82, v55, v165
	v_dot4c_i32_i8_e32 v82, v56, v162
	v_dot4c_i32_i8_e32 v82, v57, v166
	v_dot4c_i32_i8_e32 v82, v60, v163
	v_dot4c_i32_i8_e32 v82, v61, v167
	v_pk_mul_f16 v50, v155, v83
	s_nop 1
	v_cvt_f32_i32_e32 v51, v82
	v_fma_mix_f32 v50, v51, v50, v50 op_sel:[0,0,1] op_sel_hi:[0,1,1]
	v_add_f32_e32 v9, v9, v50
	v_mov_b32_e32 v50, 0
	v_dot4c_i32_i8_e32 v50, v52, v160
	v_dot4c_i32_i8_e32 v50, v53, v164
	v_dot4c_i32_i8_e32 v50, v58, v161
	v_dot4c_i32_i8_e32 v50, v59, v165
	v_dot4c_i32_i8_e32 v50, v64, v162
	v_dot4c_i32_i8_e32 v50, v65, v166
	v_dot4c_i32_i8_e32 v50, v68, v163
	v_dot4c_i32_i8_e32 v50, v69, v167
	v_pk_mul_f16 v51, v156, v83
	s_nop 1
	v_cvt_f32_i32_e32 v50, v50
	v_fma_mix_f32 v50, v50, v51, v51 op_sel:[0,0,1] op_sel_hi:[0,1,1]
	v_add_f32_e32 v7, v7, v50
	v_mov_b32_e32 v50, 0
	v_dot4c_i32_i8_e32 v50, v62, v160
	;; [unrolled: 14-line block ×3, first 2 shown]
	v_dot4c_i32_i8_e32 v50, v73, v164
	v_dot4c_i32_i8_e32 v50, v76, v161
	;; [unrolled: 1-line block ×7, first 2 shown]
	v_pk_mul_f16 v51, v158, v83
	s_nop 1
	v_cvt_f32_i32_e32 v50, v50
	v_fma_mix_f32 v50, v50, v51, v51 op_sel:[0,0,1] op_sel_hi:[0,1,1]
	v_add_f32_e32 v1, v1, v50
	s_cbranch_scc1 .LBB163_7
; %bb.8:                                ;   in Loop: Header=BB163_6 Depth=1
	s_or_b32 s0, s9, 4
	s_cmp_ge_i32 s0, s4
	s_barrier
	s_cbranch_scc1 .LBB163_5
; %bb.9:                                ;   in Loop: Header=BB163_6 Depth=1
	v_add_u32_e32 v64, s9, v131
	v_add_u32_e32 v50, v64, v114
	;; [unrolled: 1-line block ×6, first 2 shown]
	v_mad_i64_i32 v[50:51], s[0:1], v50, 36, v[46:47]
	v_mad_i64_i32 v[52:53], s[0:1], v52, 36, v[46:47]
	;; [unrolled: 1-line block ×5, first 2 shown]
	v_add_u32_e32 v60, v64, v124
	v_add_u32_e32 v62, v64, v126
	;; [unrolled: 1-line block ×3, first 2 shown]
	v_mad_i64_i32 v[60:61], s[0:1], v60, 36, v[46:47]
	v_mad_i64_i32 v[62:63], s[0:1], v62, 36, v[46:47]
	;; [unrolled: 1-line block ×3, first 2 shown]
	global_load_dword v66, v[50:51], off offset:4
	s_nop 0
	global_load_dword v52, v[52:53], off offset:4
	s_nop 0
	;; [unrolled: 2-line block ×3, first 2 shown]
	global_load_dword v54, v[56:57], off offset:4
	global_load_dword v55, v[58:59], off offset:4
	s_nop 0
	global_load_dword v56, v[60:61], off offset:4
                                        ; kill: killed $vgpr58_vgpr59
                                        ; kill: killed $vgpr60_vgpr61
	global_load_dword v57, v[62:63], off offset:4
	global_load_dword v58, v[64:65], off offset:4
	v_add_u32_e32 v50, 4, v147
	v_mad_u64_u32 v[50:51], s[0:1], v50, 36, s[2:3]
	global_load_dword v50, v[50:51], off
	s_mov_b32 s0, 12
	v_mov_b32_e32 v147, v137
	v_mov_b32_e32 v148, v136
	;; [unrolled: 1-line block ×7, first 2 shown]
	s_waitcnt vmcnt(8)
	ds_write_b32 v115, v66
	s_waitcnt vmcnt(7)
	ds_write_b32 v117, v52
	s_waitcnt vmcnt(6)
	ds_write_b32 v119, v53
	s_waitcnt vmcnt(5)
	ds_write_b32 v121, v54
	s_waitcnt vmcnt(4)
	ds_write_b32 v123, v55
	s_waitcnt vmcnt(3)
	ds_write_b32 v125, v56
	s_waitcnt vmcnt(2)
	ds_write_b32 v127, v57
	s_waitcnt vmcnt(1)
	ds_write_b32 v129, v58
	s_waitcnt vmcnt(0)
	ds_write_b32 v113, v50
	s_waitcnt lgkmcnt(0)
	s_barrier
.LBB163_10:                             ;   Parent Loop BB163_6 Depth=1
                                        ; =>  This Inner Loop Header: Depth=2
	ds_read_b128 v[158:161], v148
	ds_read_b128 v[162:165], v148 offset:16
	ds_read2_b32 v[82:83], v147 offset1:32
	ds_read_b32 v154, v150
	ds_read2_b32 v[50:51], v149 offset1:1
	ds_read2_b32 v[54:55], v149 offset0:2 offset1:3
	ds_read2_b32 v[56:57], v149 offset0:4 offset1:5
	;; [unrolled: 1-line block ×3, first 2 shown]
	v_mov_b32_e32 v52, 0
	s_waitcnt lgkmcnt(3)
	v_dot4c_i32_i8_e32 v52, v50, v158
	v_dot4c_i32_i8_e32 v52, v51, v162
	s_waitcnt lgkmcnt(2)
	v_dot4c_i32_i8_e32 v52, v54, v159
	v_dot4c_i32_i8_e32 v52, v55, v163
	;; [unrolled: 3-line block ×4, first 2 shown]
	v_pk_mul_f16 v53, v82, v154
	v_add_u32_e32 v58, 0x2088, v149
	v_add_u32_e32 v63, 0x2090, v149
	v_cvt_f32_i32_e32 v52, v52
	v_mov_b32_e32 v62, 0
	v_add_u32_e32 v66, 0x4108, v149
	v_add_u32_e32 v70, 0x4110, v149
	v_fma_mix_f32 v52, v53, v52, v53 op_sel:[0,0,1] op_sel_hi:[1,0,1]
	v_mov_b32_e32 v72, 0
	v_add_f32_e32 v112, v112, v52
	v_add_u32_e32 v52, 0x2080, v149
	ds_read_b32 v155, v151
	ds_read2_b32 v[52:53], v52 offset1:1
	ds_read2_b32 v[58:59], v58 offset1:1
	;; [unrolled: 1-line block ×3, first 2 shown]
	v_add_u32_e32 v63, 0x2098, v149
	ds_read2_b32 v[68:69], v63 offset1:1
	s_waitcnt lgkmcnt(3)
	v_dot4c_i32_i8_e32 v62, v52, v158
	v_dot4c_i32_i8_e32 v62, v53, v162
	s_waitcnt lgkmcnt(2)
	v_dot4c_i32_i8_e32 v62, v58, v159
	v_dot4c_i32_i8_e32 v62, v59, v163
	;; [unrolled: 3-line block ×4, first 2 shown]
	v_pk_mul_f16 v63, v82, v155
	v_add_u32_e32 v73, 0x4118, v149
	v_add_u32_e32 v76, 0x6188, v149
	v_cvt_f32_i32_e32 v62, v62
	v_add_u32_e32 v78, 0x6190, v149
	v_mov_b32_e32 v166, 0
	v_add_u32_e32 v80, 0x6198, v149
	v_fma_mix_f32 v62, v63, v62, v63 op_sel:[0,0,1] op_sel_hi:[1,0,1]
	s_add_i32 s0, s0, 4
	v_add_f32_e32 v110, v110, v62
	v_add_u32_e32 v62, 0x4100, v149
	ds_read_b32 v156, v152
	ds_read2_b32 v[62:63], v62 offset1:1
	ds_read2_b32 v[66:67], v66 offset1:1
	;; [unrolled: 1-line block ×4, first 2 shown]
	s_waitcnt lgkmcnt(4)
	v_pk_mul_f16 v73, v82, v156
	s_waitcnt lgkmcnt(3)
	v_dot4c_i32_i8_e32 v72, v62, v158
	v_dot4c_i32_i8_e32 v72, v63, v162
	s_waitcnt lgkmcnt(2)
	v_dot4c_i32_i8_e32 v72, v66, v159
	v_dot4c_i32_i8_e32 v72, v67, v163
	s_waitcnt lgkmcnt(1)
	v_dot4c_i32_i8_e32 v72, v70, v160
	v_dot4c_i32_i8_e32 v72, v71, v164
	s_waitcnt lgkmcnt(0)
	v_dot4c_i32_i8_e32 v72, v74, v161
	v_dot4c_i32_i8_e32 v72, v75, v165
	v_add_u32_e32 v152, 4, v152
	v_add_u32_e32 v151, 4, v151
	;; [unrolled: 1-line block ×3, first 2 shown]
	v_cvt_f32_i32_e32 v72, v72
	s_cmp_lt_u32 s0, 28
	v_fma_mix_f32 v72, v73, v72, v73 op_sel:[0,0,1] op_sel_hi:[1,0,1]
	s_nop 0
	v_add_f32_e32 v101, v101, v72
	v_add_u32_e32 v72, 0x6180, v149
	ds_read_b32 v157, v153
	ds_read2_b32 v[72:73], v72 offset1:1
	ds_read2_b32 v[76:77], v76 offset1:1
	;; [unrolled: 1-line block ×4, first 2 shown]
	s_waitcnt lgkmcnt(4)
	v_pk_mul_f16 v82, v82, v157
	s_waitcnt lgkmcnt(3)
	v_dot4c_i32_i8_e32 v166, v72, v158
	v_dot4c_i32_i8_e32 v166, v73, v162
	s_waitcnt lgkmcnt(2)
	v_dot4c_i32_i8_e32 v166, v76, v159
	v_dot4c_i32_i8_e32 v166, v77, v163
	;; [unrolled: 3-line block ×4, first 2 shown]
	v_add_u32_e32 v153, 4, v153
	v_add_u32_e32 v149, 32, v149
	s_nop 0
	v_cvt_f32_i32_e32 v158, v166
	v_pk_mul_f16 v166, v154, v83
	v_fma_mix_f32 v82, v82, v158, v82 op_sel:[0,0,1] op_sel_hi:[1,0,1]
	ds_read_b128 v[158:161], v148 offset:1024
	ds_read_b128 v[162:165], v148 offset:1040
	v_add_f32_e32 v92, v92, v82
	v_mov_b32_e32 v82, 0
	s_waitcnt lgkmcnt(1)
	v_dot4c_i32_i8_e32 v82, v50, v158
	s_waitcnt lgkmcnt(0)
	v_dot4c_i32_i8_e32 v82, v51, v162
	v_dot4c_i32_i8_e32 v82, v54, v159
	;; [unrolled: 1-line block ×7, first 2 shown]
	s_nop 2
	v_cvt_f32_i32_e32 v82, v82
	v_fma_mix_f32 v82, v82, v166, v166 op_sel:[0,0,1] op_sel_hi:[0,1,1]
	v_add_f32_e32 v91, v91, v82
	v_mov_b32_e32 v82, 0
	v_dot4c_i32_i8_e32 v82, v52, v158
	v_dot4c_i32_i8_e32 v82, v53, v162
	;; [unrolled: 1-line block ×8, first 2 shown]
	v_pk_mul_f16 v166, v155, v83
	s_nop 1
	v_cvt_f32_i32_e32 v82, v82
	v_fma_mix_f32 v82, v82, v166, v166 op_sel:[0,0,1] op_sel_hi:[0,1,1]
	v_add_f32_e32 v90, v90, v82
	v_mov_b32_e32 v82, 0
	v_dot4c_i32_i8_e32 v82, v62, v158
	v_dot4c_i32_i8_e32 v82, v63, v162
	;; [unrolled: 1-line block ×8, first 2 shown]
	v_pk_mul_f16 v166, v156, v83
	v_pk_mul_f16 v83, v157, v83
	s_nop 0
	v_cvt_f32_i32_e32 v82, v82
	v_fma_mix_f32 v82, v82, v166, v166 op_sel:[0,0,1] op_sel_hi:[0,1,1]
	v_add_f32_e32 v88, v88, v82
	v_mov_b32_e32 v82, 0
	v_dot4c_i32_i8_e32 v82, v72, v158
	v_dot4c_i32_i8_e32 v82, v73, v162
	v_dot4c_i32_i8_e32 v82, v76, v159
	v_dot4c_i32_i8_e32 v82, v77, v163
	v_dot4c_i32_i8_e32 v82, v78, v160
	v_dot4c_i32_i8_e32 v82, v79, v164
	v_dot4c_i32_i8_e32 v82, v80, v161
	v_dot4c_i32_i8_e32 v82, v81, v165
	v_mov_b32_e32 v166, 0
	s_nop 1
	v_cvt_f32_i32_e32 v82, v82
	v_fma_mix_f32 v82, v82, v83, v83 op_sel:[0,0,1] op_sel_hi:[0,1,1]
	v_add_f32_e32 v87, v87, v82
	ds_read_b128 v[158:161], v148 offset:2048
	ds_read_b128 v[162:165], v148 offset:2064
	ds_read2_b32 v[82:83], v147 offset0:64 offset1:96
	s_waitcnt lgkmcnt(2)
	v_dot4c_i32_i8_e32 v166, v50, v158
	s_waitcnt lgkmcnt(1)
	v_dot4c_i32_i8_e32 v166, v51, v162
	v_dot4c_i32_i8_e32 v166, v54, v159
	;; [unrolled: 1-line block ×7, first 2 shown]
	s_waitcnt lgkmcnt(0)
	v_pk_mul_f16 v167, v154, v82
	s_nop 0
	v_cvt_f32_i32_e32 v166, v166
	v_fma_mix_f32 v166, v166, v167, v167 op_sel:[0,0,1] op_sel_hi:[0,1,1]
	v_add_f32_e32 v86, v86, v166
	v_mov_b32_e32 v166, 0
	v_dot4c_i32_i8_e32 v166, v52, v158
	v_dot4c_i32_i8_e32 v166, v53, v162
	;; [unrolled: 1-line block ×8, first 2 shown]
	v_pk_mul_f16 v167, v155, v82
	s_nop 1
	v_cvt_f32_i32_e32 v166, v166
	v_fma_mix_f32 v166, v166, v167, v167 op_sel:[0,0,1] op_sel_hi:[0,1,1]
	v_add_f32_e32 v49, v49, v166
	v_mov_b32_e32 v166, 0
	v_dot4c_i32_i8_e32 v166, v62, v158
	v_dot4c_i32_i8_e32 v166, v63, v162
	;; [unrolled: 1-line block ×8, first 2 shown]
	v_pk_mul_f16 v167, v156, v82
	v_pk_mul_f16 v82, v157, v82
	s_nop 0
	v_cvt_f32_i32_e32 v166, v166
	v_fma_mix_f32 v166, v166, v167, v167 op_sel:[0,0,1] op_sel_hi:[0,1,1]
	v_add_f32_e32 v45, v45, v166
	v_mov_b32_e32 v166, 0
	v_dot4c_i32_i8_e32 v166, v72, v158
	v_dot4c_i32_i8_e32 v166, v73, v162
	;; [unrolled: 1-line block ×8, first 2 shown]
	s_nop 2
	v_cvt_f32_i32_e32 v158, v166
	v_pk_mul_f16 v166, v154, v83
	v_fma_mix_f32 v82, v158, v82, v82 op_sel:[0,0,1] op_sel_hi:[0,1,1]
	ds_read_b128 v[158:161], v148 offset:3072
	ds_read_b128 v[162:165], v148 offset:3088
	v_add_f32_e32 v43, v43, v82
	v_mov_b32_e32 v82, 0
	s_waitcnt lgkmcnt(1)
	v_dot4c_i32_i8_e32 v82, v50, v158
	s_waitcnt lgkmcnt(0)
	v_dot4c_i32_i8_e32 v82, v51, v162
	v_dot4c_i32_i8_e32 v82, v54, v159
	;; [unrolled: 1-line block ×7, first 2 shown]
	s_nop 2
	v_cvt_f32_i32_e32 v82, v82
	v_fma_mix_f32 v82, v82, v166, v166 op_sel:[0,0,1] op_sel_hi:[0,1,1]
	v_add_f32_e32 v41, v41, v82
	v_mov_b32_e32 v82, 0
	v_dot4c_i32_i8_e32 v82, v52, v158
	v_dot4c_i32_i8_e32 v82, v53, v162
	;; [unrolled: 1-line block ×8, first 2 shown]
	v_pk_mul_f16 v166, v155, v83
	s_nop 1
	v_cvt_f32_i32_e32 v82, v82
	v_fma_mix_f32 v82, v82, v166, v166 op_sel:[0,0,1] op_sel_hi:[0,1,1]
	v_add_f32_e32 v39, v39, v82
	v_mov_b32_e32 v82, 0
	v_dot4c_i32_i8_e32 v82, v62, v158
	v_dot4c_i32_i8_e32 v82, v63, v162
	;; [unrolled: 1-line block ×8, first 2 shown]
	v_pk_mul_f16 v166, v156, v83
	v_pk_mul_f16 v83, v157, v83
	s_nop 0
	v_cvt_f32_i32_e32 v82, v82
	v_fma_mix_f32 v82, v82, v166, v166 op_sel:[0,0,1] op_sel_hi:[0,1,1]
	v_add_f32_e32 v37, v37, v82
	v_mov_b32_e32 v82, 0
	v_dot4c_i32_i8_e32 v82, v72, v158
	v_dot4c_i32_i8_e32 v82, v73, v162
	;; [unrolled: 1-line block ×8, first 2 shown]
	v_mov_b32_e32 v166, 0
	s_nop 1
	v_cvt_f32_i32_e32 v82, v82
	v_fma_mix_f32 v82, v82, v83, v83 op_sel:[0,0,1] op_sel_hi:[0,1,1]
	v_add_f32_e32 v35, v35, v82
	ds_read_b128 v[158:161], v148 offset:4096
	ds_read_b128 v[162:165], v148 offset:4112
	ds_read2_b32 v[82:83], v147 offset0:128 offset1:160
	s_waitcnt lgkmcnt(2)
	v_dot4c_i32_i8_e32 v166, v50, v158
	s_waitcnt lgkmcnt(1)
	v_dot4c_i32_i8_e32 v166, v51, v162
	v_dot4c_i32_i8_e32 v166, v54, v159
	;; [unrolled: 1-line block ×7, first 2 shown]
	s_waitcnt lgkmcnt(0)
	v_pk_mul_f16 v167, v154, v82
	s_nop 0
	v_cvt_f32_i32_e32 v166, v166
	v_fma_mix_f32 v166, v166, v167, v167 op_sel:[0,0,1] op_sel_hi:[0,1,1]
	v_add_f32_e32 v33, v33, v166
	v_mov_b32_e32 v166, 0
	v_dot4c_i32_i8_e32 v166, v52, v158
	v_dot4c_i32_i8_e32 v166, v53, v162
	;; [unrolled: 1-line block ×8, first 2 shown]
	v_pk_mul_f16 v167, v155, v82
	s_nop 1
	v_cvt_f32_i32_e32 v166, v166
	v_fma_mix_f32 v166, v166, v167, v167 op_sel:[0,0,1] op_sel_hi:[0,1,1]
	v_add_f32_e32 v31, v31, v166
	v_mov_b32_e32 v166, 0
	v_dot4c_i32_i8_e32 v166, v62, v158
	v_dot4c_i32_i8_e32 v166, v63, v162
	;; [unrolled: 1-line block ×8, first 2 shown]
	v_pk_mul_f16 v167, v156, v82
	v_pk_mul_f16 v82, v157, v82
	s_nop 0
	v_cvt_f32_i32_e32 v166, v166
	v_fma_mix_f32 v166, v166, v167, v167 op_sel:[0,0,1] op_sel_hi:[0,1,1]
	v_add_f32_e32 v29, v29, v166
	v_mov_b32_e32 v166, 0
	v_dot4c_i32_i8_e32 v166, v72, v158
	v_dot4c_i32_i8_e32 v166, v73, v162
	;; [unrolled: 1-line block ×8, first 2 shown]
	s_nop 2
	v_cvt_f32_i32_e32 v158, v166
	v_pk_mul_f16 v166, v154, v83
	v_fma_mix_f32 v82, v158, v82, v82 op_sel:[0,0,1] op_sel_hi:[0,1,1]
	ds_read_b128 v[158:161], v148 offset:5120
	ds_read_b128 v[162:165], v148 offset:5136
	v_add_f32_e32 v27, v27, v82
	v_mov_b32_e32 v82, 0
	s_waitcnt lgkmcnt(1)
	v_dot4c_i32_i8_e32 v82, v50, v158
	s_waitcnt lgkmcnt(0)
	v_dot4c_i32_i8_e32 v82, v51, v162
	v_dot4c_i32_i8_e32 v82, v54, v159
	;; [unrolled: 1-line block ×7, first 2 shown]
	s_nop 2
	v_cvt_f32_i32_e32 v82, v82
	v_fma_mix_f32 v82, v82, v166, v166 op_sel:[0,0,1] op_sel_hi:[0,1,1]
	v_add_f32_e32 v25, v25, v82
	v_mov_b32_e32 v82, 0
	v_dot4c_i32_i8_e32 v82, v52, v158
	v_dot4c_i32_i8_e32 v82, v53, v162
	;; [unrolled: 1-line block ×8, first 2 shown]
	v_pk_mul_f16 v166, v155, v83
	s_nop 1
	v_cvt_f32_i32_e32 v82, v82
	v_fma_mix_f32 v82, v82, v166, v166 op_sel:[0,0,1] op_sel_hi:[0,1,1]
	v_add_f32_e32 v23, v23, v82
	v_mov_b32_e32 v82, 0
	v_dot4c_i32_i8_e32 v82, v62, v158
	v_dot4c_i32_i8_e32 v82, v63, v162
	;; [unrolled: 1-line block ×8, first 2 shown]
	v_pk_mul_f16 v166, v156, v83
	v_pk_mul_f16 v83, v157, v83
	s_nop 0
	v_cvt_f32_i32_e32 v82, v82
	v_fma_mix_f32 v82, v82, v166, v166 op_sel:[0,0,1] op_sel_hi:[0,1,1]
	v_add_f32_e32 v21, v21, v82
	v_mov_b32_e32 v82, 0
	v_dot4c_i32_i8_e32 v82, v72, v158
	v_dot4c_i32_i8_e32 v82, v73, v162
	;; [unrolled: 1-line block ×8, first 2 shown]
	v_mov_b32_e32 v166, 0
	s_nop 1
	v_cvt_f32_i32_e32 v82, v82
	v_fma_mix_f32 v82, v82, v83, v83 op_sel:[0,0,1] op_sel_hi:[0,1,1]
	v_add_f32_e32 v19, v19, v82
	ds_read_b128 v[158:161], v148 offset:6144
	ds_read_b128 v[162:165], v148 offset:6160
	ds_read2_b32 v[82:83], v147 offset0:192 offset1:224
	v_add_u32_e32 v147, 4, v147
	s_waitcnt lgkmcnt(2)
	v_dot4c_i32_i8_e32 v166, v50, v158
	s_waitcnt lgkmcnt(1)
	v_dot4c_i32_i8_e32 v166, v51, v162
	v_dot4c_i32_i8_e32 v166, v54, v159
	;; [unrolled: 1-line block ×7, first 2 shown]
	s_waitcnt lgkmcnt(0)
	v_pk_mul_f16 v167, v154, v82
	s_nop 0
	v_cvt_f32_i32_e32 v166, v166
	v_fma_mix_f32 v166, v166, v167, v167 op_sel:[0,0,1] op_sel_hi:[0,1,1]
	v_add_f32_e32 v17, v17, v166
	v_mov_b32_e32 v166, 0
	v_dot4c_i32_i8_e32 v166, v52, v158
	v_dot4c_i32_i8_e32 v166, v53, v162
	;; [unrolled: 1-line block ×8, first 2 shown]
	v_pk_mul_f16 v167, v155, v82
	s_nop 1
	v_cvt_f32_i32_e32 v166, v166
	v_fma_mix_f32 v166, v166, v167, v167 op_sel:[0,0,1] op_sel_hi:[0,1,1]
	v_add_f32_e32 v15, v15, v166
	v_mov_b32_e32 v166, 0
	v_dot4c_i32_i8_e32 v166, v62, v158
	v_dot4c_i32_i8_e32 v166, v63, v162
	;; [unrolled: 1-line block ×8, first 2 shown]
	v_pk_mul_f16 v167, v156, v82
	v_pk_mul_f16 v82, v157, v82
	s_nop 0
	v_cvt_f32_i32_e32 v166, v166
	v_fma_mix_f32 v166, v166, v167, v167 op_sel:[0,0,1] op_sel_hi:[0,1,1]
	v_add_f32_e32 v13, v13, v166
	v_mov_b32_e32 v166, 0
	v_dot4c_i32_i8_e32 v166, v72, v158
	v_dot4c_i32_i8_e32 v166, v73, v162
	;; [unrolled: 1-line block ×8, first 2 shown]
	s_nop 2
	v_cvt_f32_i32_e32 v158, v166
	v_fma_mix_f32 v82, v158, v82, v82 op_sel:[0,0,1] op_sel_hi:[0,1,1]
	ds_read_b128 v[158:161], v148 offset:7168
	ds_read_b128 v[162:165], v148 offset:7184
	v_add_f32_e32 v11, v11, v82
	v_mov_b32_e32 v82, 0
	v_add_u32_e32 v148, 32, v148
	s_waitcnt lgkmcnt(1)
	v_dot4c_i32_i8_e32 v82, v50, v158
	s_waitcnt lgkmcnt(0)
	v_dot4c_i32_i8_e32 v82, v51, v162
	v_dot4c_i32_i8_e32 v82, v54, v159
	v_dot4c_i32_i8_e32 v82, v55, v163
	v_dot4c_i32_i8_e32 v82, v56, v160
	v_dot4c_i32_i8_e32 v82, v57, v164
	v_dot4c_i32_i8_e32 v82, v60, v161
	v_dot4c_i32_i8_e32 v82, v61, v165
	v_pk_mul_f16 v50, v154, v83
	s_nop 1
	v_cvt_f32_i32_e32 v51, v82
	v_fma_mix_f32 v50, v51, v50, v50 op_sel:[0,0,1] op_sel_hi:[0,1,1]
	v_add_f32_e32 v9, v9, v50
	v_mov_b32_e32 v50, 0
	v_dot4c_i32_i8_e32 v50, v52, v158
	v_dot4c_i32_i8_e32 v50, v53, v162
	v_dot4c_i32_i8_e32 v50, v58, v159
	v_dot4c_i32_i8_e32 v50, v59, v163
	v_dot4c_i32_i8_e32 v50, v64, v160
	v_dot4c_i32_i8_e32 v50, v65, v164
	v_dot4c_i32_i8_e32 v50, v68, v161
	v_dot4c_i32_i8_e32 v50, v69, v165
	v_pk_mul_f16 v51, v155, v83
	s_nop 1
	v_cvt_f32_i32_e32 v50, v50
	v_fma_mix_f32 v50, v50, v51, v51 op_sel:[0,0,1] op_sel_hi:[0,1,1]
	v_add_f32_e32 v7, v7, v50
	v_mov_b32_e32 v50, 0
	v_dot4c_i32_i8_e32 v50, v62, v158
	;; [unrolled: 14-line block ×3, first 2 shown]
	v_dot4c_i32_i8_e32 v50, v73, v162
	v_dot4c_i32_i8_e32 v50, v76, v159
	;; [unrolled: 1-line block ×7, first 2 shown]
	v_pk_mul_f16 v51, v157, v83
	s_nop 1
	v_cvt_f32_i32_e32 v50, v50
	v_fma_mix_f32 v50, v50, v51, v51 op_sel:[0,0,1] op_sel_hi:[0,1,1]
	v_add_f32_e32 v1, v1, v50
	s_cbranch_scc1 .LBB163_10
; %bb.11:                               ;   in Loop: Header=BB163_6 Depth=1
	s_barrier
	s_branch .LBB163_5
.LBB163_12:
	v_mov_b32_e32 v2, v85
.LBB163_13:
	v_cmp_gt_u32_e32 vcc, s8, v89
	s_and_saveexec_b64 s[0:1], vcc
	s_cbranch_execz .LBB163_64
; %bb.14:
	v_add_u32_e32 v0, s6, v84
	v_mul_lo_u32 v8, v89, s10
	v_cmp_gt_u32_e32 vcc, s10, v0
	s_and_saveexec_b64 s[2:3], vcc
	s_cbranch_execz .LBB163_16
; %bb.15:
	v_bfe_u32 v3, v112, 16, 1
	s_movk_i32 s0, 0x7fff
	v_add3_u32 v3, v112, v3, s0
	v_lshrrev_b32_e32 v3, 16, v3
	v_mov_b32_e32 v4, 0x7fc0
	v_cmp_o_f32_e64 s[0:1], v112, v112
	v_add_u32_e32 v46, v0, v8
	v_mov_b32_e32 v47, 0
	v_cndmask_b32_e64 v3, v4, v3, s[0:1]
	s_waitcnt lgkmcnt(0)
	v_lshl_add_u64 v[46:47], v[46:47], 1, s[12:13]
	global_store_short v[46:47], v3, off
.LBB163_16:
	s_or_b64 exec, exec, s[2:3]
	v_add_u32_e32 v3, 32, v0
	v_cmp_gt_u32_e64 s[0:1], s10, v3
	s_and_saveexec_b64 s[4:5], s[0:1]
	s_cbranch_execz .LBB163_18
; %bb.17:
	v_bfe_u32 v4, v110, 16, 1
	s_movk_i32 s2, 0x7fff
	v_add3_u32 v4, v110, v4, s2
	v_lshrrev_b32_e32 v4, 16, v4
	v_mov_b32_e32 v6, 0x7fc0
	v_cmp_o_f32_e64 s[2:3], v110, v110
	v_add_u32_e32 v46, v3, v8
	v_mov_b32_e32 v47, 0
	v_cndmask_b32_e64 v4, v6, v4, s[2:3]
	s_waitcnt lgkmcnt(0)
	v_lshl_add_u64 v[46:47], v[46:47], 1, s[12:13]
	global_store_short v[46:47], v4, off
.LBB163_18:
	s_or_b64 exec, exec, s[4:5]
	v_add_u32_e32 v4, 64, v0
	v_cmp_gt_u32_e64 s[2:3], s10, v4
	s_and_saveexec_b64 s[6:7], s[2:3]
	s_cbranch_execz .LBB163_20
; %bb.19:
	v_bfe_u32 v6, v101, 16, 1
	s_movk_i32 s4, 0x7fff
	v_add3_u32 v6, v101, v6, s4
	v_lshrrev_b32_e32 v6, 16, v6
	v_mov_b32_e32 v10, 0x7fc0
	v_cmp_o_f32_e64 s[4:5], v101, v101
	v_add_u32_e32 v46, v4, v8
	v_mov_b32_e32 v47, 0
	v_cndmask_b32_e64 v6, v10, v6, s[4:5]
	s_waitcnt lgkmcnt(0)
	v_lshl_add_u64 v[46:47], v[46:47], 1, s[12:13]
	global_store_short v[46:47], v6, off
.LBB163_20:
	s_or_b64 exec, exec, s[6:7]
	v_add_u32_e32 v6, 0x60, v0
	v_cmp_gt_u32_e64 s[4:5], s10, v6
	s_and_saveexec_b64 s[14:15], s[4:5]
	s_cbranch_execz .LBB163_22
; %bb.21:
	v_bfe_u32 v10, v92, 16, 1
	s_movk_i32 s6, 0x7fff
	v_add3_u32 v10, v92, v10, s6
	v_lshrrev_b32_e32 v10, 16, v10
	v_mov_b32_e32 v12, 0x7fc0
	v_cmp_o_f32_e64 s[6:7], v92, v92
	v_add_u32_e32 v46, v6, v8
	v_mov_b32_e32 v47, 0
	v_cndmask_b32_e64 v10, v12, v10, s[6:7]
	s_waitcnt lgkmcnt(0)
	v_lshl_add_u64 v[46:47], v[46:47], 1, s[12:13]
	global_store_short v[46:47], v10, off
.LBB163_22:
	s_or_b64 exec, exec, s[14:15]
	v_add3_u32 v8, v2, s11, 8
	v_cmp_gt_u32_e64 s[6:7], s8, v8
	s_and_b64 exec, exec, s[6:7]
	s_cbranch_execz .LBB163_64
; %bb.23:
	v_mul_lo_u32 v8, v8, s10
	s_and_saveexec_b64 s[14:15], vcc
	s_cbranch_execnz .LBB163_65
; %bb.24:
	s_or_b64 exec, exec, s[14:15]
	s_and_saveexec_b64 s[14:15], s[0:1]
	s_cbranch_execnz .LBB163_66
.LBB163_25:
	s_or_b64 exec, exec, s[14:15]
	s_and_saveexec_b64 s[14:15], s[2:3]
	s_cbranch_execnz .LBB163_67
.LBB163_26:
	s_or_b64 exec, exec, s[14:15]
	s_and_saveexec_b64 s[14:15], s[4:5]
	s_cbranch_execz .LBB163_28
.LBB163_27:
	v_bfe_u32 v10, v87, 16, 1
	s_movk_i32 s6, 0x7fff
	v_add3_u32 v10, v87, v10, s6
	v_lshrrev_b32_e32 v10, 16, v10
	v_mov_b32_e32 v12, 0x7fc0
	v_cmp_o_f32_e64 s[6:7], v87, v87
	v_add_u32_e32 v46, v8, v6
	v_mov_b32_e32 v47, 0
	v_cndmask_b32_e64 v10, v12, v10, s[6:7]
	s_waitcnt lgkmcnt(0)
	v_lshl_add_u64 v[46:47], v[46:47], 1, s[12:13]
	global_store_short v[46:47], v10, off
.LBB163_28:
	s_or_b64 exec, exec, s[14:15]
	v_add3_u32 v8, v2, s11, 16
	v_cmp_gt_u32_e64 s[6:7], s8, v8
	s_and_b64 exec, exec, s[6:7]
	s_cbranch_execz .LBB163_64
; %bb.29:
	v_mul_lo_u32 v8, v8, s10
	s_and_saveexec_b64 s[14:15], vcc
	s_cbranch_execnz .LBB163_68
; %bb.30:
	s_or_b64 exec, exec, s[14:15]
	s_and_saveexec_b64 s[14:15], s[0:1]
	s_cbranch_execnz .LBB163_69
.LBB163_31:
	s_or_b64 exec, exec, s[14:15]
	s_and_saveexec_b64 s[14:15], s[2:3]
	s_cbranch_execnz .LBB163_70
.LBB163_32:
	s_or_b64 exec, exec, s[14:15]
	s_and_saveexec_b64 s[14:15], s[4:5]
	s_cbranch_execz .LBB163_34
.LBB163_33:
	v_bfe_u32 v10, v43, 16, 1
	s_movk_i32 s6, 0x7fff
	v_add3_u32 v10, v43, v10, s6
	v_lshrrev_b32_e32 v10, 16, v10
	v_mov_b32_e32 v12, 0x7fc0
	v_cmp_o_f32_e64 s[6:7], v43, v43
	v_add_u32_e32 v42, v8, v6
	v_mov_b32_e32 v43, 0
	v_cndmask_b32_e64 v10, v12, v10, s[6:7]
	s_waitcnt lgkmcnt(0)
	v_lshl_add_u64 v[42:43], v[42:43], 1, s[12:13]
	global_store_short v[42:43], v10, off
.LBB163_34:
	s_or_b64 exec, exec, s[14:15]
	v_add3_u32 v8, v2, s11, 24
	v_cmp_gt_u32_e64 s[6:7], s8, v8
	s_and_b64 exec, exec, s[6:7]
	s_cbranch_execz .LBB163_64
; %bb.35:
	v_mul_lo_u32 v8, v8, s10
	s_and_saveexec_b64 s[14:15], vcc
	s_cbranch_execnz .LBB163_71
; %bb.36:
	s_or_b64 exec, exec, s[14:15]
	s_and_saveexec_b64 s[14:15], s[0:1]
	s_cbranch_execnz .LBB163_72
.LBB163_37:
	s_or_b64 exec, exec, s[14:15]
	s_and_saveexec_b64 s[14:15], s[2:3]
	s_cbranch_execnz .LBB163_73
.LBB163_38:
	s_or_b64 exec, exec, s[14:15]
	s_and_saveexec_b64 s[14:15], s[4:5]
	s_cbranch_execz .LBB163_40
.LBB163_39:
	v_bfe_u32 v10, v35, 16, 1
	s_movk_i32 s6, 0x7fff
	v_add3_u32 v10, v35, v10, s6
	v_lshrrev_b32_e32 v10, 16, v10
	v_mov_b32_e32 v12, 0x7fc0
	v_cmp_o_f32_e64 s[6:7], v35, v35
	v_add_u32_e32 v34, v8, v6
	v_mov_b32_e32 v35, 0
	v_cndmask_b32_e64 v10, v12, v10, s[6:7]
	s_waitcnt lgkmcnt(0)
	v_lshl_add_u64 v[34:35], v[34:35], 1, s[12:13]
	global_store_short v[34:35], v10, off
.LBB163_40:
	s_or_b64 exec, exec, s[14:15]
	v_add3_u32 v8, v2, s11, 32
	v_cmp_gt_u32_e64 s[6:7], s8, v8
	s_and_b64 exec, exec, s[6:7]
	s_cbranch_execz .LBB163_64
; %bb.41:
	v_mul_lo_u32 v8, v8, s10
	s_and_saveexec_b64 s[14:15], vcc
	s_cbranch_execnz .LBB163_74
; %bb.42:
	s_or_b64 exec, exec, s[14:15]
	s_and_saveexec_b64 s[14:15], s[0:1]
	s_cbranch_execnz .LBB163_75
.LBB163_43:
	s_or_b64 exec, exec, s[14:15]
	s_and_saveexec_b64 s[14:15], s[2:3]
	s_cbranch_execnz .LBB163_76
.LBB163_44:
	s_or_b64 exec, exec, s[14:15]
	s_and_saveexec_b64 s[14:15], s[4:5]
	s_cbranch_execz .LBB163_46
.LBB163_45:
	v_bfe_u32 v10, v27, 16, 1
	s_movk_i32 s6, 0x7fff
	v_add3_u32 v10, v27, v10, s6
	v_lshrrev_b32_e32 v10, 16, v10
	v_mov_b32_e32 v12, 0x7fc0
	v_cmp_o_f32_e64 s[6:7], v27, v27
	v_add_u32_e32 v26, v8, v6
	v_mov_b32_e32 v27, 0
	v_cndmask_b32_e64 v10, v12, v10, s[6:7]
	s_waitcnt lgkmcnt(0)
	v_lshl_add_u64 v[26:27], v[26:27], 1, s[12:13]
	global_store_short v[26:27], v10, off
.LBB163_46:
	s_or_b64 exec, exec, s[14:15]
	v_add3_u32 v8, v2, s11, 40
	v_cmp_gt_u32_e64 s[6:7], s8, v8
	s_and_b64 exec, exec, s[6:7]
	s_cbranch_execz .LBB163_64
; %bb.47:
	v_mul_lo_u32 v8, v8, s10
	s_and_saveexec_b64 s[14:15], vcc
	s_cbranch_execnz .LBB163_77
; %bb.48:
	s_or_b64 exec, exec, s[14:15]
	s_and_saveexec_b64 s[14:15], s[0:1]
	s_cbranch_execnz .LBB163_78
.LBB163_49:
	s_or_b64 exec, exec, s[14:15]
	s_and_saveexec_b64 s[14:15], s[2:3]
	s_cbranch_execnz .LBB163_79
.LBB163_50:
	s_or_b64 exec, exec, s[14:15]
	s_and_saveexec_b64 s[14:15], s[4:5]
	s_cbranch_execz .LBB163_52
.LBB163_51:
	v_bfe_u32 v10, v19, 16, 1
	s_movk_i32 s6, 0x7fff
	v_add3_u32 v10, v19, v10, s6
	v_lshrrev_b32_e32 v10, 16, v10
	v_mov_b32_e32 v12, 0x7fc0
	v_cmp_o_f32_e64 s[6:7], v19, v19
	v_add_u32_e32 v18, v8, v6
	v_mov_b32_e32 v19, 0
	v_cndmask_b32_e64 v10, v12, v10, s[6:7]
	s_waitcnt lgkmcnt(0)
	v_lshl_add_u64 v[18:19], v[18:19], 1, s[12:13]
	global_store_short v[18:19], v10, off
.LBB163_52:
	s_or_b64 exec, exec, s[14:15]
	v_add3_u32 v8, v2, s11, 48
	v_cmp_gt_u32_e64 s[6:7], s8, v8
	s_and_b64 exec, exec, s[6:7]
	s_cbranch_execz .LBB163_64
; %bb.53:
	v_mul_lo_u32 v8, v8, s10
	s_and_saveexec_b64 s[14:15], vcc
	s_cbranch_execnz .LBB163_80
; %bb.54:
	s_or_b64 exec, exec, s[14:15]
	s_and_saveexec_b64 s[14:15], s[0:1]
	s_cbranch_execnz .LBB163_81
.LBB163_55:
	s_or_b64 exec, exec, s[14:15]
	s_and_saveexec_b64 s[14:15], s[2:3]
	s_cbranch_execnz .LBB163_82
.LBB163_56:
	s_or_b64 exec, exec, s[14:15]
	s_and_saveexec_b64 s[14:15], s[4:5]
	s_cbranch_execz .LBB163_58
.LBB163_57:
	v_bfe_u32 v10, v11, 16, 1
	s_movk_i32 s6, 0x7fff
	v_add3_u32 v10, v11, v10, s6
	v_lshrrev_b32_e32 v10, 16, v10
	v_mov_b32_e32 v12, 0x7fc0
	v_cmp_o_f32_e64 s[6:7], v11, v11
	v_mov_b32_e32 v11, 0
	s_nop 0
	v_cndmask_b32_e64 v12, v12, v10, s[6:7]
	v_add_u32_e32 v10, v8, v6
	s_waitcnt lgkmcnt(0)
	v_lshl_add_u64 v[10:11], v[10:11], 1, s[12:13]
	global_store_short v[10:11], v12, off
.LBB163_58:
	s_or_b64 exec, exec, s[14:15]
	v_add3_u32 v2, v2, s11, 56
	v_cmp_gt_u32_e64 s[6:7], s8, v2
	s_and_b64 exec, exec, s[6:7]
	s_cbranch_execz .LBB163_64
; %bb.59:
	v_mul_lo_u32 v2, v2, s10
	s_and_saveexec_b64 s[6:7], vcc
	s_cbranch_execnz .LBB163_83
; %bb.60:
	s_or_b64 exec, exec, s[6:7]
	s_and_saveexec_b64 s[6:7], s[0:1]
	s_cbranch_execnz .LBB163_84
.LBB163_61:
	s_or_b64 exec, exec, s[6:7]
	s_and_saveexec_b64 s[0:1], s[2:3]
	s_cbranch_execnz .LBB163_85
.LBB163_62:
	s_or_b64 exec, exec, s[0:1]
	s_and_b64 exec, exec, s[4:5]
	s_cbranch_execz .LBB163_64
.LBB163_63:
	v_bfe_u32 v0, v1, 16, 1
	s_movk_i32 s0, 0x7fff
	v_add3_u32 v0, v1, v0, s0
	v_lshrrev_b32_e32 v0, 16, v0
	v_mov_b32_e32 v3, 0x7fc0
	v_cmp_o_f32_e32 vcc, v1, v1
	v_mov_b32_e32 v1, 0
	s_nop 0
	v_cndmask_b32_e32 v3, v3, v0, vcc
	v_add_u32_e32 v0, v2, v6
	s_waitcnt lgkmcnt(0)
	v_lshl_add_u64 v[0:1], v[0:1], 1, s[12:13]
	global_store_short v[0:1], v3, off
.LBB163_64:
	s_endpgm
.LBB163_65:
	v_bfe_u32 v10, v91, 16, 1
	s_movk_i32 s6, 0x7fff
	v_add3_u32 v10, v91, v10, s6
	v_lshrrev_b32_e32 v10, 16, v10
	v_mov_b32_e32 v12, 0x7fc0
	v_cmp_o_f32_e64 s[6:7], v91, v91
	v_add_u32_e32 v46, v8, v0
	v_mov_b32_e32 v47, 0
	v_cndmask_b32_e64 v10, v12, v10, s[6:7]
	s_waitcnt lgkmcnt(0)
	v_lshl_add_u64 v[46:47], v[46:47], 1, s[12:13]
	global_store_short v[46:47], v10, off
	s_or_b64 exec, exec, s[14:15]
	s_and_saveexec_b64 s[14:15], s[0:1]
	s_cbranch_execz .LBB163_25
.LBB163_66:
	v_bfe_u32 v10, v90, 16, 1
	s_movk_i32 s6, 0x7fff
	v_add3_u32 v10, v90, v10, s6
	v_lshrrev_b32_e32 v10, 16, v10
	v_mov_b32_e32 v12, 0x7fc0
	v_cmp_o_f32_e64 s[6:7], v90, v90
	v_add_u32_e32 v46, v8, v3
	v_mov_b32_e32 v47, 0
	v_cndmask_b32_e64 v10, v12, v10, s[6:7]
	s_waitcnt lgkmcnt(0)
	v_lshl_add_u64 v[46:47], v[46:47], 1, s[12:13]
	global_store_short v[46:47], v10, off
	s_or_b64 exec, exec, s[14:15]
	s_and_saveexec_b64 s[14:15], s[2:3]
	s_cbranch_execz .LBB163_26
.LBB163_67:
	v_bfe_u32 v10, v88, 16, 1
	s_movk_i32 s6, 0x7fff
	v_add3_u32 v10, v88, v10, s6
	v_lshrrev_b32_e32 v10, 16, v10
	v_mov_b32_e32 v12, 0x7fc0
	v_cmp_o_f32_e64 s[6:7], v88, v88
	v_add_u32_e32 v46, v8, v4
	v_mov_b32_e32 v47, 0
	v_cndmask_b32_e64 v10, v12, v10, s[6:7]
	s_waitcnt lgkmcnt(0)
	v_lshl_add_u64 v[46:47], v[46:47], 1, s[12:13]
	global_store_short v[46:47], v10, off
	s_or_b64 exec, exec, s[14:15]
	s_and_saveexec_b64 s[14:15], s[4:5]
	s_cbranch_execnz .LBB163_27
	s_branch .LBB163_28
.LBB163_68:
	v_bfe_u32 v10, v86, 16, 1
	s_movk_i32 s6, 0x7fff
	v_add3_u32 v10, v86, v10, s6
	v_lshrrev_b32_e32 v10, 16, v10
	v_mov_b32_e32 v12, 0x7fc0
	v_cmp_o_f32_e64 s[6:7], v86, v86
	v_add_u32_e32 v46, v8, v0
	v_mov_b32_e32 v47, 0
	v_cndmask_b32_e64 v10, v12, v10, s[6:7]
	s_waitcnt lgkmcnt(0)
	v_lshl_add_u64 v[46:47], v[46:47], 1, s[12:13]
	global_store_short v[46:47], v10, off
	s_or_b64 exec, exec, s[14:15]
	s_and_saveexec_b64 s[14:15], s[0:1]
	s_cbranch_execz .LBB163_31
.LBB163_69:
	v_bfe_u32 v10, v49, 16, 1
	s_movk_i32 s6, 0x7fff
	v_add3_u32 v10, v49, v10, s6
	v_lshrrev_b32_e32 v10, 16, v10
	v_mov_b32_e32 v12, 0x7fc0
	v_cmp_o_f32_e64 s[6:7], v49, v49
	v_add_u32_e32 v46, v8, v3
	v_mov_b32_e32 v47, 0
	v_cndmask_b32_e64 v10, v12, v10, s[6:7]
	s_waitcnt lgkmcnt(0)
	v_lshl_add_u64 v[46:47], v[46:47], 1, s[12:13]
	global_store_short v[46:47], v10, off
	s_or_b64 exec, exec, s[14:15]
	s_and_saveexec_b64 s[14:15], s[2:3]
	s_cbranch_execz .LBB163_32
.LBB163_70:
	v_bfe_u32 v10, v45, 16, 1
	s_movk_i32 s6, 0x7fff
	v_add3_u32 v10, v45, v10, s6
	v_lshrrev_b32_e32 v10, 16, v10
	v_mov_b32_e32 v12, 0x7fc0
	v_cmp_o_f32_e64 s[6:7], v45, v45
	v_add_u32_e32 v44, v8, v4
	v_mov_b32_e32 v45, 0
	v_cndmask_b32_e64 v10, v12, v10, s[6:7]
	s_waitcnt lgkmcnt(0)
	v_lshl_add_u64 v[44:45], v[44:45], 1, s[12:13]
	global_store_short v[44:45], v10, off
	s_or_b64 exec, exec, s[14:15]
	s_and_saveexec_b64 s[14:15], s[4:5]
	s_cbranch_execnz .LBB163_33
	s_branch .LBB163_34
.LBB163_71:
	v_bfe_u32 v10, v41, 16, 1
	s_movk_i32 s6, 0x7fff
	v_add3_u32 v10, v41, v10, s6
	v_lshrrev_b32_e32 v10, 16, v10
	v_mov_b32_e32 v12, 0x7fc0
	v_cmp_o_f32_e64 s[6:7], v41, v41
	v_add_u32_e32 v40, v8, v0
	v_mov_b32_e32 v41, 0
	v_cndmask_b32_e64 v10, v12, v10, s[6:7]
	s_waitcnt lgkmcnt(0)
	v_lshl_add_u64 v[40:41], v[40:41], 1, s[12:13]
	global_store_short v[40:41], v10, off
	s_or_b64 exec, exec, s[14:15]
	s_and_saveexec_b64 s[14:15], s[0:1]
	s_cbranch_execz .LBB163_37
.LBB163_72:
	v_bfe_u32 v10, v39, 16, 1
	s_movk_i32 s6, 0x7fff
	v_add3_u32 v10, v39, v10, s6
	v_lshrrev_b32_e32 v10, 16, v10
	v_mov_b32_e32 v12, 0x7fc0
	v_cmp_o_f32_e64 s[6:7], v39, v39
	v_add_u32_e32 v38, v8, v3
	v_mov_b32_e32 v39, 0
	v_cndmask_b32_e64 v10, v12, v10, s[6:7]
	s_waitcnt lgkmcnt(0)
	v_lshl_add_u64 v[38:39], v[38:39], 1, s[12:13]
	global_store_short v[38:39], v10, off
	s_or_b64 exec, exec, s[14:15]
	s_and_saveexec_b64 s[14:15], s[2:3]
	s_cbranch_execz .LBB163_38
.LBB163_73:
	v_bfe_u32 v10, v37, 16, 1
	s_movk_i32 s6, 0x7fff
	v_add3_u32 v10, v37, v10, s6
	v_lshrrev_b32_e32 v10, 16, v10
	v_mov_b32_e32 v12, 0x7fc0
	v_cmp_o_f32_e64 s[6:7], v37, v37
	v_add_u32_e32 v36, v8, v4
	v_mov_b32_e32 v37, 0
	v_cndmask_b32_e64 v10, v12, v10, s[6:7]
	s_waitcnt lgkmcnt(0)
	v_lshl_add_u64 v[36:37], v[36:37], 1, s[12:13]
	global_store_short v[36:37], v10, off
	s_or_b64 exec, exec, s[14:15]
	s_and_saveexec_b64 s[14:15], s[4:5]
	s_cbranch_execnz .LBB163_39
	s_branch .LBB163_40
.LBB163_74:
	v_bfe_u32 v10, v33, 16, 1
	s_movk_i32 s6, 0x7fff
	v_add3_u32 v10, v33, v10, s6
	v_lshrrev_b32_e32 v10, 16, v10
	v_mov_b32_e32 v12, 0x7fc0
	v_cmp_o_f32_e64 s[6:7], v33, v33
	v_add_u32_e32 v32, v8, v0
	v_mov_b32_e32 v33, 0
	v_cndmask_b32_e64 v10, v12, v10, s[6:7]
	s_waitcnt lgkmcnt(0)
	v_lshl_add_u64 v[32:33], v[32:33], 1, s[12:13]
	global_store_short v[32:33], v10, off
	s_or_b64 exec, exec, s[14:15]
	s_and_saveexec_b64 s[14:15], s[0:1]
	s_cbranch_execz .LBB163_43
.LBB163_75:
	v_bfe_u32 v10, v31, 16, 1
	s_movk_i32 s6, 0x7fff
	v_add3_u32 v10, v31, v10, s6
	v_lshrrev_b32_e32 v10, 16, v10
	v_mov_b32_e32 v12, 0x7fc0
	v_cmp_o_f32_e64 s[6:7], v31, v31
	v_add_u32_e32 v30, v8, v3
	v_mov_b32_e32 v31, 0
	v_cndmask_b32_e64 v10, v12, v10, s[6:7]
	s_waitcnt lgkmcnt(0)
	v_lshl_add_u64 v[30:31], v[30:31], 1, s[12:13]
	global_store_short v[30:31], v10, off
	s_or_b64 exec, exec, s[14:15]
	s_and_saveexec_b64 s[14:15], s[2:3]
	s_cbranch_execz .LBB163_44
.LBB163_76:
	v_bfe_u32 v10, v29, 16, 1
	s_movk_i32 s6, 0x7fff
	v_add3_u32 v10, v29, v10, s6
	v_lshrrev_b32_e32 v10, 16, v10
	v_mov_b32_e32 v12, 0x7fc0
	v_cmp_o_f32_e64 s[6:7], v29, v29
	v_add_u32_e32 v28, v8, v4
	v_mov_b32_e32 v29, 0
	v_cndmask_b32_e64 v10, v12, v10, s[6:7]
	s_waitcnt lgkmcnt(0)
	v_lshl_add_u64 v[28:29], v[28:29], 1, s[12:13]
	global_store_short v[28:29], v10, off
	s_or_b64 exec, exec, s[14:15]
	s_and_saveexec_b64 s[14:15], s[4:5]
	s_cbranch_execnz .LBB163_45
	s_branch .LBB163_46
.LBB163_77:
	v_bfe_u32 v10, v25, 16, 1
	s_movk_i32 s6, 0x7fff
	v_add3_u32 v10, v25, v10, s6
	v_lshrrev_b32_e32 v10, 16, v10
	v_mov_b32_e32 v12, 0x7fc0
	v_cmp_o_f32_e64 s[6:7], v25, v25
	v_add_u32_e32 v24, v8, v0
	v_mov_b32_e32 v25, 0
	v_cndmask_b32_e64 v10, v12, v10, s[6:7]
	s_waitcnt lgkmcnt(0)
	v_lshl_add_u64 v[24:25], v[24:25], 1, s[12:13]
	global_store_short v[24:25], v10, off
	s_or_b64 exec, exec, s[14:15]
	s_and_saveexec_b64 s[14:15], s[0:1]
	s_cbranch_execz .LBB163_49
.LBB163_78:
	v_bfe_u32 v10, v23, 16, 1
	s_movk_i32 s6, 0x7fff
	v_add3_u32 v10, v23, v10, s6
	v_lshrrev_b32_e32 v10, 16, v10
	v_mov_b32_e32 v12, 0x7fc0
	v_cmp_o_f32_e64 s[6:7], v23, v23
	v_add_u32_e32 v22, v8, v3
	v_mov_b32_e32 v23, 0
	v_cndmask_b32_e64 v10, v12, v10, s[6:7]
	s_waitcnt lgkmcnt(0)
	v_lshl_add_u64 v[22:23], v[22:23], 1, s[12:13]
	global_store_short v[22:23], v10, off
	s_or_b64 exec, exec, s[14:15]
	s_and_saveexec_b64 s[14:15], s[2:3]
	s_cbranch_execz .LBB163_50
.LBB163_79:
	v_bfe_u32 v10, v21, 16, 1
	s_movk_i32 s6, 0x7fff
	v_add3_u32 v10, v21, v10, s6
	v_lshrrev_b32_e32 v10, 16, v10
	v_mov_b32_e32 v12, 0x7fc0
	v_cmp_o_f32_e64 s[6:7], v21, v21
	v_add_u32_e32 v20, v8, v4
	v_mov_b32_e32 v21, 0
	v_cndmask_b32_e64 v10, v12, v10, s[6:7]
	s_waitcnt lgkmcnt(0)
	v_lshl_add_u64 v[20:21], v[20:21], 1, s[12:13]
	global_store_short v[20:21], v10, off
	s_or_b64 exec, exec, s[14:15]
	s_and_saveexec_b64 s[14:15], s[4:5]
	s_cbranch_execnz .LBB163_51
	s_branch .LBB163_52
.LBB163_80:
	v_bfe_u32 v10, v17, 16, 1
	s_movk_i32 s6, 0x7fff
	v_add3_u32 v10, v17, v10, s6
	v_lshrrev_b32_e32 v10, 16, v10
	v_mov_b32_e32 v12, 0x7fc0
	v_cmp_o_f32_e64 s[6:7], v17, v17
	v_add_u32_e32 v16, v8, v0
	v_mov_b32_e32 v17, 0
	v_cndmask_b32_e64 v10, v12, v10, s[6:7]
	s_waitcnt lgkmcnt(0)
	v_lshl_add_u64 v[16:17], v[16:17], 1, s[12:13]
	global_store_short v[16:17], v10, off
	s_or_b64 exec, exec, s[14:15]
	s_and_saveexec_b64 s[14:15], s[0:1]
	s_cbranch_execz .LBB163_55
.LBB163_81:
	v_bfe_u32 v10, v15, 16, 1
	s_movk_i32 s6, 0x7fff
	v_add3_u32 v10, v15, v10, s6
	v_lshrrev_b32_e32 v10, 16, v10
	v_mov_b32_e32 v12, 0x7fc0
	v_cmp_o_f32_e64 s[6:7], v15, v15
	v_add_u32_e32 v14, v8, v3
	v_mov_b32_e32 v15, 0
	v_cndmask_b32_e64 v10, v12, v10, s[6:7]
	s_waitcnt lgkmcnt(0)
	v_lshl_add_u64 v[14:15], v[14:15], 1, s[12:13]
	global_store_short v[14:15], v10, off
	s_or_b64 exec, exec, s[14:15]
	s_and_saveexec_b64 s[14:15], s[2:3]
	s_cbranch_execz .LBB163_56
.LBB163_82:
	v_bfe_u32 v10, v13, 16, 1
	s_movk_i32 s6, 0x7fff
	v_add3_u32 v10, v13, v10, s6
	v_lshrrev_b32_e32 v10, 16, v10
	v_mov_b32_e32 v12, 0x7fc0
	v_cmp_o_f32_e64 s[6:7], v13, v13
	v_mov_b32_e32 v13, 0
	s_nop 0
	v_cndmask_b32_e64 v10, v12, v10, s[6:7]
	v_add_u32_e32 v12, v8, v4
	s_waitcnt lgkmcnt(0)
	v_lshl_add_u64 v[12:13], v[12:13], 1, s[12:13]
	global_store_short v[12:13], v10, off
	s_or_b64 exec, exec, s[14:15]
	s_and_saveexec_b64 s[14:15], s[4:5]
	s_cbranch_execnz .LBB163_57
	s_branch .LBB163_58
.LBB163_83:
	v_bfe_u32 v8, v9, 16, 1
	s_movk_i32 s8, 0x7fff
	v_add3_u32 v8, v9, v8, s8
	v_lshrrev_b32_e32 v8, 16, v8
	v_mov_b32_e32 v10, 0x7fc0
	v_cmp_o_f32_e32 vcc, v9, v9
	v_mov_b32_e32 v9, 0
	s_nop 0
	v_cndmask_b32_e32 v10, v10, v8, vcc
	v_add_u32_e32 v8, v2, v0
	s_waitcnt lgkmcnt(0)
	v_lshl_add_u64 v[8:9], v[8:9], 1, s[12:13]
	global_store_short v[8:9], v10, off
	s_or_b64 exec, exec, s[6:7]
	s_and_saveexec_b64 s[6:7], s[0:1]
	s_cbranch_execz .LBB163_61
.LBB163_84:
	v_bfe_u32 v0, v7, 16, 1
	s_movk_i32 s0, 0x7fff
	v_add3_u32 v0, v7, v0, s0
	v_lshrrev_b32_e32 v0, 16, v0
	v_mov_b32_e32 v8, 0x7fc0
	v_cmp_o_f32_e32 vcc, v7, v7
	v_mov_b32_e32 v9, 0
	s_nop 0
	v_cndmask_b32_e32 v0, v8, v0, vcc
	v_add_u32_e32 v8, v2, v3
	s_waitcnt lgkmcnt(0)
	v_lshl_add_u64 v[8:9], v[8:9], 1, s[12:13]
	global_store_short v[8:9], v0, off
	s_or_b64 exec, exec, s[6:7]
	s_and_saveexec_b64 s[0:1], s[2:3]
	s_cbranch_execz .LBB163_62
.LBB163_85:
	v_bfe_u32 v0, v5, 16, 1
	s_movk_i32 s2, 0x7fff
	v_add3_u32 v0, v5, v0, s2
	v_lshrrev_b32_e32 v0, 16, v0
	v_mov_b32_e32 v3, 0x7fc0
	v_cmp_o_f32_e32 vcc, v5, v5
	v_add_u32_e32 v4, v2, v4
	v_mov_b32_e32 v5, 0
	v_cndmask_b32_e32 v0, v3, v0, vcc
	s_waitcnt lgkmcnt(0)
	v_lshl_add_u64 v[4:5], v[4:5], 1, s[12:13]
	global_store_short v[4:5], v0, off
	s_or_b64 exec, exec, s[0:1]
	s_and_b64 exec, exec, s[4:5]
	s_cbranch_execnz .LBB163_63
	s_branch .LBB163_64
	.section	.rodata,"a",@progbits
	.p2align	6, 0x0
	.amdhsa_kernel _ZL12mul_mat_q5_1IN3c108BFloat16ELb0EEvPKvS3_PT_iiiii
		.amdhsa_group_segment_fixed_size 46720
		.amdhsa_private_segment_fixed_size 0
		.amdhsa_kernarg_size 44
		.amdhsa_user_sgpr_count 2
		.amdhsa_user_sgpr_dispatch_ptr 0
		.amdhsa_user_sgpr_queue_ptr 0
		.amdhsa_user_sgpr_kernarg_segment_ptr 1
		.amdhsa_user_sgpr_dispatch_id 0
		.amdhsa_user_sgpr_kernarg_preload_length 0
		.amdhsa_user_sgpr_kernarg_preload_offset 0
		.amdhsa_user_sgpr_private_segment_size 0
		.amdhsa_uses_dynamic_stack 0
		.amdhsa_enable_private_segment 0
		.amdhsa_system_sgpr_workgroup_id_x 1
		.amdhsa_system_sgpr_workgroup_id_y 1
		.amdhsa_system_sgpr_workgroup_id_z 0
		.amdhsa_system_sgpr_workgroup_info 0
		.amdhsa_system_vgpr_workitem_id 1
		.amdhsa_next_free_vgpr 169
		.amdhsa_next_free_sgpr 17
		.amdhsa_accum_offset 172
		.amdhsa_reserve_vcc 1
		.amdhsa_float_round_mode_32 0
		.amdhsa_float_round_mode_16_64 0
		.amdhsa_float_denorm_mode_32 3
		.amdhsa_float_denorm_mode_16_64 3
		.amdhsa_dx10_clamp 1
		.amdhsa_ieee_mode 1
		.amdhsa_fp16_overflow 0
		.amdhsa_tg_split 0
		.amdhsa_exception_fp_ieee_invalid_op 0
		.amdhsa_exception_fp_denorm_src 0
		.amdhsa_exception_fp_ieee_div_zero 0
		.amdhsa_exception_fp_ieee_overflow 0
		.amdhsa_exception_fp_ieee_underflow 0
		.amdhsa_exception_fp_ieee_inexact 0
		.amdhsa_exception_int_div_zero 0
	.end_amdhsa_kernel
	.section	.text._ZL12mul_mat_q5_1IN3c108BFloat16ELb0EEvPKvS3_PT_iiiii,"axG",@progbits,_ZL12mul_mat_q5_1IN3c108BFloat16ELb0EEvPKvS3_PT_iiiii,comdat
.Lfunc_end163:
	.size	_ZL12mul_mat_q5_1IN3c108BFloat16ELb0EEvPKvS3_PT_iiiii, .Lfunc_end163-_ZL12mul_mat_q5_1IN3c108BFloat16ELb0EEvPKvS3_PT_iiiii
                                        ; -- End function
	.section	.AMDGPU.csdata,"",@progbits
; Kernel info:
; codeLenInByte = 13916
; NumSgprs: 23
; NumVgprs: 169
; NumAgprs: 0
; TotalNumVgprs: 169
; ScratchSize: 0
; MemoryBound: 0
; FloatMode: 240
; IeeeMode: 1
; LDSByteSize: 46720 bytes/workgroup (compile time only)
; SGPRBlocks: 2
; VGPRBlocks: 21
; NumSGPRsForWavesPerEU: 23
; NumVGPRsForWavesPerEU: 169
; AccumOffset: 172
; Occupancy: 1
; WaveLimiterHint : 0
; COMPUTE_PGM_RSRC2:SCRATCH_EN: 0
; COMPUTE_PGM_RSRC2:USER_SGPR: 2
; COMPUTE_PGM_RSRC2:TRAP_HANDLER: 0
; COMPUTE_PGM_RSRC2:TGID_X_EN: 1
; COMPUTE_PGM_RSRC2:TGID_Y_EN: 1
; COMPUTE_PGM_RSRC2:TGID_Z_EN: 0
; COMPUTE_PGM_RSRC2:TIDIG_COMP_CNT: 1
; COMPUTE_PGM_RSRC3_GFX90A:ACCUM_OFFSET: 42
; COMPUTE_PGM_RSRC3_GFX90A:TG_SPLIT: 0
	.section	.text._ZL12mul_mat_q5_1IN3c108BFloat16ELb1EEvPKvS3_PT_iiiii,"axG",@progbits,_ZL12mul_mat_q5_1IN3c108BFloat16ELb1EEvPKvS3_PT_iiiii,comdat
	.globl	_ZL12mul_mat_q5_1IN3c108BFloat16ELb1EEvPKvS3_PT_iiiii ; -- Begin function _ZL12mul_mat_q5_1IN3c108BFloat16ELb1EEvPKvS3_PT_iiiii
	.p2align	8
	.type	_ZL12mul_mat_q5_1IN3c108BFloat16ELb1EEvPKvS3_PT_iiiii,@function
_ZL12mul_mat_q5_1IN3c108BFloat16ELb1EEvPKvS3_PT_iiiii: ; @_ZL12mul_mat_q5_1IN3c108BFloat16ELb1EEvPKvS3_PT_iiiii
; %bb.0:
	s_load_dwordx4 s[8:11], s[0:1], 0x18
	s_load_dword s14, s[0:1], 0x28
	s_lshl_b32 s15, s3, 6
	v_bfe_u32 v49, v0, 10, 10
	s_waitcnt lgkmcnt(0)
	s_cmp_gt_i32 s8, 31
	s_cbranch_scc1 .LBB164_2
; %bb.1:
	v_bfe_u32 v2, v0, 10, 10
	v_and_b32_e32 v45, 0x3ff, v0
	v_add_u32_e32 v59, s15, v2
	s_mov_b64 s[4:5], 0
	s_mov_b32 s3, 0
	s_branch .LBB164_3
.LBB164_2:
	s_mov_b64 s[4:5], -1
                                        ; implicit-def: $sgpr3
                                        ; implicit-def: $vgpr2
                                        ; implicit-def: $vgpr45
                                        ; implicit-def: $vgpr59
.LBB164_3:
	s_load_dwordx2 s[12:13], s[0:1], 0x10
	s_lshl_b32 s6, s2, 7
	s_andn2_b64 vcc, exec, s[4:5]
	v_mov_b32_e32 v1, s3
	v_mov_b32_e32 v11, s3
	;; [unrolled: 1-line block ×32, first 2 shown]
	s_cbranch_vccnz .LBB164_13
; %bb.4:
	s_ashr_i32 s4, s8, 31
	s_load_dwordx4 s[0:3], s[0:1], 0x0
	s_lshr_b32 s4, s4, 27
	s_ashr_i32 s5, s11, 31
	s_add_i32 s4, s8, s4
	s_lshr_b32 s5, s5, 27
	s_ashr_i32 s4, s4, 5
	s_add_i32 s5, s11, s5
	s_ashr_i32 s11, s5, 5
	s_mul_i32 s5, s4, s6
	s_mul_hi_i32 s7, s5, 24
	s_mul_i32 s5, s5, 24
	s_waitcnt lgkmcnt(0)
	s_add_u32 s5, s0, s5
	s_addc_u32 s7, s1, s7
	s_not_b32 s0, s6
	s_add_i32 s1, s0, s9
	v_and_b32_e32 v45, 0x3ff, v0
	v_min_i32_e32 v1, s1, v49
	v_lshlrev_b32_e32 v66, 3, v45
	s_movk_i32 s0, 0x104
	v_mul_lo_u32 v4, v1, s4
	v_mad_u64_u32 v[6:7], s[16:17], v1, s0, v[66:67]
	v_add_u32_e32 v1, 8, v49
	v_min_i32_e32 v5, s1, v1
	v_mul_lo_u32 v8, v5, s4
	v_mad_u64_u32 v[10:11], s[16:17], v5, s0, v[66:67]
	v_add_u32_e32 v5, 16, v49
	v_min_i32_e32 v7, s1, v5
	;; [unrolled: 4-line block ×15, first 2 shown]
	v_lshrrev_b32_e32 v69, 3, v45
	v_mul_lo_u32 v64, v17, s4
	v_mad_u64_u32 v[66:67], s[16:17], v17, s0, v[66:67]
	v_lshl_add_u32 v17, v49, 2, v69
	v_min_i32_e32 v19, s1, v17
	v_add_u32_e32 v25, 32, v17
	v_add_u32_e32 v29, 64, v17
	;; [unrolled: 1-line block ×3, first 2 shown]
	v_min_i32_e32 v25, s1, v25
	v_min_i32_e32 v29, s1, v29
	;; [unrolled: 1-line block ×3, first 2 shown]
	v_lshrrev_b32_e32 v0, 2, v45
	v_ashrrev_i32_e32 v21, 31, v19
	v_ashrrev_i32_e32 v27, 31, v25
	;; [unrolled: 1-line block ×4, first 2 shown]
	v_lshlrev_b32_e32 v35, 2, v45
	v_and_b32_e32 v80, 3, v45
	v_lshrrev_b32_e32 v21, 30, v21
	v_lshrrev_b32_e32 v27, 30, v27
	;; [unrolled: 1-line block ×4, first 2 shown]
	v_add_u32_e32 v59, s15, v49
	s_add_i32 s1, s10, -1
	v_and_b32_e32 v78, 28, v35
	v_lshl_add_u32 v35, v49, 3, v0
	v_lshlrev_b32_e32 v2, 2, v80
	v_and_b32_e32 v68, 7, v45
	v_add_u32_e32 v21, v19, v21
	v_add_u32_e32 v27, v25, v27
	;; [unrolled: 1-line block ×4, first 2 shown]
	v_cvt_f64_i32_e32 v[82:83], s1
	v_and_b32_e32 v35, 63, v35
	v_cvt_f64_u32_e32 v[84:85], v59
	v_and_b32_e32 v21, -4, v21
	v_lshlrev_b32_e32 v23, 2, v68
	s_mov_b32 s9, 0xa200
	v_and_b32_e32 v27, -4, v27
	v_and_b32_e32 v31, -4, v31
	v_and_b32_e32 v33, -4, v33
	v_or_b32_e32 v37, s15, v35
	v_lshl_or_b32 v35, v35, 4, v2
	v_min_f64 v[84:85], v[84:85], v[82:83]
	v_add3_u32 v21, v21, v23, s9
	v_add3_u32 v27, v27, v23, s9
	;; [unrolled: 1-line block ×4, first 2 shown]
	v_and_b32_e32 v33, 31, v45
	v_add_u32_e32 v75, 0xb280, v35
	v_cvt_i32_f64_e32 v35, v[84:85]
	v_min_i32_e32 v37, s1, v37
	v_mul_lo_u32 v77, s11, v35
	v_lshlrev_b32_e32 v33, 2, v33
	v_lshlrev_b32_e32 v35, 7, v49
	v_mad_u64_u32 v[80:81], s[16:17], v37, s11, v[80:81]
	v_or_b32_e32 v37, v35, v33
	v_add_u32_e32 v81, 0x8200, v37
	v_add_u32_e32 v37, 8, v59
	v_cvt_f64_u32_e32 v[84:85], v37
	v_lshl_or_b32 v1, v1, 7, v33
	v_min_f64 v[84:85], v[84:85], v[82:83]
	v_add_u32_e32 v117, 0x8200, v1
	v_add_u32_e32 v1, 16, v59
	v_cvt_i32_f64_e32 v37, v[84:85]
	v_cvt_f64_u32_e32 v[84:85], v1
	v_min_f64 v[84:85], v[84:85], v[82:83]
	v_cvt_i32_f64_e32 v1, v[84:85]
	v_mul_lo_u32 v118, s11, v1
	v_lshl_or_b32 v1, v5, 7, v33
	v_add_u32_e32 v119, 0x8200, v1
	v_add_u32_e32 v1, 24, v59
	v_cvt_f64_u32_e32 v[84:85], v1
	v_min_f64 v[84:85], v[84:85], v[82:83]
	v_cvt_i32_f64_e32 v1, v[84:85]
	v_mul_lo_u32 v120, s11, v1
	v_lshl_or_b32 v1, v7, 7, v33
	v_add_u32_e32 v121, 0x8200, v1
	v_add_u32_e32 v1, 32, v59
	;; [unrolled: 7-line block ×6, first 2 shown]
	v_add_u32_e32 v5, 64, v45
	v_add_u32_e32 v7, 0x60, v45
	v_lshlrev_b32_e32 v9, 5, v45
	v_lshrrev_b32_e32 v131, 3, v1
	v_and_b32_e32 v1, 0x1fc, v1
	v_mov_b32_e32 v3, 0
	v_and_b32_e32 v7, 0x1fc, v7
	v_and_b32_e32 v5, 0x1fc, v5
	v_add_u32_e32 v1, v9, v1
	v_and_b32_e32 v11, 0xfc, v45
	v_mul_lo_u32 v70, v19, s4
	v_lshlrev_b32_e32 v19, 5, v19
	v_mul_lo_u32 v72, v25, s4
	v_lshlrev_b32_e32 v25, 5, v25
	;; [unrolled: 2-line block ×4, first 2 shown]
	v_mov_b32_e32 v79, v3
	v_add_u32_e32 v7, v9, v7
	v_add_u32_e32 v5, v9, v5
	;; [unrolled: 1-line block ×4, first 2 shown]
	v_mov_b32_e32 v11, 0xb280
	v_add_u32_e32 v140, 0xa610, v1
	v_mov_b32_e32 v1, 0x80
	s_mov_b32 s8, 0
	v_lshl_add_u64 v[78:79], s[2:3], 0, v[78:79]
	v_mul_lo_u32 v116, s11, v37
	v_mul_u32_u24_e32 v130, 0x104, v45
	v_add_u32_e32 v132, 0xae00, v7
	v_add_u32_e32 v133, 0xaa00, v5
	;; [unrolled: 1-line block ×4, first 2 shown]
	v_lshl_add_u32 v137, v49, 4, v11
	v_add_u32_e32 v138, 0xae10, v7
	v_add_u32_e32 v139, 0xaa10, v5
	;; [unrolled: 1-line block ×3, first 2 shown]
	v_mad_u32_u24 v142, v45, s0, v1
	v_add_u32_e32 v143, v21, v19
	v_add_u32_e32 v144, v27, v25
	;; [unrolled: 1-line block ×4, first 2 shown]
	v_mov_b32_e32 v73, v3
	v_mov_b32_e32 v63, v3
	;; [unrolled: 1-line block ×32, first 2 shown]
	s_branch .LBB164_6
.LBB164_5:                              ;   in Loop: Header=BB164_6 Depth=1
	s_add_i32 s8, s8, 8
	s_cmp_ge_i32 s8, s4
	s_cbranch_scc1 .LBB164_12
.LBB164_6:                              ; =>This Loop Header: Depth=1
                                        ;     Child Loop BB164_7 Depth 2
                                        ;     Child Loop BB164_10 Depth 2
	s_mul_i32 s0, s8, 24
	s_mul_hi_u32 s1, s8, 24
	s_add_u32 s0, s5, s0
	s_addc_u32 s1, s7, s1
	v_mad_u64_u32 v[82:83], s[16:17], v0, 24, s[0:1]
	v_mad_i64_i32 v[84:85], s[16:17], v4, 24, v[82:83]
	v_mad_i64_i32 v[92:93], s[16:17], v16, 24, v[82:83]
	v_lshl_add_u64 v[86:87], v[84:85], 0, v[2:3]
	v_mad_i64_i32 v[88:89], s[16:17], v8, 24, v[82:83]
	v_mad_i64_i32 v[90:91], s[16:17], v12, 24, v[82:83]
	global_load_dword v100, v[92:93], off offset:4
	global_load_dword v101, v[90:91], off offset:4
	;; [unrolled: 1-line block ×5, first 2 shown]
	v_lshl_add_u64 v[84:85], v[88:89], 0, v[2:3]
	global_load_dword v105, v[84:85], off offset:8
	v_lshl_add_u64 v[84:85], v[90:91], 0, v[2:3]
	global_load_dword v106, v[84:85], off offset:8
	;; [unrolled: 2-line block ×3, first 2 shown]
	v_mad_i64_i32 v[90:91], s[16:17], v32, 24, v[82:83]
	v_mad_i64_i32 v[84:85], s[16:17], v20, 24, v[82:83]
	;; [unrolled: 1-line block ×4, first 2 shown]
	v_lshl_add_u64 v[98:99], v[90:91], 0, v[2:3]
	v_lshl_add_u64 v[92:93], v[84:85], 0, v[2:3]
	;; [unrolled: 1-line block ×4, first 2 shown]
	global_load_dword v108, v[98:99], off offset:8
	global_load_dword v109, v[90:91], off offset:4
	;; [unrolled: 1-line block ×6, first 2 shown]
	s_nop 0
	global_load_dword v86, v[92:93], off offset:8
	s_nop 0
	global_load_dword v84, v[84:85], off offset:4
	v_add_u32_e32 v147, s8, v80
	v_mov_b32_e32 v148, v137
	v_mov_b32_e32 v149, v136
	;; [unrolled: 1-line block ×7, first 2 shown]
	s_waitcnt vmcnt(13)
	v_ashrrev_i32_e32 v89, v2, v102
	s_waitcnt vmcnt(12)
	v_ashrrev_i32_e32 v85, v2, v103
	s_waitcnt vmcnt(11)
	v_lshrrev_b32_e32 v87, 4, v104
	v_lshlrev_b32_e32 v92, 4, v85
	v_lshlrev_b32_e32 v93, 11, v85
	v_lshrrev_b32_e32 v94, 12, v85
	v_lshrrev_b32_e32 v95, 5, v85
	v_and_b32_e32 v88, 0xf0f0f0f, v104
	v_and_b32_e32 v87, 0xf0f0f0f, v87
	v_lshlrev_b32_e32 v96, 2, v85
	v_lshlrev_b32_e32 v97, 18, v85
	;; [unrolled: 1-line block ×4, first 2 shown]
	v_and_b32_e32 v94, 16, v94
	v_and_b32_e32 v92, 16, v92
	;; [unrolled: 1-line block ×4, first 2 shown]
	s_waitcnt vmcnt(10)
	v_lshrrev_b32_e32 v90, 4, v105
	v_lshlrev_b32_e32 v99, 4, v89
	v_lshlrev_b32_e32 v102, 11, v89
	v_lshrrev_b32_e32 v103, 12, v89
	v_lshrrev_b32_e32 v104, 5, v89
	v_and_b32_e32 v97, 0x100000, v97
	v_and_b32_e32 v96, 0x100000, v96
	;; [unrolled: 1-line block ×4, first 2 shown]
	v_or3_b32 v88, v92, v88, v93
	v_or3_b32 v87, v94, v87, v95
	v_and_b32_e32 v91, 0xf0f0f0f, v105
	v_and_b32_e32 v90, 0xf0f0f0f, v90
	v_lshlrev_b32_e32 v105, 2, v89
	v_lshlrev_b32_e32 v114, 18, v89
	;; [unrolled: 1-line block ×4, first 2 shown]
	v_and_b32_e32 v103, 16, v103
	v_and_b32_e32 v99, 16, v99
	;; [unrolled: 1-line block ×4, first 2 shown]
	v_or3_b32 v87, v87, v96, v98
	v_or3_b32 v85, v88, v97, v85
	v_and_b32_e32 v114, 0x100000, v114
	v_and_b32_e32 v105, 0x100000, v105
	;; [unrolled: 1-line block ×3, first 2 shown]
	v_or3_b32 v91, v99, v91, v102
	v_or3_b32 v90, v103, v90, v104
	ds_write2_b32 v6, v85, v87 offset1:1
	v_and_b32_e32 v85, 0x10000000, v115
	v_or3_b32 v85, v90, v105, v85
	v_or3_b32 v87, v91, v114, v89
	ds_write2_b32 v10, v87, v85 offset1:1
	v_ashrrev_i32_e32 v85, v2, v101
	v_lshlrev_b32_e32 v87, 4, v85
	v_lshlrev_b32_e32 v88, 11, v85
	s_waitcnt vmcnt(9)
	v_lshrrev_b32_e32 v89, 4, v106
	v_lshrrev_b32_e32 v90, 12, v85
	v_lshrrev_b32_e32 v91, 5, v85
	v_and_b32_e32 v89, 0xf0f0f0f, v89
	v_and_b32_e32 v92, 0xf0f0f0f, v106
	;; [unrolled: 1-line block ×6, first 2 shown]
	v_or3_b32 v87, v87, v92, v88
	v_or3_b32 v88, v90, v89, v91
	v_lshlrev_b32_e32 v89, 2, v85
	v_lshlrev_b32_e32 v90, 18, v85
	;; [unrolled: 1-line block ×4, first 2 shown]
	v_and_b32_e32 v90, 0x100000, v90
	v_and_b32_e32 v89, 0x100000, v89
	;; [unrolled: 1-line block ×4, first 2 shown]
	v_or3_b32 v88, v88, v89, v91
	v_or3_b32 v85, v87, v90, v85
	ds_write2_b32 v14, v85, v88 offset1:1
	v_ashrrev_i32_e32 v85, v2, v100
	v_lshlrev_b32_e32 v87, 4, v85
	v_lshlrev_b32_e32 v88, 11, v85
	s_waitcnt vmcnt(8)
	v_lshrrev_b32_e32 v89, 4, v107
	v_lshrrev_b32_e32 v90, 12, v85
	;; [unrolled: 1-line block ×3, first 2 shown]
	v_and_b32_e32 v89, 0xf0f0f0f, v89
	v_and_b32_e32 v92, 0xf0f0f0f, v107
	;; [unrolled: 1-line block ×6, first 2 shown]
	v_or3_b32 v87, v87, v92, v88
	v_or3_b32 v88, v90, v89, v91
	v_lshlrev_b32_e32 v89, 2, v85
	v_lshlrev_b32_e32 v90, 18, v85
	;; [unrolled: 1-line block ×4, first 2 shown]
	v_and_b32_e32 v90, 0x100000, v90
	v_and_b32_e32 v89, 0x100000, v89
	v_and_b32_e32 v85, 0x10000000, v85
	v_and_b32_e32 v91, 0x10000000, v91
	v_or3_b32 v88, v88, v89, v91
	v_or3_b32 v85, v87, v90, v85
	s_waitcnt vmcnt(0)
	v_ashrrev_i32_e32 v84, v2, v84
	ds_write2_b32 v18, v85, v88 offset1:1
	v_lshlrev_b32_e32 v85, 4, v84
	v_lshlrev_b32_e32 v87, 11, v84
	v_lshrrev_b32_e32 v88, 4, v86
	v_and_b32_e32 v86, 0xf0f0f0f, v86
	v_and_b32_e32 v85, 16, v85
	;; [unrolled: 1-line block ×3, first 2 shown]
	v_lshrrev_b32_e32 v89, 12, v84
	v_lshrrev_b32_e32 v90, 5, v84
	v_or3_b32 v100, v85, v86, v87
	v_lshlrev_b32_e32 v85, 2, v84
	v_lshlrev_b32_e32 v86, 18, v84
	;; [unrolled: 1-line block ×4, first 2 shown]
	v_and_b32_e32 v88, 0xf0f0f0f, v88
	v_and_b32_e32 v89, 16, v89
	;; [unrolled: 1-line block ×5, first 2 shown]
	v_mad_i64_i32 v[84:85], s[16:17], v36, 24, v[82:83]
	v_mad_i64_i32 v[96:97], s[16:17], v48, 24, v[82:83]
	v_or3_b32 v101, v89, v88, v90
	v_and_b32_e32 v102, 0x100000, v86
	v_lshl_add_u64 v[86:87], v[84:85], 0, v[2:3]
	v_mad_i64_i32 v[88:89], s[16:17], v40, 24, v[82:83]
	v_mad_i64_i32 v[92:93], s[16:17], v44, 24, v[82:83]
	v_lshl_add_u64 v[98:99], v[96:97], 0, v[2:3]
	v_lshl_add_u64 v[90:91], v[88:89], 0, v[2:3]
	;; [unrolled: 1-line block ×3, first 2 shown]
	global_load_dword v98, v[98:99], off offset:8
	s_nop 0
	global_load_dword v99, v[96:97], off offset:4
	global_load_dword v106, v[94:95], off offset:8
	;; [unrolled: 1-line block ×5, first 2 shown]
	s_nop 0
	global_load_dword v86, v[86:87], off offset:8
	s_nop 0
	global_load_dword v84, v[84:85], off offset:4
	v_and_b32_e32 v85, 0x10000000, v104
	v_or3_b32 v85, v101, v103, v85
	v_or3_b32 v87, v100, v102, v105
	ds_write2_b32 v22, v87, v85 offset1:1
	v_ashrrev_i32_e32 v85, v2, v113
	v_lshlrev_b32_e32 v87, 4, v85
	v_lshlrev_b32_e32 v88, 11, v85
	v_lshrrev_b32_e32 v89, 4, v112
	v_lshrrev_b32_e32 v90, 12, v85
	v_lshrrev_b32_e32 v91, 5, v85
	v_and_b32_e32 v89, 0xf0f0f0f, v89
	v_and_b32_e32 v92, 0xf0f0f0f, v112
	v_and_b32_e32 v90, 16, v90
	v_and_b32_e32 v87, 16, v87
	v_and_b32_e32 v91, 0x1000, v91
	v_and_b32_e32 v88, 0x1000, v88
	v_or3_b32 v87, v87, v92, v88
	v_or3_b32 v88, v90, v89, v91
	v_lshlrev_b32_e32 v89, 2, v85
	v_lshlrev_b32_e32 v90, 18, v85
	v_lshlrev_b32_e32 v91, 9, v85
	v_lshlrev_b32_e32 v85, 25, v85
	v_and_b32_e32 v90, 0x100000, v90
	v_and_b32_e32 v89, 0x100000, v89
	v_and_b32_e32 v85, 0x10000000, v85
	v_and_b32_e32 v91, 0x10000000, v91
	v_or3_b32 v88, v88, v89, v91
	v_or3_b32 v85, v87, v90, v85
	ds_write2_b32 v26, v85, v88 offset1:1
	v_ashrrev_i32_e32 v85, v2, v111
	v_lshlrev_b32_e32 v87, 4, v85
	v_lshlrev_b32_e32 v88, 11, v85
	v_lshrrev_b32_e32 v89, 4, v110
	v_lshrrev_b32_e32 v90, 12, v85
	v_lshrrev_b32_e32 v91, 5, v85
	v_and_b32_e32 v89, 0xf0f0f0f, v89
	v_and_b32_e32 v92, 0xf0f0f0f, v110
	v_and_b32_e32 v90, 16, v90
	v_and_b32_e32 v87, 16, v87
	v_and_b32_e32 v91, 0x1000, v91
	v_and_b32_e32 v88, 0x1000, v88
	v_or3_b32 v87, v87, v92, v88
	v_or3_b32 v88, v90, v89, v91
	v_lshlrev_b32_e32 v89, 2, v85
	v_lshlrev_b32_e32 v90, 18, v85
	v_lshlrev_b32_e32 v91, 9, v85
	v_lshlrev_b32_e32 v85, 25, v85
	v_and_b32_e32 v90, 0x100000, v90
	v_and_b32_e32 v89, 0x100000, v89
	v_and_b32_e32 v85, 0x10000000, v85
	;; [unrolled: 25-line block ×3, first 2 shown]
	v_and_b32_e32 v91, 0x10000000, v91
	v_or3_b32 v88, v88, v89, v91
	v_or3_b32 v85, v87, v90, v85
	ds_write2_b32 v34, v85, v88 offset1:1
	s_waitcnt vmcnt(0)
	v_ashrrev_i32_e32 v84, v2, v84
	v_lshlrev_b32_e32 v85, 4, v84
	v_lshlrev_b32_e32 v87, 11, v84
	v_lshrrev_b32_e32 v88, 4, v86
	v_lshrrev_b32_e32 v89, 12, v84
	;; [unrolled: 1-line block ×3, first 2 shown]
	v_and_b32_e32 v86, 0xf0f0f0f, v86
	v_and_b32_e32 v85, 16, v85
	;; [unrolled: 1-line block ×6, first 2 shown]
	v_or3_b32 v100, v85, v86, v87
	v_lshlrev_b32_e32 v85, 2, v84
	v_lshlrev_b32_e32 v86, 18, v84
	;; [unrolled: 1-line block ×4, first 2 shown]
	v_or3_b32 v101, v89, v88, v90
	v_and_b32_e32 v103, 0x100000, v85
	v_and_b32_e32 v105, 0x10000000, v84
	v_mad_i64_i32 v[84:85], s[16:17], v52, 24, v[82:83]
	v_mad_i64_i32 v[88:89], s[16:17], v56, 24, v[82:83]
	;; [unrolled: 1-line block ×4, first 2 shown]
	v_and_b32_e32 v102, 0x100000, v86
	v_lshl_add_u64 v[86:87], v[84:85], 0, v[2:3]
	v_lshl_add_u64 v[96:97], v[82:83], 0, v[2:3]
	;; [unrolled: 1-line block ×4, first 2 shown]
	global_load_dword v108, v[96:97], off offset:8
	global_load_dword v109, v[82:83], off offset:4
	;; [unrolled: 1-line block ×4, first 2 shown]
	s_nop 0
	global_load_dword v82, v[90:91], off offset:8
	global_load_dword v83, v[88:89], off offset:4
	s_nop 0
	global_load_dword v86, v[86:87], off offset:8
	s_nop 0
	global_load_dword v84, v[84:85], off offset:4
	v_and_b32_e32 v85, 0x10000000, v104
	v_or3_b32 v85, v101, v103, v85
	v_or3_b32 v87, v100, v102, v105
	ds_write2_b32 v38, v87, v85 offset1:1
	v_ashrrev_i32_e32 v85, v2, v115
	v_lshlrev_b32_e32 v87, 4, v85
	v_lshlrev_b32_e32 v88, 11, v85
	v_lshrrev_b32_e32 v89, 4, v114
	v_lshrrev_b32_e32 v90, 12, v85
	v_lshrrev_b32_e32 v91, 5, v85
	v_and_b32_e32 v89, 0xf0f0f0f, v89
	v_and_b32_e32 v92, 0xf0f0f0f, v114
	v_and_b32_e32 v90, 16, v90
	v_and_b32_e32 v87, 16, v87
	v_and_b32_e32 v91, 0x1000, v91
	v_and_b32_e32 v88, 0x1000, v88
	v_or3_b32 v87, v87, v92, v88
	v_or3_b32 v88, v90, v89, v91
	v_lshlrev_b32_e32 v89, 2, v85
	v_lshlrev_b32_e32 v90, 18, v85
	v_lshlrev_b32_e32 v91, 9, v85
	v_lshlrev_b32_e32 v85, 25, v85
	v_and_b32_e32 v90, 0x100000, v90
	v_and_b32_e32 v89, 0x100000, v89
	v_and_b32_e32 v85, 0x10000000, v85
	v_and_b32_e32 v91, 0x10000000, v91
	v_or3_b32 v88, v88, v89, v91
	v_or3_b32 v85, v87, v90, v85
	ds_write2_b32 v42, v85, v88 offset1:1
	v_ashrrev_i32_e32 v85, v2, v107
	v_lshlrev_b32_e32 v87, 4, v85
	v_lshlrev_b32_e32 v88, 11, v85
	v_lshrrev_b32_e32 v89, 4, v106
	v_lshrrev_b32_e32 v90, 12, v85
	v_lshrrev_b32_e32 v91, 5, v85
	v_and_b32_e32 v89, 0xf0f0f0f, v89
	v_and_b32_e32 v92, 0xf0f0f0f, v106
	v_and_b32_e32 v90, 16, v90
	v_and_b32_e32 v87, 16, v87
	v_and_b32_e32 v91, 0x1000, v91
	v_and_b32_e32 v88, 0x1000, v88
	v_or3_b32 v87, v87, v92, v88
	v_or3_b32 v88, v90, v89, v91
	v_lshlrev_b32_e32 v89, 2, v85
	v_lshlrev_b32_e32 v90, 18, v85
	v_lshlrev_b32_e32 v91, 9, v85
	v_lshlrev_b32_e32 v85, 25, v85
	v_and_b32_e32 v90, 0x100000, v90
	v_and_b32_e32 v89, 0x100000, v89
	v_and_b32_e32 v85, 0x10000000, v85
	;; [unrolled: 25-line block ×3, first 2 shown]
	v_and_b32_e32 v91, 0x10000000, v91
	v_or3_b32 v88, v88, v89, v91
	v_or3_b32 v85, v87, v90, v85
	ds_write2_b32 v50, v85, v88 offset1:1
	s_waitcnt vmcnt(0)
	v_ashrrev_i32_e32 v84, v2, v84
	v_lshlrev_b32_e32 v85, 4, v84
	v_lshlrev_b32_e32 v87, 11, v84
	v_lshrrev_b32_e32 v88, 4, v86
	v_lshrrev_b32_e32 v89, 12, v84
	;; [unrolled: 1-line block ×3, first 2 shown]
	v_and_b32_e32 v88, 0xf0f0f0f, v88
	v_and_b32_e32 v86, 0xf0f0f0f, v86
	;; [unrolled: 1-line block ×6, first 2 shown]
	v_or3_b32 v85, v85, v86, v87
	v_or3_b32 v86, v89, v88, v90
	v_lshlrev_b32_e32 v87, 2, v84
	v_lshlrev_b32_e32 v88, 18, v84
	;; [unrolled: 1-line block ×4, first 2 shown]
	v_and_b32_e32 v88, 0x100000, v88
	v_and_b32_e32 v87, 0x100000, v87
	;; [unrolled: 1-line block ×4, first 2 shown]
	v_ashrrev_i32_e32 v98, v2, v83
	v_lshrrev_b32_e32 v83, 4, v82
	v_or3_b32 v86, v86, v87, v89
	v_or3_b32 v84, v85, v88, v84
	v_and_b32_e32 v103, 0xf0f0f0f, v83
	v_and_b32_e32 v104, 0xf0f0f0f, v82
	v_mad_u64_u32 v[82:83], s[0:1], v68, 24, s[0:1]
	ds_write2_b32 v54, v84, v86 offset1:1
	v_mad_i64_i32 v[84:85], s[0:1], v70, 24, v[82:83]
	v_mad_i64_i32 v[86:87], s[0:1], v72, 24, v[82:83]
	;; [unrolled: 1-line block ×4, first 2 shown]
	v_add_u32_e32 v96, s8, v69
	global_load_dword v105, v[84:85], off
	global_load_dword v106, v[86:87], off
	;; [unrolled: 1-line block ×4, first 2 shown]
	v_add_u32_e32 v82, v96, v77
	v_add_u32_e32 v84, v96, v116
	;; [unrolled: 1-line block ×5, first 2 shown]
	v_mad_i64_i32 v[82:83], s[0:1], v82, 36, v[78:79]
	v_mad_i64_i32 v[84:85], s[0:1], v84, 36, v[78:79]
	;; [unrolled: 1-line block ×5, first 2 shown]
	v_add_u32_e32 v92, v96, v124
	v_add_u32_e32 v94, v96, v126
	;; [unrolled: 1-line block ×3, first 2 shown]
	v_mad_i64_i32 v[92:93], s[0:1], v92, 36, v[78:79]
	v_mad_i64_i32 v[94:95], s[0:1], v94, 36, v[78:79]
	;; [unrolled: 1-line block ×3, first 2 shown]
	global_load_dword v113, v[82:83], off offset:4
	s_nop 0
	global_load_dword v84, v[84:85], off offset:4
	s_nop 0
	;; [unrolled: 2-line block ×3, first 2 shown]
	global_load_dword v86, v[88:89], off offset:4
	global_load_dword v87, v[90:91], off offset:4
	s_nop 0
	global_load_dword v88, v[92:93], off offset:4
	global_load_dword v89, v[94:95], off offset:4
	global_load_dword v90, v[96:97], off offset:4
	v_mad_u64_u32 v[82:83], s[0:1], v147, 36, s[2:3]
	global_load_dword v82, v[82:83], off
	v_lshlrev_b32_e32 v99, 4, v98
	v_lshlrev_b32_e32 v100, 11, v98
	v_lshrrev_b32_e32 v101, 12, v98
	v_lshrrev_b32_e32 v102, 5, v98
	v_and_b32_e32 v83, 16, v101
	v_and_b32_e32 v91, 16, v99
	;; [unrolled: 1-line block ×4, first 2 shown]
	v_or3_b32 v91, v91, v104, v93
	v_or3_b32 v83, v83, v103, v92
	v_lshlrev_b32_e32 v92, 2, v98
	v_lshlrev_b32_e32 v93, 18, v98
	;; [unrolled: 1-line block ×4, first 2 shown]
	v_and_b32_e32 v93, 0x100000, v93
	v_and_b32_e32 v92, 0x100000, v92
	;; [unrolled: 1-line block ×4, first 2 shown]
	v_or3_b32 v83, v83, v92, v94
	v_or3_b32 v91, v91, v93, v95
	ds_write2_b32 v58, v91, v83 offset1:1
	v_ashrrev_i32_e32 v83, v2, v111
	v_lshlrev_b32_e32 v91, 4, v83
	v_lshlrev_b32_e32 v92, 11, v83
	v_lshrrev_b32_e32 v93, 4, v110
	v_lshrrev_b32_e32 v94, 12, v83
	;; [unrolled: 1-line block ×3, first 2 shown]
	v_and_b32_e32 v93, 0xf0f0f0f, v93
	v_and_b32_e32 v96, 0xf0f0f0f, v110
	;; [unrolled: 1-line block ×6, first 2 shown]
	v_or3_b32 v91, v91, v96, v92
	v_or3_b32 v92, v94, v93, v95
	v_lshlrev_b32_e32 v93, 2, v83
	v_lshlrev_b32_e32 v94, 18, v83
	;; [unrolled: 1-line block ×4, first 2 shown]
	v_and_b32_e32 v94, 0x100000, v94
	v_and_b32_e32 v93, 0x100000, v93
	;; [unrolled: 1-line block ×4, first 2 shown]
	v_or3_b32 v92, v92, v93, v95
	v_or3_b32 v83, v91, v94, v83
	ds_write2_b32 v62, v83, v92 offset1:1
	v_ashrrev_i32_e32 v83, v2, v109
	v_lshlrev_b32_e32 v91, 4, v83
	v_lshlrev_b32_e32 v92, 11, v83
	v_lshrrev_b32_e32 v93, 4, v108
	v_lshrrev_b32_e32 v94, 12, v83
	;; [unrolled: 1-line block ×3, first 2 shown]
	v_and_b32_e32 v93, 0xf0f0f0f, v93
	v_and_b32_e32 v96, 0xf0f0f0f, v108
	v_and_b32_e32 v94, 16, v94
	v_and_b32_e32 v91, 16, v91
	v_and_b32_e32 v95, 0x1000, v95
	v_and_b32_e32 v92, 0x1000, v92
	v_or3_b32 v91, v91, v96, v92
	v_or3_b32 v92, v94, v93, v95
	v_lshlrev_b32_e32 v93, 2, v83
	v_lshlrev_b32_e32 v94, 18, v83
	;; [unrolled: 1-line block ×4, first 2 shown]
	v_and_b32_e32 v94, 0x100000, v94
	v_and_b32_e32 v93, 0x100000, v93
	;; [unrolled: 1-line block ×4, first 2 shown]
	v_or3_b32 v92, v92, v93, v95
	v_or3_b32 v83, v91, v94, v83
	s_mov_b32 s0, -4
	ds_write2_b32 v66, v83, v92 offset1:1
	s_waitcnt vmcnt(12)
	ds_write_b32 v143, v105
	s_waitcnt vmcnt(11)
	ds_write_b32 v144, v106
	;; [unrolled: 2-line block ×13, first 2 shown]
	s_waitcnt lgkmcnt(0)
	s_barrier
.LBB164_7:                              ;   Parent Loop BB164_6 Depth=1
                                        ; =>  This Inner Loop Header: Depth=2
	ds_read_b128 v[160:163], v149
	ds_read_b128 v[164:167], v149 offset:16
	ds_read2_b32 v[114:115], v148 offset1:32
	ds_read_b32 v155, v151
	ds_read2_b32 v[82:83], v150 offset1:1
	ds_read2_b32 v[86:87], v150 offset0:2 offset1:3
	ds_read2_b32 v[88:89], v150 offset0:4 offset1:5
	;; [unrolled: 1-line block ×3, first 2 shown]
	v_mov_b32_e32 v84, 0
	s_waitcnt lgkmcnt(3)
	v_dot4c_i32_i8_e32 v84, v82, v160
	v_dot4c_i32_i8_e32 v84, v83, v164
	s_waitcnt lgkmcnt(2)
	v_dot4c_i32_i8_e32 v84, v86, v161
	v_dot4c_i32_i8_e32 v84, v87, v165
	;; [unrolled: 3-line block ×4, first 2 shown]
	v_pk_mul_f16 v85, v114, v155
	v_add_u32_e32 v90, 0x2088, v150
	v_add_u32_e32 v95, 0x2090, v150
	v_cvt_f32_i32_e32 v84, v84
	v_mov_b32_e32 v94, 0
	v_add_u32_e32 v98, 0x4108, v150
	v_add_u32_e32 v102, 0x4110, v150
	v_fma_mix_f32 v84, v85, v84, v85 op_sel:[0,0,1] op_sel_hi:[1,0,1]
	v_mov_b32_e32 v104, 0
	v_add_f32_e32 v73, v73, v84
	v_add_u32_e32 v84, 0x2080, v150
	ds_read_b32 v156, v152
	ds_read2_b32 v[84:85], v84 offset1:1
	ds_read2_b32 v[90:91], v90 offset1:1
	;; [unrolled: 1-line block ×3, first 2 shown]
	v_add_u32_e32 v95, 0x2098, v150
	ds_read2_b32 v[100:101], v95 offset1:1
	s_waitcnt lgkmcnt(3)
	v_dot4c_i32_i8_e32 v94, v84, v160
	v_dot4c_i32_i8_e32 v94, v85, v164
	s_waitcnt lgkmcnt(2)
	v_dot4c_i32_i8_e32 v94, v90, v161
	v_dot4c_i32_i8_e32 v94, v91, v165
	s_waitcnt lgkmcnt(1)
	v_dot4c_i32_i8_e32 v94, v96, v162
	v_dot4c_i32_i8_e32 v94, v97, v166
	s_waitcnt lgkmcnt(0)
	v_dot4c_i32_i8_e32 v94, v100, v163
	v_dot4c_i32_i8_e32 v94, v101, v167
	v_pk_mul_f16 v95, v114, v156
	v_add_u32_e32 v105, 0x4118, v150
	v_add_u32_e32 v108, 0x6188, v150
	v_cvt_f32_i32_e32 v94, v94
	v_add_u32_e32 v110, 0x6190, v150
	v_mov_b32_e32 v159, 0
	v_add_u32_e32 v112, 0x6198, v150
	v_fma_mix_f32 v94, v95, v94, v95 op_sel:[0,0,1] op_sel_hi:[1,0,1]
	s_add_i32 s0, s0, 4
	v_add_f32_e32 v71, v71, v94
	v_add_u32_e32 v94, 0x4100, v150
	ds_read_b32 v157, v153
	ds_read2_b32 v[94:95], v94 offset1:1
	ds_read2_b32 v[98:99], v98 offset1:1
	ds_read2_b32 v[102:103], v102 offset1:1
	ds_read2_b32 v[106:107], v105 offset1:1
	s_waitcnt lgkmcnt(4)
	v_pk_mul_f16 v105, v114, v157
	s_waitcnt lgkmcnt(3)
	v_dot4c_i32_i8_e32 v104, v94, v160
	v_dot4c_i32_i8_e32 v104, v95, v164
	s_waitcnt lgkmcnt(2)
	v_dot4c_i32_i8_e32 v104, v98, v161
	v_dot4c_i32_i8_e32 v104, v99, v165
	;; [unrolled: 3-line block ×4, first 2 shown]
	v_add_u32_e32 v153, 4, v153
	v_add_u32_e32 v152, 4, v152
	;; [unrolled: 1-line block ×3, first 2 shown]
	v_cvt_f32_i32_e32 v104, v104
	s_cmp_lt_u32 s0, 12
	v_fma_mix_f32 v104, v105, v104, v105 op_sel:[0,0,1] op_sel_hi:[1,0,1]
	s_nop 0
	v_add_f32_e32 v67, v67, v104
	v_add_u32_e32 v104, 0x6180, v150
	ds_read_b32 v158, v154
	ds_read2_b32 v[104:105], v104 offset1:1
	ds_read2_b32 v[108:109], v108 offset1:1
	;; [unrolled: 1-line block ×4, first 2 shown]
	s_waitcnt lgkmcnt(4)
	v_pk_mul_f16 v114, v114, v158
	s_waitcnt lgkmcnt(3)
	v_dot4c_i32_i8_e32 v159, v104, v160
	v_dot4c_i32_i8_e32 v159, v105, v164
	s_waitcnt lgkmcnt(2)
	v_dot4c_i32_i8_e32 v159, v108, v161
	v_dot4c_i32_i8_e32 v159, v109, v165
	;; [unrolled: 3-line block ×4, first 2 shown]
	ds_read_b128 v[160:163], v149 offset:1024
	ds_read_b128 v[164:167], v149 offset:1040
	v_add_u32_e32 v154, 4, v154
	v_cvt_f32_i32_e32 v159, v159
	v_add_u32_e32 v150, 32, v150
	v_fma_mix_f32 v114, v114, v159, v114 op_sel:[0,0,1] op_sel_hi:[1,0,1]
	s_nop 0
	v_add_f32_e32 v65, v65, v114
	v_mov_b32_e32 v114, 0
	s_waitcnt lgkmcnt(1)
	v_dot4c_i32_i8_e32 v114, v82, v160
	s_waitcnt lgkmcnt(0)
	v_dot4c_i32_i8_e32 v114, v83, v164
	v_dot4c_i32_i8_e32 v114, v86, v161
	;; [unrolled: 1-line block ×7, first 2 shown]
	v_pk_mul_f16 v159, v155, v115
	s_nop 1
	v_cvt_f32_i32_e32 v114, v114
	v_fma_mix_f32 v114, v114, v159, v159 op_sel:[0,0,1] op_sel_hi:[0,1,1]
	v_add_f32_e32 v63, v63, v114
	v_mov_b32_e32 v114, 0
	v_dot4c_i32_i8_e32 v114, v84, v160
	v_dot4c_i32_i8_e32 v114, v85, v164
	;; [unrolled: 1-line block ×8, first 2 shown]
	v_pk_mul_f16 v159, v156, v115
	s_nop 1
	v_cvt_f32_i32_e32 v114, v114
	v_fma_mix_f32 v114, v114, v159, v159 op_sel:[0,0,1] op_sel_hi:[0,1,1]
	v_add_f32_e32 v61, v61, v114
	v_mov_b32_e32 v114, 0
	v_dot4c_i32_i8_e32 v114, v94, v160
	v_dot4c_i32_i8_e32 v114, v95, v164
	;; [unrolled: 1-line block ×8, first 2 shown]
	v_pk_mul_f16 v159, v157, v115
	v_pk_mul_f16 v115, v158, v115
	s_nop 0
	v_cvt_f32_i32_e32 v114, v114
	v_fma_mix_f32 v114, v114, v159, v159 op_sel:[0,0,1] op_sel_hi:[0,1,1]
	v_add_f32_e32 v57, v57, v114
	v_mov_b32_e32 v114, 0
	v_dot4c_i32_i8_e32 v114, v104, v160
	v_dot4c_i32_i8_e32 v114, v105, v164
	;; [unrolled: 1-line block ×8, first 2 shown]
	v_mov_b32_e32 v159, 0
	s_nop 1
	v_cvt_f32_i32_e32 v114, v114
	v_fma_mix_f32 v114, v114, v115, v115 op_sel:[0,0,1] op_sel_hi:[0,1,1]
	v_add_f32_e32 v55, v55, v114
	ds_read_b128 v[160:163], v149 offset:2048
	ds_read_b128 v[164:167], v149 offset:2064
	ds_read2_b32 v[114:115], v148 offset0:64 offset1:96
	s_waitcnt lgkmcnt(2)
	v_dot4c_i32_i8_e32 v159, v82, v160
	s_waitcnt lgkmcnt(1)
	v_dot4c_i32_i8_e32 v159, v83, v164
	v_dot4c_i32_i8_e32 v159, v86, v161
	;; [unrolled: 1-line block ×7, first 2 shown]
	s_waitcnt lgkmcnt(0)
	v_pk_mul_f16 v168, v155, v114
	s_nop 0
	v_cvt_f32_i32_e32 v159, v159
	v_fma_mix_f32 v159, v159, v168, v168 op_sel:[0,0,1] op_sel_hi:[0,1,1]
	v_add_f32_e32 v53, v53, v159
	v_mov_b32_e32 v159, 0
	v_dot4c_i32_i8_e32 v159, v84, v160
	v_dot4c_i32_i8_e32 v159, v85, v164
	;; [unrolled: 1-line block ×8, first 2 shown]
	v_pk_mul_f16 v168, v156, v114
	s_nop 1
	v_cvt_f32_i32_e32 v159, v159
	v_fma_mix_f32 v159, v159, v168, v168 op_sel:[0,0,1] op_sel_hi:[0,1,1]
	v_add_f32_e32 v51, v51, v159
	v_mov_b32_e32 v159, 0
	v_dot4c_i32_i8_e32 v159, v94, v160
	v_dot4c_i32_i8_e32 v159, v95, v164
	;; [unrolled: 1-line block ×8, first 2 shown]
	v_pk_mul_f16 v168, v157, v114
	v_pk_mul_f16 v114, v158, v114
	s_nop 0
	v_cvt_f32_i32_e32 v159, v159
	v_fma_mix_f32 v159, v159, v168, v168 op_sel:[0,0,1] op_sel_hi:[0,1,1]
	v_add_f32_e32 v47, v47, v159
	v_mov_b32_e32 v159, 0
	v_dot4c_i32_i8_e32 v159, v104, v160
	v_dot4c_i32_i8_e32 v159, v105, v164
	;; [unrolled: 1-line block ×8, first 2 shown]
	ds_read_b128 v[160:163], v149 offset:3072
	ds_read_b128 v[164:167], v149 offset:3088
	s_nop 0
	v_cvt_f32_i32_e32 v159, v159
	v_fma_mix_f32 v114, v159, v114, v114 op_sel:[0,0,1] op_sel_hi:[0,1,1]
	v_add_f32_e32 v43, v43, v114
	v_mov_b32_e32 v114, 0
	s_waitcnt lgkmcnt(1)
	v_dot4c_i32_i8_e32 v114, v82, v160
	s_waitcnt lgkmcnt(0)
	v_dot4c_i32_i8_e32 v114, v83, v164
	v_dot4c_i32_i8_e32 v114, v86, v161
	;; [unrolled: 1-line block ×7, first 2 shown]
	v_pk_mul_f16 v159, v155, v115
	s_nop 1
	v_cvt_f32_i32_e32 v114, v114
	v_fma_mix_f32 v114, v114, v159, v159 op_sel:[0,0,1] op_sel_hi:[0,1,1]
	v_add_f32_e32 v41, v41, v114
	v_mov_b32_e32 v114, 0
	v_dot4c_i32_i8_e32 v114, v84, v160
	v_dot4c_i32_i8_e32 v114, v85, v164
	;; [unrolled: 1-line block ×8, first 2 shown]
	v_pk_mul_f16 v159, v156, v115
	s_nop 1
	v_cvt_f32_i32_e32 v114, v114
	v_fma_mix_f32 v114, v114, v159, v159 op_sel:[0,0,1] op_sel_hi:[0,1,1]
	v_add_f32_e32 v39, v39, v114
	v_mov_b32_e32 v114, 0
	v_dot4c_i32_i8_e32 v114, v94, v160
	v_dot4c_i32_i8_e32 v114, v95, v164
	;; [unrolled: 1-line block ×8, first 2 shown]
	v_pk_mul_f16 v159, v157, v115
	v_pk_mul_f16 v115, v158, v115
	s_nop 0
	v_cvt_f32_i32_e32 v114, v114
	v_fma_mix_f32 v114, v114, v159, v159 op_sel:[0,0,1] op_sel_hi:[0,1,1]
	v_add_f32_e32 v37, v37, v114
	v_mov_b32_e32 v114, 0
	v_dot4c_i32_i8_e32 v114, v104, v160
	v_dot4c_i32_i8_e32 v114, v105, v164
	;; [unrolled: 1-line block ×8, first 2 shown]
	v_mov_b32_e32 v159, 0
	s_nop 1
	v_cvt_f32_i32_e32 v114, v114
	v_fma_mix_f32 v114, v114, v115, v115 op_sel:[0,0,1] op_sel_hi:[0,1,1]
	v_add_f32_e32 v35, v35, v114
	ds_read_b128 v[160:163], v149 offset:4096
	ds_read_b128 v[164:167], v149 offset:4112
	ds_read2_b32 v[114:115], v148 offset0:128 offset1:160
	s_waitcnt lgkmcnt(2)
	v_dot4c_i32_i8_e32 v159, v82, v160
	s_waitcnt lgkmcnt(1)
	v_dot4c_i32_i8_e32 v159, v83, v164
	v_dot4c_i32_i8_e32 v159, v86, v161
	;; [unrolled: 1-line block ×7, first 2 shown]
	s_waitcnt lgkmcnt(0)
	v_pk_mul_f16 v168, v155, v114
	s_nop 0
	v_cvt_f32_i32_e32 v159, v159
	v_fma_mix_f32 v159, v159, v168, v168 op_sel:[0,0,1] op_sel_hi:[0,1,1]
	v_add_f32_e32 v33, v33, v159
	v_mov_b32_e32 v159, 0
	v_dot4c_i32_i8_e32 v159, v84, v160
	v_dot4c_i32_i8_e32 v159, v85, v164
	;; [unrolled: 1-line block ×8, first 2 shown]
	v_pk_mul_f16 v168, v156, v114
	s_nop 1
	v_cvt_f32_i32_e32 v159, v159
	v_fma_mix_f32 v159, v159, v168, v168 op_sel:[0,0,1] op_sel_hi:[0,1,1]
	v_add_f32_e32 v31, v31, v159
	v_mov_b32_e32 v159, 0
	v_dot4c_i32_i8_e32 v159, v94, v160
	v_dot4c_i32_i8_e32 v159, v95, v164
	;; [unrolled: 1-line block ×8, first 2 shown]
	v_pk_mul_f16 v168, v157, v114
	v_pk_mul_f16 v114, v158, v114
	s_nop 0
	v_cvt_f32_i32_e32 v159, v159
	v_fma_mix_f32 v159, v159, v168, v168 op_sel:[0,0,1] op_sel_hi:[0,1,1]
	v_add_f32_e32 v29, v29, v159
	v_mov_b32_e32 v159, 0
	v_dot4c_i32_i8_e32 v159, v104, v160
	v_dot4c_i32_i8_e32 v159, v105, v164
	;; [unrolled: 1-line block ×8, first 2 shown]
	ds_read_b128 v[160:163], v149 offset:5120
	ds_read_b128 v[164:167], v149 offset:5136
	s_nop 0
	v_cvt_f32_i32_e32 v159, v159
	v_fma_mix_f32 v114, v159, v114, v114 op_sel:[0,0,1] op_sel_hi:[0,1,1]
	v_add_f32_e32 v27, v27, v114
	v_mov_b32_e32 v114, 0
	s_waitcnt lgkmcnt(1)
	v_dot4c_i32_i8_e32 v114, v82, v160
	s_waitcnt lgkmcnt(0)
	v_dot4c_i32_i8_e32 v114, v83, v164
	v_dot4c_i32_i8_e32 v114, v86, v161
	;; [unrolled: 1-line block ×7, first 2 shown]
	v_pk_mul_f16 v159, v155, v115
	s_nop 1
	v_cvt_f32_i32_e32 v114, v114
	v_fma_mix_f32 v114, v114, v159, v159 op_sel:[0,0,1] op_sel_hi:[0,1,1]
	v_add_f32_e32 v25, v25, v114
	v_mov_b32_e32 v114, 0
	v_dot4c_i32_i8_e32 v114, v84, v160
	v_dot4c_i32_i8_e32 v114, v85, v164
	;; [unrolled: 1-line block ×8, first 2 shown]
	v_pk_mul_f16 v159, v156, v115
	s_nop 1
	v_cvt_f32_i32_e32 v114, v114
	v_fma_mix_f32 v114, v114, v159, v159 op_sel:[0,0,1] op_sel_hi:[0,1,1]
	v_add_f32_e32 v23, v23, v114
	v_mov_b32_e32 v114, 0
	v_dot4c_i32_i8_e32 v114, v94, v160
	v_dot4c_i32_i8_e32 v114, v95, v164
	;; [unrolled: 1-line block ×8, first 2 shown]
	v_pk_mul_f16 v159, v157, v115
	v_pk_mul_f16 v115, v158, v115
	s_nop 0
	v_cvt_f32_i32_e32 v114, v114
	v_fma_mix_f32 v114, v114, v159, v159 op_sel:[0,0,1] op_sel_hi:[0,1,1]
	v_add_f32_e32 v21, v21, v114
	v_mov_b32_e32 v114, 0
	v_dot4c_i32_i8_e32 v114, v104, v160
	v_dot4c_i32_i8_e32 v114, v105, v164
	;; [unrolled: 1-line block ×8, first 2 shown]
	v_mov_b32_e32 v159, 0
	s_nop 1
	v_cvt_f32_i32_e32 v114, v114
	v_fma_mix_f32 v114, v114, v115, v115 op_sel:[0,0,1] op_sel_hi:[0,1,1]
	v_add_f32_e32 v19, v19, v114
	ds_read_b128 v[160:163], v149 offset:6144
	ds_read_b128 v[164:167], v149 offset:6160
	ds_read2_b32 v[114:115], v148 offset0:192 offset1:224
	v_add_u32_e32 v148, 4, v148
	s_waitcnt lgkmcnt(2)
	v_dot4c_i32_i8_e32 v159, v82, v160
	s_waitcnt lgkmcnt(1)
	v_dot4c_i32_i8_e32 v159, v83, v164
	v_dot4c_i32_i8_e32 v159, v86, v161
	;; [unrolled: 1-line block ×7, first 2 shown]
	s_waitcnt lgkmcnt(0)
	v_pk_mul_f16 v168, v155, v114
	s_nop 0
	v_cvt_f32_i32_e32 v159, v159
	v_fma_mix_f32 v159, v159, v168, v168 op_sel:[0,0,1] op_sel_hi:[0,1,1]
	v_add_f32_e32 v17, v17, v159
	v_mov_b32_e32 v159, 0
	v_dot4c_i32_i8_e32 v159, v84, v160
	v_dot4c_i32_i8_e32 v159, v85, v164
	;; [unrolled: 1-line block ×8, first 2 shown]
	v_pk_mul_f16 v168, v156, v114
	s_nop 1
	v_cvt_f32_i32_e32 v159, v159
	v_fma_mix_f32 v159, v159, v168, v168 op_sel:[0,0,1] op_sel_hi:[0,1,1]
	v_add_f32_e32 v15, v15, v159
	v_mov_b32_e32 v159, 0
	v_dot4c_i32_i8_e32 v159, v94, v160
	v_dot4c_i32_i8_e32 v159, v95, v164
	;; [unrolled: 1-line block ×8, first 2 shown]
	v_pk_mul_f16 v168, v157, v114
	v_pk_mul_f16 v114, v158, v114
	s_nop 0
	v_cvt_f32_i32_e32 v159, v159
	v_fma_mix_f32 v159, v159, v168, v168 op_sel:[0,0,1] op_sel_hi:[0,1,1]
	v_add_f32_e32 v13, v13, v159
	v_mov_b32_e32 v159, 0
	v_dot4c_i32_i8_e32 v159, v104, v160
	v_dot4c_i32_i8_e32 v159, v105, v164
	;; [unrolled: 1-line block ×8, first 2 shown]
	ds_read_b128 v[160:163], v149 offset:7168
	ds_read_b128 v[164:167], v149 offset:7184
	v_add_u32_e32 v149, 32, v149
	v_cvt_f32_i32_e32 v159, v159
	v_fma_mix_f32 v114, v159, v114, v114 op_sel:[0,0,1] op_sel_hi:[0,1,1]
	v_add_f32_e32 v11, v11, v114
	v_mov_b32_e32 v114, 0
	s_waitcnt lgkmcnt(1)
	v_dot4c_i32_i8_e32 v114, v82, v160
	s_waitcnt lgkmcnt(0)
	v_dot4c_i32_i8_e32 v114, v83, v164
	v_dot4c_i32_i8_e32 v114, v86, v161
	v_dot4c_i32_i8_e32 v114, v87, v165
	v_dot4c_i32_i8_e32 v114, v88, v162
	v_dot4c_i32_i8_e32 v114, v89, v166
	v_dot4c_i32_i8_e32 v114, v92, v163
	v_dot4c_i32_i8_e32 v114, v93, v167
	v_pk_mul_f16 v82, v155, v115
	s_nop 1
	v_cvt_f32_i32_e32 v83, v114
	v_fma_mix_f32 v82, v83, v82, v82 op_sel:[0,0,1] op_sel_hi:[0,1,1]
	v_add_f32_e32 v9, v9, v82
	v_mov_b32_e32 v82, 0
	v_dot4c_i32_i8_e32 v82, v84, v160
	v_dot4c_i32_i8_e32 v82, v85, v164
	v_dot4c_i32_i8_e32 v82, v90, v161
	v_dot4c_i32_i8_e32 v82, v91, v165
	v_dot4c_i32_i8_e32 v82, v96, v162
	v_dot4c_i32_i8_e32 v82, v97, v166
	v_dot4c_i32_i8_e32 v82, v100, v163
	v_dot4c_i32_i8_e32 v82, v101, v167
	v_pk_mul_f16 v83, v156, v115
	s_nop 1
	v_cvt_f32_i32_e32 v82, v82
	v_fma_mix_f32 v82, v82, v83, v83 op_sel:[0,0,1] op_sel_hi:[0,1,1]
	v_add_f32_e32 v7, v7, v82
	v_mov_b32_e32 v82, 0
	v_dot4c_i32_i8_e32 v82, v94, v160
	;; [unrolled: 14-line block ×3, first 2 shown]
	v_dot4c_i32_i8_e32 v82, v105, v164
	v_dot4c_i32_i8_e32 v82, v108, v161
	;; [unrolled: 1-line block ×7, first 2 shown]
	v_pk_mul_f16 v83, v158, v115
	s_nop 1
	v_cvt_f32_i32_e32 v82, v82
	v_fma_mix_f32 v82, v82, v83, v83 op_sel:[0,0,1] op_sel_hi:[0,1,1]
	v_add_f32_e32 v1, v1, v82
	s_cbranch_scc1 .LBB164_7
; %bb.8:                                ;   in Loop: Header=BB164_6 Depth=1
	s_or_b32 s0, s8, 4
	s_cmp_ge_i32 s0, s4
	s_barrier
	s_cbranch_scc1 .LBB164_5
; %bb.9:                                ;   in Loop: Header=BB164_6 Depth=1
	v_add_u32_e32 v96, s8, v131
	v_add_u32_e32 v82, v96, v77
	;; [unrolled: 1-line block ×6, first 2 shown]
	v_mad_i64_i32 v[82:83], s[0:1], v82, 36, v[78:79]
	v_mad_i64_i32 v[84:85], s[0:1], v84, 36, v[78:79]
	;; [unrolled: 1-line block ×5, first 2 shown]
	v_add_u32_e32 v92, v96, v124
	v_add_u32_e32 v94, v96, v126
	;; [unrolled: 1-line block ×3, first 2 shown]
	v_mad_i64_i32 v[92:93], s[0:1], v92, 36, v[78:79]
	v_mad_i64_i32 v[94:95], s[0:1], v94, 36, v[78:79]
	;; [unrolled: 1-line block ×3, first 2 shown]
	global_load_dword v98, v[82:83], off offset:4
	s_nop 0
	global_load_dword v84, v[84:85], off offset:4
	s_nop 0
	;; [unrolled: 2-line block ×3, first 2 shown]
	global_load_dword v86, v[88:89], off offset:4
	global_load_dword v87, v[90:91], off offset:4
	s_nop 0
	global_load_dword v88, v[92:93], off offset:4
                                        ; kill: killed $vgpr92_vgpr93
                                        ; kill: killed $vgpr90_vgpr91
	global_load_dword v89, v[94:95], off offset:4
	global_load_dword v90, v[96:97], off offset:4
	v_add_u32_e32 v82, 4, v147
	v_mad_u64_u32 v[82:83], s[0:1], v82, 36, s[2:3]
	global_load_dword v82, v[82:83], off
	s_mov_b32 s0, 12
	v_mov_b32_e32 v147, v137
	v_mov_b32_e32 v148, v136
	;; [unrolled: 1-line block ×7, first 2 shown]
	s_waitcnt vmcnt(8)
	ds_write_b32 v81, v98
	s_waitcnt vmcnt(7)
	ds_write_b32 v117, v84
	;; [unrolled: 2-line block ×9, first 2 shown]
	s_waitcnt lgkmcnt(0)
	s_barrier
.LBB164_10:                             ;   Parent Loop BB164_6 Depth=1
                                        ; =>  This Inner Loop Header: Depth=2
	ds_read_b128 v[158:161], v148
	ds_read_b128 v[162:165], v148 offset:16
	ds_read2_b32 v[114:115], v147 offset1:32
	ds_read_b32 v154, v150
	ds_read2_b32 v[82:83], v149 offset1:1
	ds_read2_b32 v[86:87], v149 offset0:2 offset1:3
	ds_read2_b32 v[88:89], v149 offset0:4 offset1:5
	;; [unrolled: 1-line block ×3, first 2 shown]
	v_mov_b32_e32 v84, 0
	s_waitcnt lgkmcnt(3)
	v_dot4c_i32_i8_e32 v84, v82, v158
	v_dot4c_i32_i8_e32 v84, v83, v162
	s_waitcnt lgkmcnt(2)
	v_dot4c_i32_i8_e32 v84, v86, v159
	v_dot4c_i32_i8_e32 v84, v87, v163
	;; [unrolled: 3-line block ×4, first 2 shown]
	v_pk_mul_f16 v85, v114, v154
	v_add_u32_e32 v90, 0x2088, v149
	v_add_u32_e32 v95, 0x2090, v149
	v_cvt_f32_i32_e32 v84, v84
	v_mov_b32_e32 v94, 0
	v_add_u32_e32 v98, 0x4108, v149
	v_add_u32_e32 v102, 0x4110, v149
	v_fma_mix_f32 v84, v85, v84, v85 op_sel:[0,0,1] op_sel_hi:[1,0,1]
	v_mov_b32_e32 v104, 0
	v_add_f32_e32 v73, v73, v84
	v_add_u32_e32 v84, 0x2080, v149
	ds_read_b32 v155, v151
	ds_read2_b32 v[84:85], v84 offset1:1
	ds_read2_b32 v[90:91], v90 offset1:1
	;; [unrolled: 1-line block ×3, first 2 shown]
	v_add_u32_e32 v95, 0x2098, v149
	ds_read2_b32 v[100:101], v95 offset1:1
	s_waitcnt lgkmcnt(3)
	v_dot4c_i32_i8_e32 v94, v84, v158
	v_dot4c_i32_i8_e32 v94, v85, v162
	s_waitcnt lgkmcnt(2)
	v_dot4c_i32_i8_e32 v94, v90, v159
	v_dot4c_i32_i8_e32 v94, v91, v163
	s_waitcnt lgkmcnt(1)
	v_dot4c_i32_i8_e32 v94, v96, v160
	v_dot4c_i32_i8_e32 v94, v97, v164
	s_waitcnt lgkmcnt(0)
	v_dot4c_i32_i8_e32 v94, v100, v161
	v_dot4c_i32_i8_e32 v94, v101, v165
	v_pk_mul_f16 v95, v114, v155
	v_add_u32_e32 v105, 0x4118, v149
	v_add_u32_e32 v108, 0x6188, v149
	v_cvt_f32_i32_e32 v94, v94
	v_add_u32_e32 v110, 0x6190, v149
	v_mov_b32_e32 v166, 0
	v_add_u32_e32 v112, 0x6198, v149
	v_fma_mix_f32 v94, v95, v94, v95 op_sel:[0,0,1] op_sel_hi:[1,0,1]
	s_add_i32 s0, s0, 4
	v_add_f32_e32 v71, v71, v94
	v_add_u32_e32 v94, 0x4100, v149
	ds_read_b32 v156, v152
	ds_read2_b32 v[94:95], v94 offset1:1
	ds_read2_b32 v[98:99], v98 offset1:1
	;; [unrolled: 1-line block ×4, first 2 shown]
	s_waitcnt lgkmcnt(4)
	v_pk_mul_f16 v105, v114, v156
	s_waitcnt lgkmcnt(3)
	v_dot4c_i32_i8_e32 v104, v94, v158
	v_dot4c_i32_i8_e32 v104, v95, v162
	s_waitcnt lgkmcnt(2)
	v_dot4c_i32_i8_e32 v104, v98, v159
	v_dot4c_i32_i8_e32 v104, v99, v163
	;; [unrolled: 3-line block ×4, first 2 shown]
	v_add_u32_e32 v152, 4, v152
	v_add_u32_e32 v151, 4, v151
	;; [unrolled: 1-line block ×3, first 2 shown]
	v_cvt_f32_i32_e32 v104, v104
	s_cmp_lt_u32 s0, 28
	v_fma_mix_f32 v104, v105, v104, v105 op_sel:[0,0,1] op_sel_hi:[1,0,1]
	s_nop 0
	v_add_f32_e32 v67, v67, v104
	v_add_u32_e32 v104, 0x6180, v149
	ds_read_b32 v157, v153
	ds_read2_b32 v[104:105], v104 offset1:1
	ds_read2_b32 v[108:109], v108 offset1:1
	;; [unrolled: 1-line block ×4, first 2 shown]
	s_waitcnt lgkmcnt(4)
	v_pk_mul_f16 v114, v114, v157
	s_waitcnt lgkmcnt(3)
	v_dot4c_i32_i8_e32 v166, v104, v158
	v_dot4c_i32_i8_e32 v166, v105, v162
	s_waitcnt lgkmcnt(2)
	v_dot4c_i32_i8_e32 v166, v108, v159
	v_dot4c_i32_i8_e32 v166, v109, v163
	;; [unrolled: 3-line block ×4, first 2 shown]
	v_add_u32_e32 v153, 4, v153
	v_add_u32_e32 v149, 32, v149
	s_nop 0
	v_cvt_f32_i32_e32 v158, v166
	v_pk_mul_f16 v166, v154, v115
	v_fma_mix_f32 v114, v114, v158, v114 op_sel:[0,0,1] op_sel_hi:[1,0,1]
	ds_read_b128 v[158:161], v148 offset:1024
	ds_read_b128 v[162:165], v148 offset:1040
	v_add_f32_e32 v65, v65, v114
	v_mov_b32_e32 v114, 0
	s_waitcnt lgkmcnt(1)
	v_dot4c_i32_i8_e32 v114, v82, v158
	s_waitcnt lgkmcnt(0)
	v_dot4c_i32_i8_e32 v114, v83, v162
	v_dot4c_i32_i8_e32 v114, v86, v159
	;; [unrolled: 1-line block ×7, first 2 shown]
	s_nop 2
	v_cvt_f32_i32_e32 v114, v114
	v_fma_mix_f32 v114, v114, v166, v166 op_sel:[0,0,1] op_sel_hi:[0,1,1]
	v_add_f32_e32 v63, v63, v114
	v_mov_b32_e32 v114, 0
	v_dot4c_i32_i8_e32 v114, v84, v158
	v_dot4c_i32_i8_e32 v114, v85, v162
	;; [unrolled: 1-line block ×8, first 2 shown]
	v_pk_mul_f16 v166, v155, v115
	s_nop 1
	v_cvt_f32_i32_e32 v114, v114
	v_fma_mix_f32 v114, v114, v166, v166 op_sel:[0,0,1] op_sel_hi:[0,1,1]
	v_add_f32_e32 v61, v61, v114
	v_mov_b32_e32 v114, 0
	v_dot4c_i32_i8_e32 v114, v94, v158
	v_dot4c_i32_i8_e32 v114, v95, v162
	;; [unrolled: 1-line block ×8, first 2 shown]
	v_pk_mul_f16 v166, v156, v115
	v_pk_mul_f16 v115, v157, v115
	s_nop 0
	v_cvt_f32_i32_e32 v114, v114
	v_fma_mix_f32 v114, v114, v166, v166 op_sel:[0,0,1] op_sel_hi:[0,1,1]
	v_add_f32_e32 v57, v57, v114
	v_mov_b32_e32 v114, 0
	v_dot4c_i32_i8_e32 v114, v104, v158
	v_dot4c_i32_i8_e32 v114, v105, v162
	;; [unrolled: 1-line block ×8, first 2 shown]
	v_mov_b32_e32 v166, 0
	s_nop 1
	v_cvt_f32_i32_e32 v114, v114
	v_fma_mix_f32 v114, v114, v115, v115 op_sel:[0,0,1] op_sel_hi:[0,1,1]
	v_add_f32_e32 v55, v55, v114
	ds_read_b128 v[158:161], v148 offset:2048
	ds_read_b128 v[162:165], v148 offset:2064
	ds_read2_b32 v[114:115], v147 offset0:64 offset1:96
	s_waitcnt lgkmcnt(2)
	v_dot4c_i32_i8_e32 v166, v82, v158
	s_waitcnt lgkmcnt(1)
	v_dot4c_i32_i8_e32 v166, v83, v162
	v_dot4c_i32_i8_e32 v166, v86, v159
	;; [unrolled: 1-line block ×7, first 2 shown]
	s_waitcnt lgkmcnt(0)
	v_pk_mul_f16 v167, v154, v114
	s_nop 0
	v_cvt_f32_i32_e32 v166, v166
	v_fma_mix_f32 v166, v166, v167, v167 op_sel:[0,0,1] op_sel_hi:[0,1,1]
	v_add_f32_e32 v53, v53, v166
	v_mov_b32_e32 v166, 0
	v_dot4c_i32_i8_e32 v166, v84, v158
	v_dot4c_i32_i8_e32 v166, v85, v162
	;; [unrolled: 1-line block ×8, first 2 shown]
	v_pk_mul_f16 v167, v155, v114
	s_nop 1
	v_cvt_f32_i32_e32 v166, v166
	v_fma_mix_f32 v166, v166, v167, v167 op_sel:[0,0,1] op_sel_hi:[0,1,1]
	v_add_f32_e32 v51, v51, v166
	v_mov_b32_e32 v166, 0
	v_dot4c_i32_i8_e32 v166, v94, v158
	v_dot4c_i32_i8_e32 v166, v95, v162
	;; [unrolled: 1-line block ×8, first 2 shown]
	v_pk_mul_f16 v167, v156, v114
	v_pk_mul_f16 v114, v157, v114
	s_nop 0
	v_cvt_f32_i32_e32 v166, v166
	v_fma_mix_f32 v166, v166, v167, v167 op_sel:[0,0,1] op_sel_hi:[0,1,1]
	v_add_f32_e32 v47, v47, v166
	v_mov_b32_e32 v166, 0
	v_dot4c_i32_i8_e32 v166, v104, v158
	v_dot4c_i32_i8_e32 v166, v105, v162
	;; [unrolled: 1-line block ×8, first 2 shown]
	s_nop 2
	v_cvt_f32_i32_e32 v158, v166
	v_pk_mul_f16 v166, v154, v115
	v_fma_mix_f32 v114, v158, v114, v114 op_sel:[0,0,1] op_sel_hi:[0,1,1]
	ds_read_b128 v[158:161], v148 offset:3072
	ds_read_b128 v[162:165], v148 offset:3088
	v_add_f32_e32 v43, v43, v114
	v_mov_b32_e32 v114, 0
	s_waitcnt lgkmcnt(1)
	v_dot4c_i32_i8_e32 v114, v82, v158
	s_waitcnt lgkmcnt(0)
	v_dot4c_i32_i8_e32 v114, v83, v162
	v_dot4c_i32_i8_e32 v114, v86, v159
	;; [unrolled: 1-line block ×7, first 2 shown]
	s_nop 2
	v_cvt_f32_i32_e32 v114, v114
	v_fma_mix_f32 v114, v114, v166, v166 op_sel:[0,0,1] op_sel_hi:[0,1,1]
	v_add_f32_e32 v41, v41, v114
	v_mov_b32_e32 v114, 0
	v_dot4c_i32_i8_e32 v114, v84, v158
	v_dot4c_i32_i8_e32 v114, v85, v162
	;; [unrolled: 1-line block ×8, first 2 shown]
	v_pk_mul_f16 v166, v155, v115
	s_nop 1
	v_cvt_f32_i32_e32 v114, v114
	v_fma_mix_f32 v114, v114, v166, v166 op_sel:[0,0,1] op_sel_hi:[0,1,1]
	v_add_f32_e32 v39, v39, v114
	v_mov_b32_e32 v114, 0
	v_dot4c_i32_i8_e32 v114, v94, v158
	v_dot4c_i32_i8_e32 v114, v95, v162
	;; [unrolled: 1-line block ×8, first 2 shown]
	v_pk_mul_f16 v166, v156, v115
	v_pk_mul_f16 v115, v157, v115
	s_nop 0
	v_cvt_f32_i32_e32 v114, v114
	v_fma_mix_f32 v114, v114, v166, v166 op_sel:[0,0,1] op_sel_hi:[0,1,1]
	v_add_f32_e32 v37, v37, v114
	v_mov_b32_e32 v114, 0
	v_dot4c_i32_i8_e32 v114, v104, v158
	v_dot4c_i32_i8_e32 v114, v105, v162
	;; [unrolled: 1-line block ×8, first 2 shown]
	v_mov_b32_e32 v166, 0
	s_nop 1
	v_cvt_f32_i32_e32 v114, v114
	v_fma_mix_f32 v114, v114, v115, v115 op_sel:[0,0,1] op_sel_hi:[0,1,1]
	v_add_f32_e32 v35, v35, v114
	ds_read_b128 v[158:161], v148 offset:4096
	ds_read_b128 v[162:165], v148 offset:4112
	ds_read2_b32 v[114:115], v147 offset0:128 offset1:160
	s_waitcnt lgkmcnt(2)
	v_dot4c_i32_i8_e32 v166, v82, v158
	s_waitcnt lgkmcnt(1)
	v_dot4c_i32_i8_e32 v166, v83, v162
	v_dot4c_i32_i8_e32 v166, v86, v159
	;; [unrolled: 1-line block ×7, first 2 shown]
	s_waitcnt lgkmcnt(0)
	v_pk_mul_f16 v167, v154, v114
	s_nop 0
	v_cvt_f32_i32_e32 v166, v166
	v_fma_mix_f32 v166, v166, v167, v167 op_sel:[0,0,1] op_sel_hi:[0,1,1]
	v_add_f32_e32 v33, v33, v166
	v_mov_b32_e32 v166, 0
	v_dot4c_i32_i8_e32 v166, v84, v158
	v_dot4c_i32_i8_e32 v166, v85, v162
	;; [unrolled: 1-line block ×8, first 2 shown]
	v_pk_mul_f16 v167, v155, v114
	s_nop 1
	v_cvt_f32_i32_e32 v166, v166
	v_fma_mix_f32 v166, v166, v167, v167 op_sel:[0,0,1] op_sel_hi:[0,1,1]
	v_add_f32_e32 v31, v31, v166
	v_mov_b32_e32 v166, 0
	v_dot4c_i32_i8_e32 v166, v94, v158
	v_dot4c_i32_i8_e32 v166, v95, v162
	;; [unrolled: 1-line block ×8, first 2 shown]
	v_pk_mul_f16 v167, v156, v114
	v_pk_mul_f16 v114, v157, v114
	s_nop 0
	v_cvt_f32_i32_e32 v166, v166
	v_fma_mix_f32 v166, v166, v167, v167 op_sel:[0,0,1] op_sel_hi:[0,1,1]
	v_add_f32_e32 v29, v29, v166
	v_mov_b32_e32 v166, 0
	v_dot4c_i32_i8_e32 v166, v104, v158
	v_dot4c_i32_i8_e32 v166, v105, v162
	;; [unrolled: 1-line block ×8, first 2 shown]
	s_nop 2
	v_cvt_f32_i32_e32 v158, v166
	v_pk_mul_f16 v166, v154, v115
	v_fma_mix_f32 v114, v158, v114, v114 op_sel:[0,0,1] op_sel_hi:[0,1,1]
	ds_read_b128 v[158:161], v148 offset:5120
	ds_read_b128 v[162:165], v148 offset:5136
	v_add_f32_e32 v27, v27, v114
	v_mov_b32_e32 v114, 0
	s_waitcnt lgkmcnt(1)
	v_dot4c_i32_i8_e32 v114, v82, v158
	s_waitcnt lgkmcnt(0)
	v_dot4c_i32_i8_e32 v114, v83, v162
	v_dot4c_i32_i8_e32 v114, v86, v159
	;; [unrolled: 1-line block ×7, first 2 shown]
	s_nop 2
	v_cvt_f32_i32_e32 v114, v114
	v_fma_mix_f32 v114, v114, v166, v166 op_sel:[0,0,1] op_sel_hi:[0,1,1]
	v_add_f32_e32 v25, v25, v114
	v_mov_b32_e32 v114, 0
	v_dot4c_i32_i8_e32 v114, v84, v158
	v_dot4c_i32_i8_e32 v114, v85, v162
	;; [unrolled: 1-line block ×8, first 2 shown]
	v_pk_mul_f16 v166, v155, v115
	s_nop 1
	v_cvt_f32_i32_e32 v114, v114
	v_fma_mix_f32 v114, v114, v166, v166 op_sel:[0,0,1] op_sel_hi:[0,1,1]
	v_add_f32_e32 v23, v23, v114
	v_mov_b32_e32 v114, 0
	v_dot4c_i32_i8_e32 v114, v94, v158
	v_dot4c_i32_i8_e32 v114, v95, v162
	;; [unrolled: 1-line block ×8, first 2 shown]
	v_pk_mul_f16 v166, v156, v115
	v_pk_mul_f16 v115, v157, v115
	s_nop 0
	v_cvt_f32_i32_e32 v114, v114
	v_fma_mix_f32 v114, v114, v166, v166 op_sel:[0,0,1] op_sel_hi:[0,1,1]
	v_add_f32_e32 v21, v21, v114
	v_mov_b32_e32 v114, 0
	v_dot4c_i32_i8_e32 v114, v104, v158
	v_dot4c_i32_i8_e32 v114, v105, v162
	;; [unrolled: 1-line block ×8, first 2 shown]
	v_mov_b32_e32 v166, 0
	s_nop 1
	v_cvt_f32_i32_e32 v114, v114
	v_fma_mix_f32 v114, v114, v115, v115 op_sel:[0,0,1] op_sel_hi:[0,1,1]
	v_add_f32_e32 v19, v19, v114
	ds_read_b128 v[158:161], v148 offset:6144
	ds_read_b128 v[162:165], v148 offset:6160
	ds_read2_b32 v[114:115], v147 offset0:192 offset1:224
	v_add_u32_e32 v147, 4, v147
	s_waitcnt lgkmcnt(2)
	v_dot4c_i32_i8_e32 v166, v82, v158
	s_waitcnt lgkmcnt(1)
	v_dot4c_i32_i8_e32 v166, v83, v162
	v_dot4c_i32_i8_e32 v166, v86, v159
	;; [unrolled: 1-line block ×7, first 2 shown]
	s_waitcnt lgkmcnt(0)
	v_pk_mul_f16 v167, v154, v114
	s_nop 0
	v_cvt_f32_i32_e32 v166, v166
	v_fma_mix_f32 v166, v166, v167, v167 op_sel:[0,0,1] op_sel_hi:[0,1,1]
	v_add_f32_e32 v17, v17, v166
	v_mov_b32_e32 v166, 0
	v_dot4c_i32_i8_e32 v166, v84, v158
	v_dot4c_i32_i8_e32 v166, v85, v162
	v_dot4c_i32_i8_e32 v166, v90, v159
	v_dot4c_i32_i8_e32 v166, v91, v163
	v_dot4c_i32_i8_e32 v166, v96, v160
	v_dot4c_i32_i8_e32 v166, v97, v164
	v_dot4c_i32_i8_e32 v166, v100, v161
	v_dot4c_i32_i8_e32 v166, v101, v165
	v_pk_mul_f16 v167, v155, v114
	s_nop 1
	v_cvt_f32_i32_e32 v166, v166
	v_fma_mix_f32 v166, v166, v167, v167 op_sel:[0,0,1] op_sel_hi:[0,1,1]
	v_add_f32_e32 v15, v15, v166
	v_mov_b32_e32 v166, 0
	v_dot4c_i32_i8_e32 v166, v94, v158
	v_dot4c_i32_i8_e32 v166, v95, v162
	;; [unrolled: 1-line block ×8, first 2 shown]
	v_pk_mul_f16 v167, v156, v114
	v_pk_mul_f16 v114, v157, v114
	s_nop 0
	v_cvt_f32_i32_e32 v166, v166
	v_fma_mix_f32 v166, v166, v167, v167 op_sel:[0,0,1] op_sel_hi:[0,1,1]
	v_add_f32_e32 v13, v13, v166
	v_mov_b32_e32 v166, 0
	v_dot4c_i32_i8_e32 v166, v104, v158
	v_dot4c_i32_i8_e32 v166, v105, v162
	v_dot4c_i32_i8_e32 v166, v108, v159
	v_dot4c_i32_i8_e32 v166, v109, v163
	v_dot4c_i32_i8_e32 v166, v110, v160
	v_dot4c_i32_i8_e32 v166, v111, v164
	v_dot4c_i32_i8_e32 v166, v112, v161
	v_dot4c_i32_i8_e32 v166, v113, v165
	s_nop 2
	v_cvt_f32_i32_e32 v158, v166
	v_fma_mix_f32 v114, v158, v114, v114 op_sel:[0,0,1] op_sel_hi:[0,1,1]
	ds_read_b128 v[158:161], v148 offset:7168
	ds_read_b128 v[162:165], v148 offset:7184
	v_add_f32_e32 v11, v11, v114
	v_mov_b32_e32 v114, 0
	v_add_u32_e32 v148, 32, v148
	s_waitcnt lgkmcnt(1)
	v_dot4c_i32_i8_e32 v114, v82, v158
	s_waitcnt lgkmcnt(0)
	v_dot4c_i32_i8_e32 v114, v83, v162
	v_dot4c_i32_i8_e32 v114, v86, v159
	v_dot4c_i32_i8_e32 v114, v87, v163
	v_dot4c_i32_i8_e32 v114, v88, v160
	v_dot4c_i32_i8_e32 v114, v89, v164
	v_dot4c_i32_i8_e32 v114, v92, v161
	v_dot4c_i32_i8_e32 v114, v93, v165
	v_pk_mul_f16 v82, v154, v115
	s_nop 1
	v_cvt_f32_i32_e32 v83, v114
	v_fma_mix_f32 v82, v83, v82, v82 op_sel:[0,0,1] op_sel_hi:[0,1,1]
	v_add_f32_e32 v9, v9, v82
	v_mov_b32_e32 v82, 0
	v_dot4c_i32_i8_e32 v82, v84, v158
	v_dot4c_i32_i8_e32 v82, v85, v162
	v_dot4c_i32_i8_e32 v82, v90, v159
	v_dot4c_i32_i8_e32 v82, v91, v163
	v_dot4c_i32_i8_e32 v82, v96, v160
	v_dot4c_i32_i8_e32 v82, v97, v164
	v_dot4c_i32_i8_e32 v82, v100, v161
	v_dot4c_i32_i8_e32 v82, v101, v165
	v_pk_mul_f16 v83, v155, v115
	s_nop 1
	v_cvt_f32_i32_e32 v82, v82
	v_fma_mix_f32 v82, v82, v83, v83 op_sel:[0,0,1] op_sel_hi:[0,1,1]
	v_add_f32_e32 v7, v7, v82
	v_mov_b32_e32 v82, 0
	v_dot4c_i32_i8_e32 v82, v94, v158
	;; [unrolled: 14-line block ×3, first 2 shown]
	v_dot4c_i32_i8_e32 v82, v105, v162
	v_dot4c_i32_i8_e32 v82, v108, v159
	v_dot4c_i32_i8_e32 v82, v109, v163
	v_dot4c_i32_i8_e32 v82, v110, v160
	v_dot4c_i32_i8_e32 v82, v111, v164
	v_dot4c_i32_i8_e32 v82, v112, v161
	v_dot4c_i32_i8_e32 v82, v113, v165
	v_pk_mul_f16 v83, v157, v115
	s_nop 1
	v_cvt_f32_i32_e32 v82, v82
	v_fma_mix_f32 v82, v82, v83, v83 op_sel:[0,0,1] op_sel_hi:[0,1,1]
	v_add_f32_e32 v1, v1, v82
	s_cbranch_scc1 .LBB164_10
; %bb.11:                               ;   in Loop: Header=BB164_6 Depth=1
	s_barrier
	s_branch .LBB164_5
.LBB164_12:
	v_mov_b32_e32 v2, v49
.LBB164_13:
	v_cmp_gt_u32_e32 vcc, s10, v59
	s_and_saveexec_b64 s[0:1], vcc
	s_cbranch_execz .LBB164_64
; %bb.14:
	v_add_u32_e32 v0, s6, v45
	v_mul_lo_u32 v8, v59, s14
	v_cmp_gt_u32_e32 vcc, s14, v0
	s_and_saveexec_b64 s[2:3], vcc
	s_cbranch_execz .LBB164_16
; %bb.15:
	v_bfe_u32 v3, v73, 16, 1
	s_movk_i32 s0, 0x7fff
	v_add3_u32 v3, v73, v3, s0
	v_lshrrev_b32_e32 v3, 16, v3
	v_mov_b32_e32 v4, 0x7fc0
	v_cmp_o_f32_e64 s[0:1], v73, v73
	v_add_u32_e32 v44, v0, v8
	v_mov_b32_e32 v45, 0
	v_cndmask_b32_e64 v3, v4, v3, s[0:1]
	s_waitcnt lgkmcnt(0)
	v_lshl_add_u64 v[44:45], v[44:45], 1, s[12:13]
	global_store_short v[44:45], v3, off
.LBB164_16:
	s_or_b64 exec, exec, s[2:3]
	v_add_u32_e32 v3, 32, v0
	v_cmp_gt_u32_e64 s[0:1], s14, v3
	s_and_saveexec_b64 s[4:5], s[0:1]
	s_cbranch_execz .LBB164_18
; %bb.17:
	v_bfe_u32 v4, v71, 16, 1
	s_movk_i32 s2, 0x7fff
	v_add3_u32 v4, v71, v4, s2
	v_lshrrev_b32_e32 v4, 16, v4
	v_mov_b32_e32 v6, 0x7fc0
	v_cmp_o_f32_e64 s[2:3], v71, v71
	v_add_u32_e32 v44, v3, v8
	v_mov_b32_e32 v45, 0
	v_cndmask_b32_e64 v4, v6, v4, s[2:3]
	s_waitcnt lgkmcnt(0)
	v_lshl_add_u64 v[44:45], v[44:45], 1, s[12:13]
	global_store_short v[44:45], v4, off
.LBB164_18:
	s_or_b64 exec, exec, s[4:5]
	v_add_u32_e32 v4, 64, v0
	v_cmp_gt_u32_e64 s[2:3], s14, v4
	s_and_saveexec_b64 s[6:7], s[2:3]
	;; [unrolled: 19-line block ×3, first 2 shown]
	s_cbranch_execz .LBB164_22
; %bb.21:
	v_bfe_u32 v10, v65, 16, 1
	s_movk_i32 s6, 0x7fff
	v_add3_u32 v10, v65, v10, s6
	v_lshrrev_b32_e32 v10, 16, v10
	v_mov_b32_e32 v12, 0x7fc0
	v_cmp_o_f32_e64 s[6:7], v65, v65
	v_add_u32_e32 v44, v6, v8
	v_mov_b32_e32 v45, 0
	v_cndmask_b32_e64 v10, v12, v10, s[6:7]
	s_waitcnt lgkmcnt(0)
	v_lshl_add_u64 v[44:45], v[44:45], 1, s[12:13]
	global_store_short v[44:45], v10, off
.LBB164_22:
	s_or_b64 exec, exec, s[8:9]
	v_add3_u32 v8, v2, s15, 8
	v_cmp_gt_u32_e64 s[6:7], s10, v8
	s_and_b64 exec, exec, s[6:7]
	s_cbranch_execz .LBB164_64
; %bb.23:
	v_mul_lo_u32 v8, v8, s14
	s_and_saveexec_b64 s[8:9], vcc
	s_cbranch_execnz .LBB164_65
; %bb.24:
	s_or_b64 exec, exec, s[8:9]
	s_and_saveexec_b64 s[8:9], s[0:1]
	s_cbranch_execnz .LBB164_66
.LBB164_25:
	s_or_b64 exec, exec, s[8:9]
	s_and_saveexec_b64 s[8:9], s[2:3]
	s_cbranch_execnz .LBB164_67
.LBB164_26:
	s_or_b64 exec, exec, s[8:9]
	s_and_saveexec_b64 s[8:9], s[4:5]
	s_cbranch_execz .LBB164_28
.LBB164_27:
	v_bfe_u32 v10, v55, 16, 1
	s_movk_i32 s6, 0x7fff
	v_add3_u32 v10, v55, v10, s6
	v_lshrrev_b32_e32 v10, 16, v10
	v_mov_b32_e32 v12, 0x7fc0
	v_cmp_o_f32_e64 s[6:7], v55, v55
	v_add_u32_e32 v44, v8, v6
	v_mov_b32_e32 v45, 0
	v_cndmask_b32_e64 v10, v12, v10, s[6:7]
	s_waitcnt lgkmcnt(0)
	v_lshl_add_u64 v[44:45], v[44:45], 1, s[12:13]
	global_store_short v[44:45], v10, off
.LBB164_28:
	s_or_b64 exec, exec, s[8:9]
	v_add3_u32 v8, v2, s15, 16
	v_cmp_gt_u32_e64 s[6:7], s10, v8
	s_and_b64 exec, exec, s[6:7]
	s_cbranch_execz .LBB164_64
; %bb.29:
	v_mul_lo_u32 v8, v8, s14
	s_and_saveexec_b64 s[8:9], vcc
	s_cbranch_execnz .LBB164_68
; %bb.30:
	s_or_b64 exec, exec, s[8:9]
	s_and_saveexec_b64 s[8:9], s[0:1]
	s_cbranch_execnz .LBB164_69
.LBB164_31:
	s_or_b64 exec, exec, s[8:9]
	s_and_saveexec_b64 s[8:9], s[2:3]
	s_cbranch_execnz .LBB164_70
.LBB164_32:
	s_or_b64 exec, exec, s[8:9]
	s_and_saveexec_b64 s[8:9], s[4:5]
	s_cbranch_execz .LBB164_34
.LBB164_33:
	v_bfe_u32 v10, v43, 16, 1
	s_movk_i32 s6, 0x7fff
	v_add3_u32 v10, v43, v10, s6
	v_lshrrev_b32_e32 v10, 16, v10
	v_mov_b32_e32 v12, 0x7fc0
	v_cmp_o_f32_e64 s[6:7], v43, v43
	v_add_u32_e32 v42, v8, v6
	v_mov_b32_e32 v43, 0
	v_cndmask_b32_e64 v10, v12, v10, s[6:7]
	s_waitcnt lgkmcnt(0)
	v_lshl_add_u64 v[42:43], v[42:43], 1, s[12:13]
	global_store_short v[42:43], v10, off
.LBB164_34:
	s_or_b64 exec, exec, s[8:9]
	v_add3_u32 v8, v2, s15, 24
	v_cmp_gt_u32_e64 s[6:7], s10, v8
	s_and_b64 exec, exec, s[6:7]
	s_cbranch_execz .LBB164_64
; %bb.35:
	v_mul_lo_u32 v8, v8, s14
	s_and_saveexec_b64 s[8:9], vcc
	s_cbranch_execnz .LBB164_71
; %bb.36:
	s_or_b64 exec, exec, s[8:9]
	s_and_saveexec_b64 s[8:9], s[0:1]
	s_cbranch_execnz .LBB164_72
.LBB164_37:
	s_or_b64 exec, exec, s[8:9]
	s_and_saveexec_b64 s[8:9], s[2:3]
	s_cbranch_execnz .LBB164_73
.LBB164_38:
	s_or_b64 exec, exec, s[8:9]
	s_and_saveexec_b64 s[8:9], s[4:5]
	s_cbranch_execz .LBB164_40
.LBB164_39:
	v_bfe_u32 v10, v35, 16, 1
	s_movk_i32 s6, 0x7fff
	v_add3_u32 v10, v35, v10, s6
	v_lshrrev_b32_e32 v10, 16, v10
	v_mov_b32_e32 v12, 0x7fc0
	v_cmp_o_f32_e64 s[6:7], v35, v35
	v_add_u32_e32 v34, v8, v6
	v_mov_b32_e32 v35, 0
	v_cndmask_b32_e64 v10, v12, v10, s[6:7]
	s_waitcnt lgkmcnt(0)
	v_lshl_add_u64 v[34:35], v[34:35], 1, s[12:13]
	global_store_short v[34:35], v10, off
.LBB164_40:
	s_or_b64 exec, exec, s[8:9]
	v_add3_u32 v8, v2, s15, 32
	v_cmp_gt_u32_e64 s[6:7], s10, v8
	s_and_b64 exec, exec, s[6:7]
	s_cbranch_execz .LBB164_64
; %bb.41:
	v_mul_lo_u32 v8, v8, s14
	s_and_saveexec_b64 s[8:9], vcc
	s_cbranch_execnz .LBB164_74
; %bb.42:
	s_or_b64 exec, exec, s[8:9]
	s_and_saveexec_b64 s[8:9], s[0:1]
	s_cbranch_execnz .LBB164_75
.LBB164_43:
	s_or_b64 exec, exec, s[8:9]
	s_and_saveexec_b64 s[8:9], s[2:3]
	s_cbranch_execnz .LBB164_76
.LBB164_44:
	s_or_b64 exec, exec, s[8:9]
	s_and_saveexec_b64 s[8:9], s[4:5]
	s_cbranch_execz .LBB164_46
.LBB164_45:
	v_bfe_u32 v10, v27, 16, 1
	s_movk_i32 s6, 0x7fff
	v_add3_u32 v10, v27, v10, s6
	v_lshrrev_b32_e32 v10, 16, v10
	v_mov_b32_e32 v12, 0x7fc0
	v_cmp_o_f32_e64 s[6:7], v27, v27
	v_add_u32_e32 v26, v8, v6
	v_mov_b32_e32 v27, 0
	v_cndmask_b32_e64 v10, v12, v10, s[6:7]
	s_waitcnt lgkmcnt(0)
	v_lshl_add_u64 v[26:27], v[26:27], 1, s[12:13]
	global_store_short v[26:27], v10, off
.LBB164_46:
	s_or_b64 exec, exec, s[8:9]
	v_add3_u32 v8, v2, s15, 40
	v_cmp_gt_u32_e64 s[6:7], s10, v8
	s_and_b64 exec, exec, s[6:7]
	s_cbranch_execz .LBB164_64
; %bb.47:
	v_mul_lo_u32 v8, v8, s14
	s_and_saveexec_b64 s[8:9], vcc
	s_cbranch_execnz .LBB164_77
; %bb.48:
	s_or_b64 exec, exec, s[8:9]
	s_and_saveexec_b64 s[8:9], s[0:1]
	s_cbranch_execnz .LBB164_78
.LBB164_49:
	s_or_b64 exec, exec, s[8:9]
	s_and_saveexec_b64 s[8:9], s[2:3]
	s_cbranch_execnz .LBB164_79
.LBB164_50:
	s_or_b64 exec, exec, s[8:9]
	s_and_saveexec_b64 s[8:9], s[4:5]
	s_cbranch_execz .LBB164_52
.LBB164_51:
	v_bfe_u32 v10, v19, 16, 1
	s_movk_i32 s6, 0x7fff
	v_add3_u32 v10, v19, v10, s6
	v_lshrrev_b32_e32 v10, 16, v10
	v_mov_b32_e32 v12, 0x7fc0
	v_cmp_o_f32_e64 s[6:7], v19, v19
	v_add_u32_e32 v18, v8, v6
	v_mov_b32_e32 v19, 0
	v_cndmask_b32_e64 v10, v12, v10, s[6:7]
	s_waitcnt lgkmcnt(0)
	v_lshl_add_u64 v[18:19], v[18:19], 1, s[12:13]
	global_store_short v[18:19], v10, off
.LBB164_52:
	s_or_b64 exec, exec, s[8:9]
	v_add3_u32 v8, v2, s15, 48
	v_cmp_gt_u32_e64 s[6:7], s10, v8
	s_and_b64 exec, exec, s[6:7]
	s_cbranch_execz .LBB164_64
; %bb.53:
	v_mul_lo_u32 v8, v8, s14
	s_and_saveexec_b64 s[8:9], vcc
	s_cbranch_execnz .LBB164_80
; %bb.54:
	s_or_b64 exec, exec, s[8:9]
	s_and_saveexec_b64 s[8:9], s[0:1]
	s_cbranch_execnz .LBB164_81
.LBB164_55:
	s_or_b64 exec, exec, s[8:9]
	s_and_saveexec_b64 s[8:9], s[2:3]
	s_cbranch_execnz .LBB164_82
.LBB164_56:
	s_or_b64 exec, exec, s[8:9]
	s_and_saveexec_b64 s[8:9], s[4:5]
	s_cbranch_execz .LBB164_58
.LBB164_57:
	v_bfe_u32 v10, v11, 16, 1
	s_movk_i32 s6, 0x7fff
	v_add3_u32 v10, v11, v10, s6
	v_lshrrev_b32_e32 v10, 16, v10
	v_mov_b32_e32 v12, 0x7fc0
	v_cmp_o_f32_e64 s[6:7], v11, v11
	v_mov_b32_e32 v11, 0
	s_nop 0
	v_cndmask_b32_e64 v12, v12, v10, s[6:7]
	v_add_u32_e32 v10, v8, v6
	s_waitcnt lgkmcnt(0)
	v_lshl_add_u64 v[10:11], v[10:11], 1, s[12:13]
	global_store_short v[10:11], v12, off
.LBB164_58:
	s_or_b64 exec, exec, s[8:9]
	v_add3_u32 v2, v2, s15, 56
	v_cmp_gt_u32_e64 s[6:7], s10, v2
	s_and_b64 exec, exec, s[6:7]
	s_cbranch_execz .LBB164_64
; %bb.59:
	v_mul_lo_u32 v2, v2, s14
	s_and_saveexec_b64 s[6:7], vcc
	s_cbranch_execnz .LBB164_83
; %bb.60:
	s_or_b64 exec, exec, s[6:7]
	s_and_saveexec_b64 s[6:7], s[0:1]
	s_cbranch_execnz .LBB164_84
.LBB164_61:
	s_or_b64 exec, exec, s[6:7]
	s_and_saveexec_b64 s[0:1], s[2:3]
	s_cbranch_execnz .LBB164_85
.LBB164_62:
	s_or_b64 exec, exec, s[0:1]
	s_and_b64 exec, exec, s[4:5]
	s_cbranch_execz .LBB164_64
.LBB164_63:
	v_bfe_u32 v0, v1, 16, 1
	s_movk_i32 s0, 0x7fff
	v_add3_u32 v0, v1, v0, s0
	v_lshrrev_b32_e32 v0, 16, v0
	v_mov_b32_e32 v3, 0x7fc0
	v_cmp_o_f32_e32 vcc, v1, v1
	v_mov_b32_e32 v1, 0
	s_nop 0
	v_cndmask_b32_e32 v3, v3, v0, vcc
	v_add_u32_e32 v0, v2, v6
	s_waitcnt lgkmcnt(0)
	v_lshl_add_u64 v[0:1], v[0:1], 1, s[12:13]
	global_store_short v[0:1], v3, off
.LBB164_64:
	s_endpgm
.LBB164_65:
	v_bfe_u32 v10, v63, 16, 1
	s_movk_i32 s6, 0x7fff
	v_add3_u32 v10, v63, v10, s6
	v_lshrrev_b32_e32 v10, 16, v10
	v_mov_b32_e32 v12, 0x7fc0
	v_cmp_o_f32_e64 s[6:7], v63, v63
	v_add_u32_e32 v44, v8, v0
	v_mov_b32_e32 v45, 0
	v_cndmask_b32_e64 v10, v12, v10, s[6:7]
	s_waitcnt lgkmcnt(0)
	v_lshl_add_u64 v[44:45], v[44:45], 1, s[12:13]
	global_store_short v[44:45], v10, off
	s_or_b64 exec, exec, s[8:9]
	s_and_saveexec_b64 s[8:9], s[0:1]
	s_cbranch_execz .LBB164_25
.LBB164_66:
	v_bfe_u32 v10, v61, 16, 1
	s_movk_i32 s6, 0x7fff
	v_add3_u32 v10, v61, v10, s6
	v_lshrrev_b32_e32 v10, 16, v10
	v_mov_b32_e32 v12, 0x7fc0
	v_cmp_o_f32_e64 s[6:7], v61, v61
	v_add_u32_e32 v44, v8, v3
	v_mov_b32_e32 v45, 0
	v_cndmask_b32_e64 v10, v12, v10, s[6:7]
	s_waitcnt lgkmcnt(0)
	v_lshl_add_u64 v[44:45], v[44:45], 1, s[12:13]
	global_store_short v[44:45], v10, off
	s_or_b64 exec, exec, s[8:9]
	s_and_saveexec_b64 s[8:9], s[2:3]
	s_cbranch_execz .LBB164_26
.LBB164_67:
	v_bfe_u32 v10, v57, 16, 1
	s_movk_i32 s6, 0x7fff
	v_add3_u32 v10, v57, v10, s6
	v_lshrrev_b32_e32 v10, 16, v10
	v_mov_b32_e32 v12, 0x7fc0
	v_cmp_o_f32_e64 s[6:7], v57, v57
	v_add_u32_e32 v44, v8, v4
	v_mov_b32_e32 v45, 0
	v_cndmask_b32_e64 v10, v12, v10, s[6:7]
	s_waitcnt lgkmcnt(0)
	v_lshl_add_u64 v[44:45], v[44:45], 1, s[12:13]
	global_store_short v[44:45], v10, off
	s_or_b64 exec, exec, s[8:9]
	s_and_saveexec_b64 s[8:9], s[4:5]
	s_cbranch_execnz .LBB164_27
	s_branch .LBB164_28
.LBB164_68:
	v_bfe_u32 v10, v53, 16, 1
	s_movk_i32 s6, 0x7fff
	v_add3_u32 v10, v53, v10, s6
	v_lshrrev_b32_e32 v10, 16, v10
	v_mov_b32_e32 v12, 0x7fc0
	v_cmp_o_f32_e64 s[6:7], v53, v53
	v_add_u32_e32 v44, v8, v0
	v_mov_b32_e32 v45, 0
	v_cndmask_b32_e64 v10, v12, v10, s[6:7]
	s_waitcnt lgkmcnt(0)
	v_lshl_add_u64 v[44:45], v[44:45], 1, s[12:13]
	global_store_short v[44:45], v10, off
	s_or_b64 exec, exec, s[8:9]
	s_and_saveexec_b64 s[8:9], s[0:1]
	s_cbranch_execz .LBB164_31
.LBB164_69:
	v_bfe_u32 v10, v51, 16, 1
	s_movk_i32 s6, 0x7fff
	v_add3_u32 v10, v51, v10, s6
	v_lshrrev_b32_e32 v10, 16, v10
	v_mov_b32_e32 v12, 0x7fc0
	v_cmp_o_f32_e64 s[6:7], v51, v51
	v_add_u32_e32 v44, v8, v3
	v_mov_b32_e32 v45, 0
	v_cndmask_b32_e64 v10, v12, v10, s[6:7]
	s_waitcnt lgkmcnt(0)
	v_lshl_add_u64 v[44:45], v[44:45], 1, s[12:13]
	global_store_short v[44:45], v10, off
	s_or_b64 exec, exec, s[8:9]
	s_and_saveexec_b64 s[8:9], s[2:3]
	s_cbranch_execz .LBB164_32
.LBB164_70:
	v_bfe_u32 v10, v47, 16, 1
	s_movk_i32 s6, 0x7fff
	v_add3_u32 v10, v47, v10, s6
	v_lshrrev_b32_e32 v10, 16, v10
	v_mov_b32_e32 v12, 0x7fc0
	v_cmp_o_f32_e64 s[6:7], v47, v47
	v_add_u32_e32 v44, v8, v4
	v_mov_b32_e32 v45, 0
	v_cndmask_b32_e64 v10, v12, v10, s[6:7]
	s_waitcnt lgkmcnt(0)
	v_lshl_add_u64 v[44:45], v[44:45], 1, s[12:13]
	global_store_short v[44:45], v10, off
	s_or_b64 exec, exec, s[8:9]
	s_and_saveexec_b64 s[8:9], s[4:5]
	s_cbranch_execnz .LBB164_33
	s_branch .LBB164_34
.LBB164_71:
	v_bfe_u32 v10, v41, 16, 1
	s_movk_i32 s6, 0x7fff
	v_add3_u32 v10, v41, v10, s6
	v_lshrrev_b32_e32 v10, 16, v10
	v_mov_b32_e32 v12, 0x7fc0
	v_cmp_o_f32_e64 s[6:7], v41, v41
	v_add_u32_e32 v40, v8, v0
	v_mov_b32_e32 v41, 0
	v_cndmask_b32_e64 v10, v12, v10, s[6:7]
	s_waitcnt lgkmcnt(0)
	v_lshl_add_u64 v[40:41], v[40:41], 1, s[12:13]
	global_store_short v[40:41], v10, off
	s_or_b64 exec, exec, s[8:9]
	s_and_saveexec_b64 s[8:9], s[0:1]
	s_cbranch_execz .LBB164_37
.LBB164_72:
	v_bfe_u32 v10, v39, 16, 1
	s_movk_i32 s6, 0x7fff
	v_add3_u32 v10, v39, v10, s6
	v_lshrrev_b32_e32 v10, 16, v10
	v_mov_b32_e32 v12, 0x7fc0
	v_cmp_o_f32_e64 s[6:7], v39, v39
	v_add_u32_e32 v38, v8, v3
	v_mov_b32_e32 v39, 0
	v_cndmask_b32_e64 v10, v12, v10, s[6:7]
	s_waitcnt lgkmcnt(0)
	v_lshl_add_u64 v[38:39], v[38:39], 1, s[12:13]
	global_store_short v[38:39], v10, off
	s_or_b64 exec, exec, s[8:9]
	s_and_saveexec_b64 s[8:9], s[2:3]
	s_cbranch_execz .LBB164_38
.LBB164_73:
	v_bfe_u32 v10, v37, 16, 1
	s_movk_i32 s6, 0x7fff
	v_add3_u32 v10, v37, v10, s6
	v_lshrrev_b32_e32 v10, 16, v10
	v_mov_b32_e32 v12, 0x7fc0
	v_cmp_o_f32_e64 s[6:7], v37, v37
	v_add_u32_e32 v36, v8, v4
	v_mov_b32_e32 v37, 0
	v_cndmask_b32_e64 v10, v12, v10, s[6:7]
	s_waitcnt lgkmcnt(0)
	v_lshl_add_u64 v[36:37], v[36:37], 1, s[12:13]
	global_store_short v[36:37], v10, off
	s_or_b64 exec, exec, s[8:9]
	s_and_saveexec_b64 s[8:9], s[4:5]
	s_cbranch_execnz .LBB164_39
	s_branch .LBB164_40
.LBB164_74:
	v_bfe_u32 v10, v33, 16, 1
	s_movk_i32 s6, 0x7fff
	v_add3_u32 v10, v33, v10, s6
	v_lshrrev_b32_e32 v10, 16, v10
	v_mov_b32_e32 v12, 0x7fc0
	v_cmp_o_f32_e64 s[6:7], v33, v33
	v_add_u32_e32 v32, v8, v0
	v_mov_b32_e32 v33, 0
	v_cndmask_b32_e64 v10, v12, v10, s[6:7]
	s_waitcnt lgkmcnt(0)
	v_lshl_add_u64 v[32:33], v[32:33], 1, s[12:13]
	global_store_short v[32:33], v10, off
	s_or_b64 exec, exec, s[8:9]
	s_and_saveexec_b64 s[8:9], s[0:1]
	s_cbranch_execz .LBB164_43
.LBB164_75:
	v_bfe_u32 v10, v31, 16, 1
	s_movk_i32 s6, 0x7fff
	v_add3_u32 v10, v31, v10, s6
	v_lshrrev_b32_e32 v10, 16, v10
	v_mov_b32_e32 v12, 0x7fc0
	v_cmp_o_f32_e64 s[6:7], v31, v31
	v_add_u32_e32 v30, v8, v3
	v_mov_b32_e32 v31, 0
	v_cndmask_b32_e64 v10, v12, v10, s[6:7]
	s_waitcnt lgkmcnt(0)
	v_lshl_add_u64 v[30:31], v[30:31], 1, s[12:13]
	global_store_short v[30:31], v10, off
	s_or_b64 exec, exec, s[8:9]
	s_and_saveexec_b64 s[8:9], s[2:3]
	s_cbranch_execz .LBB164_44
.LBB164_76:
	v_bfe_u32 v10, v29, 16, 1
	s_movk_i32 s6, 0x7fff
	v_add3_u32 v10, v29, v10, s6
	v_lshrrev_b32_e32 v10, 16, v10
	v_mov_b32_e32 v12, 0x7fc0
	v_cmp_o_f32_e64 s[6:7], v29, v29
	v_add_u32_e32 v28, v8, v4
	v_mov_b32_e32 v29, 0
	v_cndmask_b32_e64 v10, v12, v10, s[6:7]
	s_waitcnt lgkmcnt(0)
	v_lshl_add_u64 v[28:29], v[28:29], 1, s[12:13]
	global_store_short v[28:29], v10, off
	s_or_b64 exec, exec, s[8:9]
	s_and_saveexec_b64 s[8:9], s[4:5]
	s_cbranch_execnz .LBB164_45
	s_branch .LBB164_46
.LBB164_77:
	v_bfe_u32 v10, v25, 16, 1
	s_movk_i32 s6, 0x7fff
	v_add3_u32 v10, v25, v10, s6
	v_lshrrev_b32_e32 v10, 16, v10
	v_mov_b32_e32 v12, 0x7fc0
	v_cmp_o_f32_e64 s[6:7], v25, v25
	v_add_u32_e32 v24, v8, v0
	v_mov_b32_e32 v25, 0
	v_cndmask_b32_e64 v10, v12, v10, s[6:7]
	s_waitcnt lgkmcnt(0)
	v_lshl_add_u64 v[24:25], v[24:25], 1, s[12:13]
	global_store_short v[24:25], v10, off
	s_or_b64 exec, exec, s[8:9]
	s_and_saveexec_b64 s[8:9], s[0:1]
	s_cbranch_execz .LBB164_49
.LBB164_78:
	v_bfe_u32 v10, v23, 16, 1
	s_movk_i32 s6, 0x7fff
	v_add3_u32 v10, v23, v10, s6
	v_lshrrev_b32_e32 v10, 16, v10
	v_mov_b32_e32 v12, 0x7fc0
	v_cmp_o_f32_e64 s[6:7], v23, v23
	v_add_u32_e32 v22, v8, v3
	v_mov_b32_e32 v23, 0
	v_cndmask_b32_e64 v10, v12, v10, s[6:7]
	s_waitcnt lgkmcnt(0)
	v_lshl_add_u64 v[22:23], v[22:23], 1, s[12:13]
	global_store_short v[22:23], v10, off
	s_or_b64 exec, exec, s[8:9]
	s_and_saveexec_b64 s[8:9], s[2:3]
	s_cbranch_execz .LBB164_50
.LBB164_79:
	v_bfe_u32 v10, v21, 16, 1
	s_movk_i32 s6, 0x7fff
	v_add3_u32 v10, v21, v10, s6
	v_lshrrev_b32_e32 v10, 16, v10
	v_mov_b32_e32 v12, 0x7fc0
	v_cmp_o_f32_e64 s[6:7], v21, v21
	v_add_u32_e32 v20, v8, v4
	v_mov_b32_e32 v21, 0
	v_cndmask_b32_e64 v10, v12, v10, s[6:7]
	s_waitcnt lgkmcnt(0)
	v_lshl_add_u64 v[20:21], v[20:21], 1, s[12:13]
	global_store_short v[20:21], v10, off
	s_or_b64 exec, exec, s[8:9]
	s_and_saveexec_b64 s[8:9], s[4:5]
	s_cbranch_execnz .LBB164_51
	s_branch .LBB164_52
.LBB164_80:
	v_bfe_u32 v10, v17, 16, 1
	s_movk_i32 s6, 0x7fff
	v_add3_u32 v10, v17, v10, s6
	v_lshrrev_b32_e32 v10, 16, v10
	v_mov_b32_e32 v12, 0x7fc0
	v_cmp_o_f32_e64 s[6:7], v17, v17
	v_add_u32_e32 v16, v8, v0
	v_mov_b32_e32 v17, 0
	v_cndmask_b32_e64 v10, v12, v10, s[6:7]
	s_waitcnt lgkmcnt(0)
	v_lshl_add_u64 v[16:17], v[16:17], 1, s[12:13]
	global_store_short v[16:17], v10, off
	s_or_b64 exec, exec, s[8:9]
	s_and_saveexec_b64 s[8:9], s[0:1]
	s_cbranch_execz .LBB164_55
.LBB164_81:
	v_bfe_u32 v10, v15, 16, 1
	s_movk_i32 s6, 0x7fff
	v_add3_u32 v10, v15, v10, s6
	v_lshrrev_b32_e32 v10, 16, v10
	v_mov_b32_e32 v12, 0x7fc0
	v_cmp_o_f32_e64 s[6:7], v15, v15
	v_add_u32_e32 v14, v8, v3
	v_mov_b32_e32 v15, 0
	v_cndmask_b32_e64 v10, v12, v10, s[6:7]
	s_waitcnt lgkmcnt(0)
	v_lshl_add_u64 v[14:15], v[14:15], 1, s[12:13]
	global_store_short v[14:15], v10, off
	s_or_b64 exec, exec, s[8:9]
	s_and_saveexec_b64 s[8:9], s[2:3]
	s_cbranch_execz .LBB164_56
.LBB164_82:
	v_bfe_u32 v10, v13, 16, 1
	s_movk_i32 s6, 0x7fff
	v_add3_u32 v10, v13, v10, s6
	v_lshrrev_b32_e32 v10, 16, v10
	v_mov_b32_e32 v12, 0x7fc0
	v_cmp_o_f32_e64 s[6:7], v13, v13
	v_mov_b32_e32 v13, 0
	s_nop 0
	v_cndmask_b32_e64 v10, v12, v10, s[6:7]
	v_add_u32_e32 v12, v8, v4
	s_waitcnt lgkmcnt(0)
	v_lshl_add_u64 v[12:13], v[12:13], 1, s[12:13]
	global_store_short v[12:13], v10, off
	s_or_b64 exec, exec, s[8:9]
	s_and_saveexec_b64 s[8:9], s[4:5]
	s_cbranch_execnz .LBB164_57
	s_branch .LBB164_58
.LBB164_83:
	v_bfe_u32 v8, v9, 16, 1
	s_movk_i32 s8, 0x7fff
	v_add3_u32 v8, v9, v8, s8
	v_lshrrev_b32_e32 v8, 16, v8
	v_mov_b32_e32 v10, 0x7fc0
	v_cmp_o_f32_e32 vcc, v9, v9
	v_mov_b32_e32 v9, 0
	s_nop 0
	v_cndmask_b32_e32 v10, v10, v8, vcc
	v_add_u32_e32 v8, v2, v0
	s_waitcnt lgkmcnt(0)
	v_lshl_add_u64 v[8:9], v[8:9], 1, s[12:13]
	global_store_short v[8:9], v10, off
	s_or_b64 exec, exec, s[6:7]
	s_and_saveexec_b64 s[6:7], s[0:1]
	s_cbranch_execz .LBB164_61
.LBB164_84:
	v_bfe_u32 v0, v7, 16, 1
	s_movk_i32 s0, 0x7fff
	v_add3_u32 v0, v7, v0, s0
	v_lshrrev_b32_e32 v0, 16, v0
	v_mov_b32_e32 v8, 0x7fc0
	v_cmp_o_f32_e32 vcc, v7, v7
	v_mov_b32_e32 v9, 0
	s_nop 0
	v_cndmask_b32_e32 v0, v8, v0, vcc
	v_add_u32_e32 v8, v2, v3
	s_waitcnt lgkmcnt(0)
	v_lshl_add_u64 v[8:9], v[8:9], 1, s[12:13]
	global_store_short v[8:9], v0, off
	s_or_b64 exec, exec, s[6:7]
	s_and_saveexec_b64 s[0:1], s[2:3]
	s_cbranch_execz .LBB164_62
.LBB164_85:
	v_bfe_u32 v0, v5, 16, 1
	s_movk_i32 s2, 0x7fff
	v_add3_u32 v0, v5, v0, s2
	v_lshrrev_b32_e32 v0, 16, v0
	v_mov_b32_e32 v3, 0x7fc0
	v_cmp_o_f32_e32 vcc, v5, v5
	v_add_u32_e32 v4, v2, v4
	v_mov_b32_e32 v5, 0
	v_cndmask_b32_e32 v0, v3, v0, vcc
	s_waitcnt lgkmcnt(0)
	v_lshl_add_u64 v[4:5], v[4:5], 1, s[12:13]
	global_store_short v[4:5], v0, off
	s_or_b64 exec, exec, s[0:1]
	s_and_b64 exec, exec, s[4:5]
	s_cbranch_execnz .LBB164_63
	s_branch .LBB164_64
	.section	.rodata,"a",@progbits
	.p2align	6, 0x0
	.amdhsa_kernel _ZL12mul_mat_q5_1IN3c108BFloat16ELb1EEvPKvS3_PT_iiiii
		.amdhsa_group_segment_fixed_size 46720
		.amdhsa_private_segment_fixed_size 0
		.amdhsa_kernarg_size 44
		.amdhsa_user_sgpr_count 2
		.amdhsa_user_sgpr_dispatch_ptr 0
		.amdhsa_user_sgpr_queue_ptr 0
		.amdhsa_user_sgpr_kernarg_segment_ptr 1
		.amdhsa_user_sgpr_dispatch_id 0
		.amdhsa_user_sgpr_kernarg_preload_length 0
		.amdhsa_user_sgpr_kernarg_preload_offset 0
		.amdhsa_user_sgpr_private_segment_size 0
		.amdhsa_uses_dynamic_stack 0
		.amdhsa_enable_private_segment 0
		.amdhsa_system_sgpr_workgroup_id_x 1
		.amdhsa_system_sgpr_workgroup_id_y 1
		.amdhsa_system_sgpr_workgroup_id_z 0
		.amdhsa_system_sgpr_workgroup_info 0
		.amdhsa_system_vgpr_workitem_id 1
		.amdhsa_next_free_vgpr 169
		.amdhsa_next_free_sgpr 18
		.amdhsa_accum_offset 172
		.amdhsa_reserve_vcc 1
		.amdhsa_float_round_mode_32 0
		.amdhsa_float_round_mode_16_64 0
		.amdhsa_float_denorm_mode_32 3
		.amdhsa_float_denorm_mode_16_64 3
		.amdhsa_dx10_clamp 1
		.amdhsa_ieee_mode 1
		.amdhsa_fp16_overflow 0
		.amdhsa_tg_split 0
		.amdhsa_exception_fp_ieee_invalid_op 0
		.amdhsa_exception_fp_denorm_src 0
		.amdhsa_exception_fp_ieee_div_zero 0
		.amdhsa_exception_fp_ieee_overflow 0
		.amdhsa_exception_fp_ieee_underflow 0
		.amdhsa_exception_fp_ieee_inexact 0
		.amdhsa_exception_int_div_zero 0
	.end_amdhsa_kernel
	.section	.text._ZL12mul_mat_q5_1IN3c108BFloat16ELb1EEvPKvS3_PT_iiiii,"axG",@progbits,_ZL12mul_mat_q5_1IN3c108BFloat16ELb1EEvPKvS3_PT_iiiii,comdat
.Lfunc_end164:
	.size	_ZL12mul_mat_q5_1IN3c108BFloat16ELb1EEvPKvS3_PT_iiiii, .Lfunc_end164-_ZL12mul_mat_q5_1IN3c108BFloat16ELb1EEvPKvS3_PT_iiiii
                                        ; -- End function
	.section	.AMDGPU.csdata,"",@progbits
; Kernel info:
; codeLenInByte = 14244
; NumSgprs: 24
; NumVgprs: 169
; NumAgprs: 0
; TotalNumVgprs: 169
; ScratchSize: 0
; MemoryBound: 0
; FloatMode: 240
; IeeeMode: 1
; LDSByteSize: 46720 bytes/workgroup (compile time only)
; SGPRBlocks: 2
; VGPRBlocks: 21
; NumSGPRsForWavesPerEU: 24
; NumVGPRsForWavesPerEU: 169
; AccumOffset: 172
; Occupancy: 1
; WaveLimiterHint : 0
; COMPUTE_PGM_RSRC2:SCRATCH_EN: 0
; COMPUTE_PGM_RSRC2:USER_SGPR: 2
; COMPUTE_PGM_RSRC2:TRAP_HANDLER: 0
; COMPUTE_PGM_RSRC2:TGID_X_EN: 1
; COMPUTE_PGM_RSRC2:TGID_Y_EN: 1
; COMPUTE_PGM_RSRC2:TGID_Z_EN: 0
; COMPUTE_PGM_RSRC2:TIDIG_COMP_CNT: 1
; COMPUTE_PGM_RSRC3_GFX90A:ACCUM_OFFSET: 42
; COMPUTE_PGM_RSRC3_GFX90A:TG_SPLIT: 0
	.section	.text._ZL12mul_mat_q8_0IN3c108BFloat16ELb0EEvPKvS3_PT_iiiii,"axG",@progbits,_ZL12mul_mat_q8_0IN3c108BFloat16ELb0EEvPKvS3_PT_iiiii,comdat
	.globl	_ZL12mul_mat_q8_0IN3c108BFloat16ELb0EEvPKvS3_PT_iiiii ; -- Begin function _ZL12mul_mat_q8_0IN3c108BFloat16ELb0EEvPKvS3_PT_iiiii
	.p2align	8
	.type	_ZL12mul_mat_q8_0IN3c108BFloat16ELb0EEvPKvS3_PT_iiiii,@function
_ZL12mul_mat_q8_0IN3c108BFloat16ELb0EEvPKvS3_PT_iiiii: ; @_ZL12mul_mat_q8_0IN3c108BFloat16ELb0EEvPKvS3_PT_iiiii
; %bb.0:
	s_load_dword s7, s[0:1], 0x18
	s_load_dwordx4 s[8:11], s[0:1], 0x20
	s_waitcnt lgkmcnt(0)
	s_lshl_b32 s11, s3, 6
	v_bfe_u32 v37, v0, 10, 10
	s_cmp_gt_i32 s7, 31
	s_cbranch_scc1 .LBB165_2
; %bb.1:
	v_bfe_u32 v34, v0, 10, 10
	v_and_b32_e32 v1, 0x3ff, v0
	v_add_u32_e32 v39, s11, v34
	s_mov_b64 s[4:5], 0
	s_mov_b32 s3, 0
	s_branch .LBB165_3
.LBB165_2:
	s_mov_b64 s[4:5], -1
                                        ; implicit-def: $sgpr3
                                        ; implicit-def: $vgpr34
                                        ; implicit-def: $vgpr1
                                        ; implicit-def: $vgpr39
.LBB165_3:
	s_load_dwordx2 s[12:13], s[0:1], 0x10
	s_lshl_b32 s6, s2, 7
	s_andn2_b64 vcc, exec, s[4:5]
	v_mov_b32_e32 v3, s3
	v_mov_b32_e32 v2, s3
	;; [unrolled: 1-line block ×32, first 2 shown]
	s_cbranch_vccnz .LBB165_9
; %bb.4:
	s_ashr_i32 s4, s7, 31
	s_load_dwordx4 s[0:3], s[0:1], 0x0
	s_lshr_b32 s4, s4, 27
	s_ashr_i32 s5, s9, 31
	s_add_i32 s7, s7, s4
	s_lshr_b32 s5, s5, 27
	s_ashr_i32 s4, s7, 5
	s_add_i32 s5, s9, s5
	s_ashr_i32 s9, s5, 5
	s_mul_i32 s5, s4, s6
	s_mul_hi_i32 s7, s5, 34
	s_mul_i32 s5, s5, 34
	s_waitcnt lgkmcnt(0)
	s_add_u32 s5, s0, s5
	v_and_b32_e32 v1, 0x3ff, v0
	s_addc_u32 s7, s1, s7
	v_lshlrev_b32_e32 v2, 2, v1
	s_movk_i32 s1, 0x84
	v_mul_lo_u32 v36, s4, v37
	v_mad_u32_u24 v41, v37, s1, v2
	s_lshl_b32 s1, s4, 3
	v_add_u32_e32 v38, s1, v36
	v_add_u32_e32 v40, s1, v38
	;; [unrolled: 1-line block ×11, first 2 shown]
	v_and_b32_e32 v34, 28, v2
	v_add_u32_e32 v60, s1, v58
	v_lshlrev_b32_e32 v2, 3, v37
	v_lshrrev_b32_e32 v3, 2, v1
	v_add_u32_e32 v62, s1, v60
	v_add_u32_e32 v4, v3, v2
	v_add_u16_e32 v2, v3, v2
	v_add_u32_e32 v64, s1, v62
	v_and_b32_e32 v68, 3, v1
	v_lshrrev_b16_e32 v2, 1, v2
	v_add_u32_e32 v66, s1, v64
	v_and_b32_e32 v2, 0x7fc, v2
	v_lshlrev_b32_e32 v5, 2, v68
	s_movk_i32 s1, 0x6200
	v_add3_u32 v6, v2, v5, s1
	v_add_u32_e32 v2, 64, v4
	v_mul_lo_u32 v70, s4, v4
	v_lshlrev_b32_e32 v7, 4, v4
	v_lshrrev_b32_e32 v3, 1, v2
	v_and_b32_e32 v4, 63, v4
	v_and_b32_e32 v3, 0xffc, v3
	v_add_u32_e32 v39, s11, v37
	s_add_i32 s14, s8, -1
	v_or_b32_e32 v11, s11, v4
	v_lshl_or_b32 v4, v4, 4, v5
	v_add3_u32 v8, v3, v5, s1
	v_lshlrev_b32_e32 v9, 4, v2
	v_cvt_f64_i32_e32 v[2:3], s14
	v_add_u32_e32 v73, 0x6a40, v4
	v_cvt_f64_u32_e32 v[4:5], v39
	v_add_u32_e32 v69, 0x39c0, v41
	v_min_i32_e32 v11, s14, v11
	v_min_f64 v[4:5], v[4:5], v[2:3]
	v_mad_u64_u32 v[76:77], s[14:15], v11, s9, v[68:69]
	v_cvt_i32_f64_e32 v4, v[4:5]
	v_mul_lo_u32 v77, s9, v4
	v_add_u32_e32 v4, 8, v39
	v_cvt_f64_u32_e32 v[4:5], v4
	v_min_f64 v[4:5], v[4:5], v[2:3]
	v_cvt_i32_f64_e32 v4, v[4:5]
	v_mul_lo_u32 v81, s9, v4
	v_add_u32_e32 v4, 16, v39
	v_cvt_f64_u32_e32 v[4:5], v4
	v_min_f64 v[4:5], v[4:5], v[2:3]
	v_cvt_i32_f64_e32 v4, v[4:5]
	v_mul_lo_u32 v87, s9, v4
	v_add_u32_e32 v4, 24, v39
	v_cvt_f64_u32_e32 v[4:5], v4
	v_min_f64 v[4:5], v[4:5], v[2:3]
	v_cvt_i32_f64_e32 v4, v[4:5]
	v_mul_lo_u32 v121, s9, v4
	v_add_u32_e32 v4, 32, v39
	v_cvt_f64_u32_e32 v[4:5], v4
	v_min_f64 v[4:5], v[4:5], v[2:3]
	v_cvt_i32_f64_e32 v4, v[4:5]
	v_mul_lo_u32 v123, s9, v4
	v_add_u32_e32 v4, 40, v39
	v_cvt_f64_u32_e32 v[4:5], v4
	v_min_f64 v[4:5], v[4:5], v[2:3]
	v_cvt_i32_f64_e32 v4, v[4:5]
	v_mul_lo_u32 v125, s9, v4
	v_add_u32_e32 v4, 48, v39
	v_cvt_f64_u32_e32 v[4:5], v4
	v_min_f64 v[4:5], v[4:5], v[2:3]
	v_cvt_i32_f64_e32 v4, v[4:5]
	v_mul_lo_u32 v127, s9, v4
	v_add_u32_e32 v4, 56, v39
	v_cvt_f64_u32_e32 v[4:5], v4
	v_min_f64 v[2:3], v[4:5], v[2:3]
	v_add_u32_e32 v4, 0x60, v1
	v_cvt_i32_f64_e32 v2, v[2:3]
	v_add_u32_e32 v3, 64, v1
	v_lshrrev_b32_e32 v4, 1, v4
	v_mul_lo_u32 v129, s9, v2
	v_add_u32_e32 v2, 32, v1
	v_lshlrev_b32_e32 v5, 4, v1
	v_and_b32_e32 v4, 0xfc, v4
	s_movk_i32 s9, 0x6800
	v_lshrrev_b32_e32 v3, 1, v3
	v_add3_u32 v133, v5, v4, s9
	v_and_b32_e32 v3, 0xfc, v3
	s_movk_i32 s9, 0x6600
	v_lshrrev_b32_e32 v2, 1, v2
	v_lshrrev_b32_e32 v0, 3, v1
	v_add3_u32 v134, v5, v3, s9
	v_and_b32_e32 v2, 0xfc, v2
	s_movk_i32 s9, 0x6400
	s_mov_b32 s0, 0
	v_and_b32_e32 v10, 31, v1
	v_lshlrev_b32_e32 v11, 7, v37
	v_add3_u32 v135, v5, v2, s9
	v_lshlrev_b32_e32 v2, 2, v0
	v_mov_b32_e32 v35, 0
	v_lshl_or_b32 v10, v10, 2, v11
	v_add3_u32 v136, v5, v2, s1
	v_mov_b32_e32 v2, 0x6a40
	s_mov_b32 s1, s0
	v_add_u32_e32 v43, 0x420, v41
	v_add_u32_e32 v45, 0x840, v41
	;; [unrolled: 1-line block ×14, first 2 shown]
	v_lshl_add_u32 v72, s4, 6, v70
	v_lshl_add_u64 v[74:75], s[2:3], 0, v[34:35]
	v_add_u32_e32 v79, 0x4200, v10
	v_add_u32_e32 v83, 0x4600, v10
	;; [unrolled: 1-line block ×8, first 2 shown]
	v_mul_u32_u24_e32 v131, 0x84, v1
	v_add_u32_e32 v132, 0x4200, v11
	v_lshl_add_u32 v137, v37, 4, v2
	v_mov_b64_e32 v[32:33], s[0:1]
	v_add_u32_e32 v138, v6, v7
	v_add_u32_e32 v139, v8, v9
	v_mov_b64_e32 v[24:25], s[0:1]
	v_mov_b64_e32 v[16:17], s[0:1]
	;; [unrolled: 1-line block ×15, first 2 shown]
.LBB165_5:                              ; =>This Loop Header: Depth=1
                                        ;     Child Loop BB165_6 Depth 2
	s_mul_i32 s9, s0, 34
	s_mul_hi_u32 s1, s0, 34
	s_add_u32 s14, s5, s9
	s_addc_u32 s15, s7, s1
	v_mad_u64_u32 v[84:85], s[16:17], v0, 34, s[14:15]
	v_lshl_add_u64 v[84:85], v[84:85], 0, v[34:35]
	v_lshl_add_u64 v[84:85], v[84:85], 0, 2
	v_mad_u64_u32 v[88:89], s[16:17], v36, 34, v[84:85]
	v_mad_u64_u32 v[90:91], s[16:17], v38, 34, v[84:85]
	;; [unrolled: 1-line block ×8, first 2 shown]
	global_load_dword v78, v[88:89], off
	global_load_dword v80, v[90:91], off
	;; [unrolled: 1-line block ×8, first 2 shown]
	v_mad_u64_u32 v[88:89], s[16:17], v52, 34, v[84:85]
	v_mad_u64_u32 v[90:91], s[16:17], v54, 34, v[84:85]
	;; [unrolled: 1-line block ×8, first 2 shown]
	global_load_dword v108, v[88:89], off
	global_load_dword v109, v[90:91], off
                                        ; kill: killed $vgpr90_vgpr91
                                        ; kill: killed $vgpr88_vgpr89
	global_load_dword v110, v[92:93], off
	global_load_dword v111, v[94:95], off
	;; [unrolled: 1-line block ×4, first 2 shown]
                                        ; kill: killed $vgpr94_vgpr95
                                        ; kill: killed $vgpr92_vgpr93
                                        ; kill: killed $vgpr98_vgpr99
                                        ; kill: killed $vgpr96_vgpr97
	global_load_dword v114, v[100:101], off
	global_load_dword v115, v[84:85], off
	v_mad_u64_u32 v[84:85], s[14:15], v68, 34, s[14:15]
	v_mad_u64_u32 v[88:89], s[14:15], v70, 34, v[84:85]
	;; [unrolled: 1-line block ×3, first 2 shown]
	v_add_u32_e32 v100, s0, v0
	global_load_ushort v116, v[88:89], off
	global_load_ushort v117, v[84:85], off
	v_add_u32_e32 v84, v100, v77
	v_add_u32_e32 v88, v100, v81
	;; [unrolled: 1-line block ×5, first 2 shown]
	v_mad_i64_i32 v[84:85], s[14:15], v84, 36, v[74:75]
	v_mad_i64_i32 v[88:89], s[14:15], v88, 36, v[74:75]
	v_mad_i64_i32 v[90:91], s[14:15], v90, 36, v[74:75]
	v_mad_i64_i32 v[92:93], s[14:15], v92, 36, v[74:75]
	v_mad_i64_i32 v[94:95], s[14:15], v94, 36, v[74:75]
	v_add_u32_e32 v96, v100, v125
	v_add_u32_e32 v98, v100, v127
	;; [unrolled: 1-line block ×4, first 2 shown]
	v_mad_i64_i32 v[96:97], s[14:15], v96, 36, v[74:75]
	v_mad_i64_i32 v[98:99], s[14:15], v98, 36, v[74:75]
	;; [unrolled: 1-line block ×3, first 2 shown]
	v_mad_u64_u32 v[102:103], s[14:15], v102, 36, s[2:3]
	global_load_dword v84, v[84:85], off offset:4
	s_nop 0
	global_load_dword v85, v[88:89], off offset:4
	s_nop 0
	global_load_dword v88, v[90:91], off offset:4
	global_load_dword v89, v[92:93], off offset:4
	s_nop 0
	global_load_dword v90, v[94:95], off offset:4
	global_load_dword v91, v[102:103], off
	global_load_dword v92, v[96:97], off offset:4
	global_load_dword v93, v[98:99], off offset:4
	s_nop 0
	global_load_dword v94, v[100:101], off offset:4
	s_mov_b32 s1, -8
	v_mov_b32_e32 v140, v137
	v_mov_b32_e32 v141, v136
	;; [unrolled: 1-line block ×7, first 2 shown]
	s_waitcnt vmcnt(26)
	ds_write_b32 v41, v78
	s_waitcnt vmcnt(25)
	ds_write_b32 v43, v80
	;; [unrolled: 2-line block ×14, first 2 shown]
	s_waitcnt vmcnt(10)
	v_cvt_f32_f16_e32 v78, v116
	s_waitcnt vmcnt(9)
	v_cvt_f32_f16_e32 v80, v117
	ds_write_b32 v69, v114
	ds_write_b32 v71, v115
	;; [unrolled: 1-line block ×4, first 2 shown]
	s_waitcnt vmcnt(8)
	ds_write_b32 v79, v84
	s_waitcnt vmcnt(7)
	ds_write_b32 v83, v85
	;; [unrolled: 2-line block ×5, first 2 shown]
	s_waitcnt vmcnt(3)
	v_cvt_f32_f16_e32 v78, v91
	s_waitcnt vmcnt(2)
	ds_write_b32 v126, v92
	s_waitcnt vmcnt(1)
	ds_write_b32 v128, v93
	;; [unrolled: 2-line block ×3, first 2 shown]
	ds_write_b32 v73, v78
	s_waitcnt lgkmcnt(0)
	s_barrier
.LBB165_6:                              ;   Parent Loop BB165_5 Depth=1
                                        ; =>  This Inner Loop Header: Depth=2
	v_add_u32_e32 v80, 0x1080, v146
	ds_read2_b32 v[118:119], v140 offset1:32
	ds_read_b128 v[148:151], v145
	ds_read_b128 v[152:155], v145 offset:16
	ds_read_b32 v82, v141
	ds_read2_b32 v[90:91], v146 offset1:1
	ds_read2_b32 v[98:99], v146 offset0:2 offset1:3
	ds_read2_b32 v[104:105], v146 offset0:4 offset1:5
	;; [unrolled: 1-line block ×3, first 2 shown]
	ds_read_b32 v78, v142
	ds_read2_b32 v[84:85], v80 offset1:1
	v_add_u32_e32 v80, 0x1088, v146
	ds_read2_b32 v[92:93], v80 offset1:1
	v_add_u32_e32 v80, 0x1090, v146
	;; [unrolled: 2-line block ×3, first 2 shown]
	v_add_u32_e32 v86, 0x2100, v146
	ds_read2_b32 v[110:111], v80 offset1:1
	ds_read_b32 v80, v143
	ds_read2_b32 v[88:89], v86 offset1:1
	v_add_u32_e32 v86, 0x2108, v146
	ds_read2_b32 v[96:97], v86 offset1:1
	v_add_u32_e32 v86, 0x2110, v146
	;; [unrolled: 2-line block ×3, first 2 shown]
	v_add_u32_e32 v94, 0x3180, v146
	ds_read2_b32 v[114:115], v86 offset1:1
	ds_read_b32 v86, v144
	ds_read2_b32 v[94:95], v94 offset1:1
	v_add_u32_e32 v102, 0x3188, v146
	ds_read2_b32 v[102:103], v102 offset1:1
	v_add_u32_e32 v112, 0x3190, v146
	ds_read2_b32 v[112:113], v112 offset1:1
	v_mov_b32_e32 v147, 0
	v_mov_b32_e32 v160, 0
	;; [unrolled: 1-line block ×4, first 2 shown]
	s_waitcnt lgkmcnt(14)
	v_dot4c_i32_i8_e32 v147, v90, v148
	s_waitcnt lgkmcnt(12)
	v_dot4c_i32_i8_e32 v160, v84, v148
	;; [unrolled: 2-line block ×4, first 2 shown]
	v_add_u32_e32 v116, 0x3198, v146
	ds_read2_b32 v[116:117], v116 offset1:1
	v_dot4c_i32_i8_e32 v147, v91, v149
	v_dot4c_i32_i8_e32 v160, v85, v149
	v_dot4c_i32_i8_e32 v161, v89, v149
	v_dot4c_i32_i8_e32 v162, v95, v149
	v_dot4c_i32_i8_e32 v147, v98, v150
	v_dot4c_i32_i8_e32 v160, v92, v150
	v_dot4c_i32_i8_e32 v161, v96, v150
	s_waitcnt lgkmcnt(2)
	v_dot4c_i32_i8_e32 v162, v102, v150
	v_dot4c_i32_i8_e32 v147, v99, v151
	v_dot4c_i32_i8_e32 v160, v93, v151
	v_dot4c_i32_i8_e32 v161, v97, v151
	v_dot4c_i32_i8_e32 v162, v103, v151
	v_dot4c_i32_i8_e32 v147, v104, v152
	v_dot4c_i32_i8_e32 v160, v100, v152
	v_dot4c_i32_i8_e32 v161, v106, v152
	s_waitcnt lgkmcnt(1)
	v_dot4c_i32_i8_e32 v162, v112, v152
	;; [unrolled: 9-line block ×3, first 2 shown]
	v_dot4c_i32_i8_e32 v147, v109, v155
	v_dot4c_i32_i8_e32 v160, v111, v155
	v_dot4c_i32_i8_e32 v161, v115, v155
	v_dot4c_i32_i8_e32 v162, v117, v155
	ds_read_b128 v[148:151], v145 offset:1024
	ds_read_b128 v[152:155], v145 offset:1040
	v_mov_b32_e32 v158, 0
	v_pk_mul_f32 v[156:157], v[82:83], v[118:119] op_sel_hi:[0,1]
	s_add_i32 s1, s1, 8
	s_waitcnt lgkmcnt(1)
	v_dot4c_i32_i8_e32 v158, v90, v148
	v_dot4c_i32_i8_e32 v158, v91, v149
	;; [unrolled: 1-line block ×4, first 2 shown]
	s_waitcnt lgkmcnt(0)
	v_dot4c_i32_i8_e32 v158, v104, v152
	v_dot4c_i32_i8_e32 v158, v105, v153
	;; [unrolled: 1-line block ×4, first 2 shown]
	v_add_u32_e32 v146, 32, v146
	v_add_u32_e32 v144, 4, v144
	;; [unrolled: 1-line block ×3, first 2 shown]
	v_cvt_f32_i32_e32 v159, v158
	v_cvt_f32_i32_e32 v158, v147
	v_mov_b32_e32 v147, 0
	v_dot4c_i32_i8_e32 v147, v84, v148
	v_dot4c_i32_i8_e32 v147, v85, v149
	;; [unrolled: 1-line block ×8, first 2 shown]
	v_pk_fma_f32 v[32:33], v[156:157], v[158:159], v[32:33]
	v_cvt_f32_i32_e32 v158, v160
	v_pk_mul_f32 v[156:157], v[78:79], v[118:119] op_sel_hi:[0,1]
	v_cvt_f32_i32_e32 v159, v147
	v_mov_b32_e32 v147, 0
	v_dot4c_i32_i8_e32 v147, v88, v148
	v_dot4c_i32_i8_e32 v147, v89, v149
	;; [unrolled: 1-line block ×8, first 2 shown]
	v_pk_fma_f32 v[30:31], v[156:157], v[158:159], v[30:31]
	v_pk_mul_f32 v[156:157], v[80:81], v[118:119] op_sel_hi:[0,1]
	v_pk_mul_f32 v[118:119], v[86:87], v[118:119] op_sel_hi:[0,1]
	v_cvt_f32_i32_e32 v159, v147
	v_mov_b32_e32 v147, 0
	v_dot4c_i32_i8_e32 v147, v94, v148
	v_dot4c_i32_i8_e32 v147, v95, v149
	;; [unrolled: 1-line block ×8, first 2 shown]
	v_cvt_f32_i32_e32 v148, v162
	v_cvt_f32_i32_e32 v158, v161
	v_mov_b32_e32 v160, 0
	v_cvt_f32_i32_e32 v149, v147
	v_mov_b32_e32 v147, 0
	v_mov_b32_e32 v161, 0
	;; [unrolled: 1-line block ×3, first 2 shown]
	v_pk_fma_f32 v[26:27], v[118:119], v[148:149], v[26:27]
	ds_read2_b32 v[118:119], v140 offset0:64 offset1:96
	ds_read_b128 v[148:151], v145 offset:2048
	ds_read_b128 v[152:155], v145 offset:2064
	v_pk_fma_f32 v[28:29], v[156:157], v[158:159], v[28:29]
	v_mov_b32_e32 v158, 0
	s_waitcnt lgkmcnt(2)
	v_pk_mul_f32 v[156:157], v[82:83], v[118:119] op_sel_hi:[0,1]
	s_waitcnt lgkmcnt(1)
	v_dot4c_i32_i8_e32 v147, v90, v148
	v_dot4c_i32_i8_e32 v160, v84, v148
	;; [unrolled: 1-line block ×16, first 2 shown]
	s_waitcnt lgkmcnt(0)
	v_dot4c_i32_i8_e32 v147, v104, v152
	v_dot4c_i32_i8_e32 v160, v100, v152
	;; [unrolled: 1-line block ×16, first 2 shown]
	ds_read_b128 v[148:151], v145 offset:3072
	ds_read_b128 v[152:155], v145 offset:3088
	v_add_u32_e32 v142, 4, v142
	v_add_u32_e32 v141, 4, v141
	s_cmp_lt_u32 s1, 24
	s_waitcnt lgkmcnt(1)
	v_dot4c_i32_i8_e32 v158, v90, v148
	v_dot4c_i32_i8_e32 v158, v91, v149
	;; [unrolled: 1-line block ×4, first 2 shown]
	s_waitcnt lgkmcnt(0)
	v_dot4c_i32_i8_e32 v158, v104, v152
	v_dot4c_i32_i8_e32 v158, v105, v153
	;; [unrolled: 1-line block ×4, first 2 shown]
	s_nop 2
	v_cvt_f32_i32_e32 v159, v158
	v_cvt_f32_i32_e32 v158, v147
	v_mov_b32_e32 v147, 0
	v_dot4c_i32_i8_e32 v147, v84, v148
	v_dot4c_i32_i8_e32 v147, v85, v149
	;; [unrolled: 1-line block ×8, first 2 shown]
	v_pk_fma_f32 v[24:25], v[156:157], v[158:159], v[24:25]
	v_cvt_f32_i32_e32 v158, v160
	v_pk_mul_f32 v[156:157], v[78:79], v[118:119] op_sel_hi:[0,1]
	v_cvt_f32_i32_e32 v159, v147
	v_mov_b32_e32 v147, 0
	v_dot4c_i32_i8_e32 v147, v88, v148
	v_dot4c_i32_i8_e32 v147, v89, v149
	;; [unrolled: 1-line block ×8, first 2 shown]
	v_pk_fma_f32 v[22:23], v[156:157], v[158:159], v[22:23]
	v_pk_mul_f32 v[156:157], v[80:81], v[118:119] op_sel_hi:[0,1]
	v_pk_mul_f32 v[118:119], v[86:87], v[118:119] op_sel_hi:[0,1]
	v_cvt_f32_i32_e32 v159, v147
	v_mov_b32_e32 v147, 0
	v_dot4c_i32_i8_e32 v147, v94, v148
	v_dot4c_i32_i8_e32 v147, v95, v149
	;; [unrolled: 1-line block ×8, first 2 shown]
	v_cvt_f32_i32_e32 v148, v162
	v_cvt_f32_i32_e32 v158, v161
	v_mov_b32_e32 v160, 0
	v_cvt_f32_i32_e32 v149, v147
	v_mov_b32_e32 v147, 0
	v_mov_b32_e32 v161, 0
	;; [unrolled: 1-line block ×3, first 2 shown]
	v_pk_fma_f32 v[18:19], v[118:119], v[148:149], v[18:19]
	ds_read2_b32 v[118:119], v140 offset0:128 offset1:160
	ds_read_b128 v[148:151], v145 offset:4096
	ds_read_b128 v[152:155], v145 offset:4112
	v_pk_fma_f32 v[20:21], v[156:157], v[158:159], v[20:21]
	v_mov_b32_e32 v158, 0
	s_waitcnt lgkmcnt(2)
	v_pk_mul_f32 v[156:157], v[82:83], v[118:119] op_sel_hi:[0,1]
	s_waitcnt lgkmcnt(1)
	v_dot4c_i32_i8_e32 v147, v90, v148
	v_dot4c_i32_i8_e32 v160, v84, v148
	;; [unrolled: 1-line block ×16, first 2 shown]
	s_waitcnt lgkmcnt(0)
	v_dot4c_i32_i8_e32 v147, v104, v152
	v_dot4c_i32_i8_e32 v160, v100, v152
	;; [unrolled: 1-line block ×16, first 2 shown]
	ds_read_b128 v[148:151], v145 offset:5120
	ds_read_b128 v[152:155], v145 offset:5136
	s_waitcnt lgkmcnt(1)
	v_dot4c_i32_i8_e32 v158, v90, v148
	v_dot4c_i32_i8_e32 v158, v91, v149
	;; [unrolled: 1-line block ×4, first 2 shown]
	s_waitcnt lgkmcnt(0)
	v_dot4c_i32_i8_e32 v158, v104, v152
	v_dot4c_i32_i8_e32 v158, v105, v153
	;; [unrolled: 1-line block ×4, first 2 shown]
	s_nop 2
	v_cvt_f32_i32_e32 v159, v158
	v_cvt_f32_i32_e32 v158, v147
	v_mov_b32_e32 v147, 0
	v_dot4c_i32_i8_e32 v147, v84, v148
	v_dot4c_i32_i8_e32 v147, v85, v149
	;; [unrolled: 1-line block ×8, first 2 shown]
	v_pk_fma_f32 v[16:17], v[156:157], v[158:159], v[16:17]
	v_cvt_f32_i32_e32 v158, v160
	v_pk_mul_f32 v[156:157], v[78:79], v[118:119] op_sel_hi:[0,1]
	v_cvt_f32_i32_e32 v159, v147
	v_mov_b32_e32 v147, 0
	v_dot4c_i32_i8_e32 v147, v88, v148
	v_dot4c_i32_i8_e32 v147, v89, v149
	v_dot4c_i32_i8_e32 v147, v96, v150
	v_dot4c_i32_i8_e32 v147, v97, v151
	v_dot4c_i32_i8_e32 v147, v106, v152
	v_dot4c_i32_i8_e32 v147, v107, v153
	v_dot4c_i32_i8_e32 v147, v114, v154
	v_dot4c_i32_i8_e32 v147, v115, v155
	v_pk_fma_f32 v[14:15], v[156:157], v[158:159], v[14:15]
	v_pk_mul_f32 v[156:157], v[80:81], v[118:119] op_sel_hi:[0,1]
	v_cvt_f32_i32_e32 v158, v161
	v_cvt_f32_i32_e32 v159, v147
	v_mov_b32_e32 v147, 0
	v_dot4c_i32_i8_e32 v147, v94, v148
	v_dot4c_i32_i8_e32 v147, v95, v149
	;; [unrolled: 1-line block ×8, first 2 shown]
	v_cvt_f32_i32_e32 v148, v162
	v_pk_mul_f32 v[118:119], v[86:87], v[118:119] op_sel_hi:[0,1]
	v_pk_fma_f32 v[12:13], v[156:157], v[158:159], v[12:13]
	v_cvt_f32_i32_e32 v149, v147
	v_mov_b32_e32 v147, 0
	v_mov_b32_e32 v156, 0
	;; [unrolled: 1-line block ×3, first 2 shown]
	v_pk_fma_f32 v[10:11], v[118:119], v[148:149], v[10:11]
	ds_read2_b32 v[118:119], v140 offset0:192 offset1:224
	ds_read_b128 v[148:151], v145 offset:6144
	ds_read_b128 v[152:155], v145 offset:6160
	v_mov_b32_e32 v158, 0
	v_mov_b32_e32 v159, 0
	v_add_u32_e32 v140, 4, v140
	s_waitcnt lgkmcnt(1)
	v_dot4c_i32_i8_e32 v147, v90, v148
	v_dot4c_i32_i8_e32 v156, v84, v148
	;; [unrolled: 1-line block ×16, first 2 shown]
	s_waitcnt lgkmcnt(0)
	v_dot4c_i32_i8_e32 v147, v104, v152
	v_dot4c_i32_i8_e32 v156, v100, v152
	;; [unrolled: 1-line block ×16, first 2 shown]
	ds_read_b128 v[148:151], v145 offset:7168
	ds_read_b128 v[152:155], v145 offset:7184
	v_add_u32_e32 v145, 32, v145
	s_waitcnt lgkmcnt(1)
	v_dot4c_i32_i8_e32 v159, v90, v148
	v_dot4c_i32_i8_e32 v159, v91, v149
	v_pk_mul_f32 v[90:91], v[82:83], v[118:119] op_sel_hi:[0,1]
	v_mov_b32_e32 v82, 0
	v_dot4c_i32_i8_e32 v82, v84, v148
	v_dot4c_i32_i8_e32 v82, v85, v149
	v_pk_mul_f32 v[84:85], v[78:79], v[118:119] op_sel_hi:[0,1]
	v_mov_b32_e32 v78, 0
	v_dot4c_i32_i8_e32 v78, v88, v148
	v_dot4c_i32_i8_e32 v78, v89, v149
	;; [unrolled: 1-line block ×6, first 2 shown]
	s_waitcnt lgkmcnt(0)
	v_dot4c_i32_i8_e32 v159, v104, v152
	v_dot4c_i32_i8_e32 v78, v106, v152
	;; [unrolled: 1-line block ×10, first 2 shown]
	v_cvt_f32_i32_e32 v98, v147
	v_cvt_f32_i32_e32 v99, v159
	v_dot4c_i32_i8_e32 v82, v100, v152
	v_cvt_f32_i32_e32 v89, v78
	v_mov_b32_e32 v78, 0
	v_dot4c_i32_i8_e32 v82, v101, v153
	v_dot4c_i32_i8_e32 v78, v94, v148
	;; [unrolled: 1-line block ×6, first 2 shown]
	v_pk_fma_f32 v[8:9], v[90:91], v[98:99], v[8:9]
	v_cvt_f32_i32_e32 v90, v156
	v_cvt_f32_i32_e32 v91, v82
	v_dot4c_i32_i8_e32 v78, v103, v151
	v_cvt_f32_i32_e32 v88, v157
	v_dot4c_i32_i8_e32 v78, v112, v152
	v_dot4c_i32_i8_e32 v78, v113, v153
	v_dot4c_i32_i8_e32 v78, v116, v154
	v_pk_fma_f32 v[6:7], v[84:85], v[90:91], v[6:7]
	v_pk_mul_f32 v[84:85], v[80:81], v[118:119] op_sel_hi:[0,1]
	v_dot4c_i32_i8_e32 v78, v117, v155
	v_pk_fma_f32 v[4:5], v[84:85], v[88:89], v[4:5]
	v_cvt_f32_i32_e32 v88, v158
	v_pk_mul_f32 v[84:85], v[86:87], v[118:119] op_sel_hi:[0,1]
	v_cvt_f32_i32_e32 v89, v78
	v_pk_fma_f32 v[2:3], v[84:85], v[88:89], v[2:3]
	s_cbranch_scc1 .LBB165_6
; %bb.7:                                ;   in Loop: Header=BB165_5 Depth=1
	s_add_i32 s0, s0, 4
	s_cmp_ge_i32 s0, s4
	s_barrier
	s_cbranch_scc0 .LBB165_5
; %bb.8:
	v_mov_b32_e32 v34, v37
.LBB165_9:
	v_cmp_gt_u32_e32 vcc, s8, v39
	s_and_saveexec_b64 s[0:1], vcc
	s_cbranch_execz .LBB165_60
; %bb.10:
	v_add_u32_e32 v0, s6, v1
	v_mul_lo_u32 v35, v39, s10
	v_cmp_gt_u32_e32 vcc, s10, v0
	s_and_saveexec_b64 s[2:3], vcc
	s_cbranch_execz .LBB165_12
; %bb.11:
	v_bfe_u32 v1, v32, 16, 1
	s_movk_i32 s0, 0x7fff
	v_add3_u32 v1, v32, v1, s0
	v_lshrrev_b32_e32 v1, 16, v1
	v_mov_b32_e32 v36, 0x7fc0
	v_cmp_o_f32_e64 s[0:1], v32, v32
	v_mov_b32_e32 v37, 0
	s_nop 0
	v_cndmask_b32_e64 v1, v36, v1, s[0:1]
	v_add_u32_e32 v36, v0, v35
	s_waitcnt lgkmcnt(0)
	v_lshl_add_u64 v[36:37], v[36:37], 1, s[12:13]
	global_store_short v[36:37], v1, off
.LBB165_12:
	s_or_b64 exec, exec, s[2:3]
	v_add_u32_e32 v1, 32, v0
	v_cmp_gt_u32_e64 s[0:1], s10, v1
	s_and_saveexec_b64 s[4:5], s[0:1]
	s_cbranch_execz .LBB165_14
; %bb.13:
	v_bfe_u32 v32, v30, 16, 1
	s_movk_i32 s2, 0x7fff
	v_add3_u32 v32, v30, v32, s2
	v_lshrrev_b32_e32 v32, 16, v32
	v_mov_b32_e32 v36, 0x7fc0
	v_cmp_o_f32_e64 s[2:3], v30, v30
	v_mov_b32_e32 v37, 0
	s_nop 0
	v_cndmask_b32_e64 v30, v36, v32, s[2:3]
	v_add_u32_e32 v36, v1, v35
	s_waitcnt lgkmcnt(0)
	v_lshl_add_u64 v[36:37], v[36:37], 1, s[12:13]
	global_store_short v[36:37], v30, off
.LBB165_14:
	s_or_b64 exec, exec, s[4:5]
	v_add_u32_e32 v30, 64, v0
	v_cmp_gt_u32_e64 s[2:3], s10, v30
	s_and_saveexec_b64 s[6:7], s[2:3]
	s_cbranch_execz .LBB165_16
; %bb.15:
	v_bfe_u32 v32, v28, 16, 1
	s_movk_i32 s4, 0x7fff
	v_add3_u32 v32, v28, v32, s4
	v_lshrrev_b32_e32 v32, 16, v32
	v_mov_b32_e32 v36, 0x7fc0
	v_cmp_o_f32_e64 s[4:5], v28, v28
	v_mov_b32_e32 v37, 0
	s_nop 0
	v_cndmask_b32_e64 v28, v36, v32, s[4:5]
	v_add_u32_e32 v36, v30, v35
	s_waitcnt lgkmcnt(0)
	v_lshl_add_u64 v[36:37], v[36:37], 1, s[12:13]
	global_store_short v[36:37], v28, off
.LBB165_16:
	s_or_b64 exec, exec, s[6:7]
	v_add_u32_e32 v28, 0x60, v0
	v_cmp_gt_u32_e64 s[4:5], s10, v28
	s_and_saveexec_b64 s[14:15], s[4:5]
	s_cbranch_execz .LBB165_18
; %bb.17:
	v_bfe_u32 v32, v26, 16, 1
	s_movk_i32 s6, 0x7fff
	v_add3_u32 v32, v26, v32, s6
	v_lshrrev_b32_e32 v32, 16, v32
	v_mov_b32_e32 v36, 0x7fc0
	v_cmp_o_f32_e64 s[6:7], v26, v26
	v_mov_b32_e32 v37, 0
	s_nop 0
	v_cndmask_b32_e64 v26, v36, v32, s[6:7]
	v_add_u32_e32 v36, v28, v35
	s_waitcnt lgkmcnt(0)
	v_lshl_add_u64 v[36:37], v[36:37], 1, s[12:13]
	global_store_short v[36:37], v26, off
.LBB165_18:
	s_or_b64 exec, exec, s[14:15]
	v_add3_u32 v26, v34, s11, 8
	v_cmp_gt_u32_e64 s[6:7], s8, v26
	s_and_b64 exec, exec, s[6:7]
	s_cbranch_execz .LBB165_60
; %bb.19:
	v_mul_lo_u32 v26, v26, s10
	s_and_saveexec_b64 s[14:15], vcc
	s_cbranch_execnz .LBB165_61
; %bb.20:
	s_or_b64 exec, exec, s[14:15]
	s_and_saveexec_b64 s[14:15], s[0:1]
	s_cbranch_execnz .LBB165_62
.LBB165_21:
	s_or_b64 exec, exec, s[14:15]
	s_and_saveexec_b64 s[14:15], s[2:3]
	s_cbranch_execnz .LBB165_63
.LBB165_22:
	s_or_b64 exec, exec, s[14:15]
	s_and_saveexec_b64 s[14:15], s[4:5]
	s_cbranch_execz .LBB165_24
.LBB165_23:
	v_bfe_u32 v29, v27, 16, 1
	s_movk_i32 s6, 0x7fff
	v_add3_u32 v29, v27, v29, s6
	v_lshrrev_b32_e32 v29, 16, v29
	v_mov_b32_e32 v31, 0x7fc0
	v_cmp_o_f32_e64 s[6:7], v27, v27
	v_add_u32_e32 v26, v26, v28
	v_mov_b32_e32 v27, 0
	v_cndmask_b32_e64 v29, v31, v29, s[6:7]
	s_waitcnt lgkmcnt(0)
	v_lshl_add_u64 v[26:27], v[26:27], 1, s[12:13]
	global_store_short v[26:27], v29, off
.LBB165_24:
	s_or_b64 exec, exec, s[14:15]
	v_add3_u32 v26, v34, s11, 16
	v_cmp_gt_u32_e64 s[6:7], s8, v26
	s_and_b64 exec, exec, s[6:7]
	s_cbranch_execz .LBB165_60
; %bb.25:
	v_mul_lo_u32 v26, v26, s10
	s_and_saveexec_b64 s[14:15], vcc
	s_cbranch_execnz .LBB165_64
; %bb.26:
	s_or_b64 exec, exec, s[14:15]
	s_and_saveexec_b64 s[14:15], s[0:1]
	s_cbranch_execnz .LBB165_65
.LBB165_27:
	s_or_b64 exec, exec, s[14:15]
	s_and_saveexec_b64 s[14:15], s[2:3]
	s_cbranch_execnz .LBB165_66
.LBB165_28:
	s_or_b64 exec, exec, s[14:15]
	s_and_saveexec_b64 s[14:15], s[4:5]
	s_cbranch_execz .LBB165_30
.LBB165_29:
	v_bfe_u32 v20, v18, 16, 1
	s_movk_i32 s6, 0x7fff
	v_add3_u32 v20, v18, v20, s6
	v_lshrrev_b32_e32 v20, 16, v20
	v_mov_b32_e32 v22, 0x7fc0
	v_cmp_o_f32_e64 s[6:7], v18, v18
	v_add_u32_e32 v26, v26, v28
	v_mov_b32_e32 v27, 0
	v_cndmask_b32_e64 v18, v22, v20, s[6:7]
	s_waitcnt lgkmcnt(0)
	v_lshl_add_u64 v[26:27], v[26:27], 1, s[12:13]
	global_store_short v[26:27], v18, off
.LBB165_30:
	s_or_b64 exec, exec, s[14:15]
	v_add3_u32 v18, v34, s11, 24
	v_cmp_gt_u32_e64 s[6:7], s8, v18
	s_and_b64 exec, exec, s[6:7]
	s_cbranch_execz .LBB165_60
; %bb.31:
	v_mul_lo_u32 v18, v18, s10
	s_and_saveexec_b64 s[14:15], vcc
	s_cbranch_execnz .LBB165_67
; %bb.32:
	s_or_b64 exec, exec, s[14:15]
	s_and_saveexec_b64 s[14:15], s[0:1]
	s_cbranch_execnz .LBB165_68
.LBB165_33:
	s_or_b64 exec, exec, s[14:15]
	s_and_saveexec_b64 s[14:15], s[2:3]
	s_cbranch_execnz .LBB165_69
.LBB165_34:
	s_or_b64 exec, exec, s[14:15]
	s_and_saveexec_b64 s[14:15], s[4:5]
	s_cbranch_execz .LBB165_36
.LBB165_35:
	v_bfe_u32 v20, v19, 16, 1
	s_movk_i32 s6, 0x7fff
	v_add3_u32 v20, v19, v20, s6
	v_lshrrev_b32_e32 v20, 16, v20
	v_mov_b32_e32 v21, 0x7fc0
	v_cmp_o_f32_e64 s[6:7], v19, v19
	v_add_u32_e32 v18, v18, v28
	v_mov_b32_e32 v19, 0
	v_cndmask_b32_e64 v20, v21, v20, s[6:7]
	s_waitcnt lgkmcnt(0)
	v_lshl_add_u64 v[18:19], v[18:19], 1, s[12:13]
	global_store_short v[18:19], v20, off
.LBB165_36:
	s_or_b64 exec, exec, s[14:15]
	v_add3_u32 v18, v34, s11, 32
	v_cmp_gt_u32_e64 s[6:7], s8, v18
	s_and_b64 exec, exec, s[6:7]
	s_cbranch_execz .LBB165_60
; %bb.37:
	v_mul_lo_u32 v18, v18, s10
	s_and_saveexec_b64 s[14:15], vcc
	s_cbranch_execnz .LBB165_70
; %bb.38:
	s_or_b64 exec, exec, s[14:15]
	s_and_saveexec_b64 s[14:15], s[0:1]
	s_cbranch_execnz .LBB165_71
.LBB165_39:
	s_or_b64 exec, exec, s[14:15]
	s_and_saveexec_b64 s[14:15], s[2:3]
	s_cbranch_execnz .LBB165_72
.LBB165_40:
	s_or_b64 exec, exec, s[14:15]
	s_and_saveexec_b64 s[14:15], s[4:5]
	s_cbranch_execz .LBB165_42
.LBB165_41:
	v_bfe_u32 v12, v10, 16, 1
	s_movk_i32 s6, 0x7fff
	v_add3_u32 v12, v10, v12, s6
	v_lshrrev_b32_e32 v12, 16, v12
	v_mov_b32_e32 v14, 0x7fc0
	v_cmp_o_f32_e64 s[6:7], v10, v10
	v_add_u32_e32 v18, v18, v28
	v_mov_b32_e32 v19, 0
	v_cndmask_b32_e64 v10, v14, v12, s[6:7]
	s_waitcnt lgkmcnt(0)
	v_lshl_add_u64 v[18:19], v[18:19], 1, s[12:13]
	global_store_short v[18:19], v10, off
.LBB165_42:
	s_or_b64 exec, exec, s[14:15]
	v_add3_u32 v10, v34, s11, 40
	v_cmp_gt_u32_e64 s[6:7], s8, v10
	s_and_b64 exec, exec, s[6:7]
	s_cbranch_execz .LBB165_60
; %bb.43:
	v_mul_lo_u32 v10, v10, s10
	s_and_saveexec_b64 s[14:15], vcc
	s_cbranch_execnz .LBB165_73
; %bb.44:
	s_or_b64 exec, exec, s[14:15]
	s_and_saveexec_b64 s[14:15], s[0:1]
	s_cbranch_execnz .LBB165_74
.LBB165_45:
	s_or_b64 exec, exec, s[14:15]
	s_and_saveexec_b64 s[14:15], s[2:3]
	s_cbranch_execnz .LBB165_75
.LBB165_46:
	s_or_b64 exec, exec, s[14:15]
	s_and_saveexec_b64 s[14:15], s[4:5]
	s_cbranch_execz .LBB165_48
.LBB165_47:
	v_bfe_u32 v12, v11, 16, 1
	s_movk_i32 s6, 0x7fff
	v_add3_u32 v12, v11, v12, s6
	v_lshrrev_b32_e32 v12, 16, v12
	v_mov_b32_e32 v13, 0x7fc0
	v_cmp_o_f32_e64 s[6:7], v11, v11
	v_add_u32_e32 v10, v10, v28
	v_mov_b32_e32 v11, 0
	v_cndmask_b32_e64 v12, v13, v12, s[6:7]
	s_waitcnt lgkmcnt(0)
	v_lshl_add_u64 v[10:11], v[10:11], 1, s[12:13]
	global_store_short v[10:11], v12, off
.LBB165_48:
	s_or_b64 exec, exec, s[14:15]
	v_add3_u32 v10, v34, s11, 48
	v_cmp_gt_u32_e64 s[6:7], s8, v10
	s_and_b64 exec, exec, s[6:7]
	s_cbranch_execz .LBB165_60
; %bb.49:
	v_mul_lo_u32 v10, v10, s10
	s_and_saveexec_b64 s[14:15], vcc
	s_cbranch_execnz .LBB165_76
; %bb.50:
	s_or_b64 exec, exec, s[14:15]
	s_and_saveexec_b64 s[14:15], s[0:1]
	s_cbranch_execnz .LBB165_77
.LBB165_51:
	s_or_b64 exec, exec, s[14:15]
	s_and_saveexec_b64 s[14:15], s[2:3]
	s_cbranch_execnz .LBB165_78
.LBB165_52:
	s_or_b64 exec, exec, s[14:15]
	s_and_saveexec_b64 s[14:15], s[4:5]
	s_cbranch_execz .LBB165_54
.LBB165_53:
	v_bfe_u32 v4, v2, 16, 1
	s_movk_i32 s6, 0x7fff
	v_add3_u32 v4, v2, v4, s6
	v_lshrrev_b32_e32 v4, 16, v4
	v_mov_b32_e32 v6, 0x7fc0
	v_cmp_o_f32_e64 s[6:7], v2, v2
	v_add_u32_e32 v10, v10, v28
	v_mov_b32_e32 v11, 0
	v_cndmask_b32_e64 v2, v6, v4, s[6:7]
	s_waitcnt lgkmcnt(0)
	v_lshl_add_u64 v[10:11], v[10:11], 1, s[12:13]
	global_store_short v[10:11], v2, off
.LBB165_54:
	s_or_b64 exec, exec, s[14:15]
	v_add3_u32 v2, v34, s11, 56
	v_cmp_gt_u32_e64 s[6:7], s8, v2
	s_and_b64 exec, exec, s[6:7]
	s_cbranch_execz .LBB165_60
; %bb.55:
	v_mul_lo_u32 v2, v2, s10
	s_and_saveexec_b64 s[6:7], vcc
	s_cbranch_execnz .LBB165_79
; %bb.56:
	s_or_b64 exec, exec, s[6:7]
	s_and_saveexec_b64 s[6:7], s[0:1]
	s_cbranch_execnz .LBB165_80
.LBB165_57:
	s_or_b64 exec, exec, s[6:7]
	s_and_saveexec_b64 s[0:1], s[2:3]
	s_cbranch_execnz .LBB165_81
.LBB165_58:
	s_or_b64 exec, exec, s[0:1]
	s_and_b64 exec, exec, s[4:5]
	s_cbranch_execz .LBB165_60
.LBB165_59:
	v_bfe_u32 v0, v3, 16, 1
	s_movk_i32 s0, 0x7fff
	v_add3_u32 v0, v3, v0, s0
	v_lshrrev_b32_e32 v0, 16, v0
	v_mov_b32_e32 v1, 0x7fc0
	v_cmp_o_f32_e32 vcc, v3, v3
	s_nop 1
	v_cndmask_b32_e32 v3, v1, v0, vcc
	v_add_u32_e32 v0, v2, v28
	v_mov_b32_e32 v1, 0
	s_waitcnt lgkmcnt(0)
	v_lshl_add_u64 v[0:1], v[0:1], 1, s[12:13]
	global_store_short v[0:1], v3, off
.LBB165_60:
	s_endpgm
.LBB165_61:
	v_bfe_u32 v32, v33, 16, 1
	s_movk_i32 s6, 0x7fff
	v_add3_u32 v32, v33, v32, s6
	v_lshrrev_b32_e32 v32, 16, v32
	v_mov_b32_e32 v35, 0x7fc0
	v_cmp_o_f32_e64 s[6:7], v33, v33
	v_mov_b32_e32 v33, 0
	s_nop 0
	v_cndmask_b32_e64 v35, v35, v32, s[6:7]
	v_add_u32_e32 v32, v26, v0
	s_waitcnt lgkmcnt(0)
	v_lshl_add_u64 v[32:33], v[32:33], 1, s[12:13]
	global_store_short v[32:33], v35, off
	s_or_b64 exec, exec, s[14:15]
	s_and_saveexec_b64 s[14:15], s[0:1]
	s_cbranch_execz .LBB165_21
.LBB165_62:
	v_bfe_u32 v32, v31, 16, 1
	s_movk_i32 s6, 0x7fff
	v_add3_u32 v32, v31, v32, s6
	v_lshrrev_b32_e32 v32, 16, v32
	v_mov_b32_e32 v33, 0x7fc0
	v_cmp_o_f32_e64 s[6:7], v31, v31
	s_nop 1
	v_cndmask_b32_e64 v31, v33, v32, s[6:7]
	v_add_u32_e32 v32, v26, v1
	v_mov_b32_e32 v33, 0
	s_waitcnt lgkmcnt(0)
	v_lshl_add_u64 v[32:33], v[32:33], 1, s[12:13]
	global_store_short v[32:33], v31, off
	s_or_b64 exec, exec, s[14:15]
	s_and_saveexec_b64 s[14:15], s[2:3]
	s_cbranch_execz .LBB165_22
.LBB165_63:
	v_bfe_u32 v31, v29, 16, 1
	s_movk_i32 s6, 0x7fff
	v_add3_u32 v31, v29, v31, s6
	v_lshrrev_b32_e32 v31, 16, v31
	v_mov_b32_e32 v32, 0x7fc0
	v_cmp_o_f32_e64 s[6:7], v29, v29
	v_mov_b32_e32 v33, 0
	s_nop 0
	v_cndmask_b32_e64 v29, v32, v31, s[6:7]
	v_add_u32_e32 v32, v26, v30
	s_waitcnt lgkmcnt(0)
	v_lshl_add_u64 v[32:33], v[32:33], 1, s[12:13]
	global_store_short v[32:33], v29, off
	s_or_b64 exec, exec, s[14:15]
	s_and_saveexec_b64 s[14:15], s[4:5]
	s_cbranch_execnz .LBB165_23
	s_branch .LBB165_24
.LBB165_64:
	v_bfe_u32 v27, v24, 16, 1
	s_movk_i32 s6, 0x7fff
	v_add3_u32 v27, v24, v27, s6
	v_lshrrev_b32_e32 v27, 16, v27
	v_mov_b32_e32 v29, 0x7fc0
	v_cmp_o_f32_e64 s[6:7], v24, v24
	v_add_u32_e32 v32, v26, v0
	v_mov_b32_e32 v33, 0
	v_cndmask_b32_e64 v24, v29, v27, s[6:7]
	s_waitcnt lgkmcnt(0)
	v_lshl_add_u64 v[32:33], v[32:33], 1, s[12:13]
	global_store_short v[32:33], v24, off
	s_or_b64 exec, exec, s[14:15]
	s_and_saveexec_b64 s[14:15], s[0:1]
	s_cbranch_execz .LBB165_27
.LBB165_65:
	v_bfe_u32 v24, v22, 16, 1
	s_movk_i32 s6, 0x7fff
	v_add3_u32 v24, v22, v24, s6
	v_lshrrev_b32_e32 v24, 16, v24
	v_mov_b32_e32 v27, 0x7fc0
	v_cmp_o_f32_e64 s[6:7], v22, v22
	v_add_u32_e32 v32, v26, v1
	v_mov_b32_e32 v33, 0
	v_cndmask_b32_e64 v22, v27, v24, s[6:7]
	s_waitcnt lgkmcnt(0)
	v_lshl_add_u64 v[32:33], v[32:33], 1, s[12:13]
	global_store_short v[32:33], v22, off
	s_or_b64 exec, exec, s[14:15]
	s_and_saveexec_b64 s[14:15], s[2:3]
	s_cbranch_execz .LBB165_28
.LBB165_66:
	v_bfe_u32 v22, v20, 16, 1
	s_movk_i32 s6, 0x7fff
	v_add3_u32 v22, v20, v22, s6
	v_lshrrev_b32_e32 v22, 16, v22
	v_mov_b32_e32 v24, 0x7fc0
	v_cmp_o_f32_e64 s[6:7], v20, v20
	v_add_u32_e32 v32, v26, v30
	v_mov_b32_e32 v33, 0
	v_cndmask_b32_e64 v20, v24, v22, s[6:7]
	s_waitcnt lgkmcnt(0)
	v_lshl_add_u64 v[32:33], v[32:33], 1, s[12:13]
	global_store_short v[32:33], v20, off
	s_or_b64 exec, exec, s[14:15]
	s_and_saveexec_b64 s[14:15], s[4:5]
	s_cbranch_execnz .LBB165_29
	s_branch .LBB165_30
.LBB165_67:
	v_bfe_u32 v20, v25, 16, 1
	s_movk_i32 s6, 0x7fff
	v_add3_u32 v20, v25, v20, s6
	v_lshrrev_b32_e32 v20, 16, v20
	v_mov_b32_e32 v22, 0x7fc0
	v_cmp_o_f32_e64 s[6:7], v25, v25
	v_add_u32_e32 v24, v18, v0
	v_mov_b32_e32 v25, 0
	v_cndmask_b32_e64 v20, v22, v20, s[6:7]
	s_waitcnt lgkmcnt(0)
	v_lshl_add_u64 v[24:25], v[24:25], 1, s[12:13]
	global_store_short v[24:25], v20, off
	s_or_b64 exec, exec, s[14:15]
	s_and_saveexec_b64 s[14:15], s[0:1]
	s_cbranch_execz .LBB165_33
.LBB165_68:
	v_bfe_u32 v20, v23, 16, 1
	s_movk_i32 s6, 0x7fff
	v_add3_u32 v20, v23, v20, s6
	v_lshrrev_b32_e32 v20, 16, v20
	v_mov_b32_e32 v22, 0x7fc0
	v_cmp_o_f32_e64 s[6:7], v23, v23
	v_mov_b32_e32 v23, 0
	s_nop 0
	v_cndmask_b32_e64 v20, v22, v20, s[6:7]
	v_add_u32_e32 v22, v18, v1
	s_waitcnt lgkmcnt(0)
	v_lshl_add_u64 v[22:23], v[22:23], 1, s[12:13]
	global_store_short v[22:23], v20, off
	s_or_b64 exec, exec, s[14:15]
	s_and_saveexec_b64 s[14:15], s[2:3]
	s_cbranch_execz .LBB165_34
.LBB165_69:
	v_bfe_u32 v20, v21, 16, 1
	s_movk_i32 s6, 0x7fff
	v_add3_u32 v20, v21, v20, s6
	v_lshrrev_b32_e32 v20, 16, v20
	v_mov_b32_e32 v22, 0x7fc0
	v_cmp_o_f32_e64 s[6:7], v21, v21
	v_mov_b32_e32 v21, 0
	s_nop 0
	v_cndmask_b32_e64 v22, v22, v20, s[6:7]
	v_add_u32_e32 v20, v18, v30
	s_waitcnt lgkmcnt(0)
	v_lshl_add_u64 v[20:21], v[20:21], 1, s[12:13]
	global_store_short v[20:21], v22, off
	s_or_b64 exec, exec, s[14:15]
	s_and_saveexec_b64 s[14:15], s[4:5]
	s_cbranch_execnz .LBB165_35
	s_branch .LBB165_36
.LBB165_70:
	v_bfe_u32 v19, v16, 16, 1
	s_movk_i32 s6, 0x7fff
	v_add3_u32 v19, v16, v19, s6
	v_lshrrev_b32_e32 v19, 16, v19
	v_mov_b32_e32 v20, 0x7fc0
	v_cmp_o_f32_e64 s[6:7], v16, v16
	v_mov_b32_e32 v21, 0
	s_nop 0
	v_cndmask_b32_e64 v16, v20, v19, s[6:7]
	v_add_u32_e32 v20, v18, v0
	s_waitcnt lgkmcnt(0)
	v_lshl_add_u64 v[20:21], v[20:21], 1, s[12:13]
	global_store_short v[20:21], v16, off
	s_or_b64 exec, exec, s[14:15]
	s_and_saveexec_b64 s[14:15], s[0:1]
	s_cbranch_execz .LBB165_39
.LBB165_71:
	v_bfe_u32 v16, v14, 16, 1
	s_movk_i32 s6, 0x7fff
	v_add3_u32 v16, v14, v16, s6
	v_lshrrev_b32_e32 v16, 16, v16
	v_mov_b32_e32 v19, 0x7fc0
	v_cmp_o_f32_e64 s[6:7], v14, v14
	v_add_u32_e32 v20, v18, v1
	v_mov_b32_e32 v21, 0
	v_cndmask_b32_e64 v14, v19, v16, s[6:7]
	s_waitcnt lgkmcnt(0)
	v_lshl_add_u64 v[20:21], v[20:21], 1, s[12:13]
	global_store_short v[20:21], v14, off
	s_or_b64 exec, exec, s[14:15]
	s_and_saveexec_b64 s[14:15], s[2:3]
	s_cbranch_execz .LBB165_40
.LBB165_72:
	v_bfe_u32 v14, v12, 16, 1
	s_movk_i32 s6, 0x7fff
	v_add3_u32 v14, v12, v14, s6
	v_lshrrev_b32_e32 v14, 16, v14
	v_mov_b32_e32 v16, 0x7fc0
	v_cmp_o_f32_e64 s[6:7], v12, v12
	v_add_u32_e32 v20, v18, v30
	v_mov_b32_e32 v21, 0
	v_cndmask_b32_e64 v12, v16, v14, s[6:7]
	s_waitcnt lgkmcnt(0)
	v_lshl_add_u64 v[20:21], v[20:21], 1, s[12:13]
	global_store_short v[20:21], v12, off
	s_or_b64 exec, exec, s[14:15]
	s_and_saveexec_b64 s[14:15], s[4:5]
	s_cbranch_execnz .LBB165_41
	s_branch .LBB165_42
.LBB165_73:
	v_bfe_u32 v12, v17, 16, 1
	s_movk_i32 s6, 0x7fff
	v_add3_u32 v12, v17, v12, s6
	v_lshrrev_b32_e32 v12, 16, v12
	v_mov_b32_e32 v14, 0x7fc0
	v_cmp_o_f32_e64 s[6:7], v17, v17
	v_add_u32_e32 v16, v10, v0
	v_mov_b32_e32 v17, 0
	v_cndmask_b32_e64 v12, v14, v12, s[6:7]
	s_waitcnt lgkmcnt(0)
	v_lshl_add_u64 v[16:17], v[16:17], 1, s[12:13]
	global_store_short v[16:17], v12, off
	s_or_b64 exec, exec, s[14:15]
	s_and_saveexec_b64 s[14:15], s[0:1]
	s_cbranch_execz .LBB165_45
.LBB165_74:
	v_bfe_u32 v12, v15, 16, 1
	s_movk_i32 s6, 0x7fff
	v_add3_u32 v12, v15, v12, s6
	v_lshrrev_b32_e32 v12, 16, v12
	v_mov_b32_e32 v14, 0x7fc0
	v_cmp_o_f32_e64 s[6:7], v15, v15
	v_mov_b32_e32 v15, 0
	s_nop 0
	v_cndmask_b32_e64 v12, v14, v12, s[6:7]
	v_add_u32_e32 v14, v10, v1
	s_waitcnt lgkmcnt(0)
	v_lshl_add_u64 v[14:15], v[14:15], 1, s[12:13]
	global_store_short v[14:15], v12, off
	s_or_b64 exec, exec, s[14:15]
	s_and_saveexec_b64 s[14:15], s[2:3]
	s_cbranch_execz .LBB165_46
.LBB165_75:
	v_bfe_u32 v12, v13, 16, 1
	s_movk_i32 s6, 0x7fff
	v_add3_u32 v12, v13, v12, s6
	v_lshrrev_b32_e32 v12, 16, v12
	v_mov_b32_e32 v14, 0x7fc0
	v_cmp_o_f32_e64 s[6:7], v13, v13
	v_mov_b32_e32 v13, 0
	s_nop 0
	v_cndmask_b32_e64 v14, v14, v12, s[6:7]
	v_add_u32_e32 v12, v10, v30
	s_waitcnt lgkmcnt(0)
	v_lshl_add_u64 v[12:13], v[12:13], 1, s[12:13]
	global_store_short v[12:13], v14, off
	s_or_b64 exec, exec, s[14:15]
	s_and_saveexec_b64 s[14:15], s[4:5]
	s_cbranch_execnz .LBB165_47
	s_branch .LBB165_48
.LBB165_76:
	v_bfe_u32 v11, v8, 16, 1
	s_movk_i32 s6, 0x7fff
	v_add3_u32 v11, v8, v11, s6
	v_lshrrev_b32_e32 v11, 16, v11
	v_mov_b32_e32 v12, 0x7fc0
	v_cmp_o_f32_e64 s[6:7], v8, v8
	v_mov_b32_e32 v13, 0
	s_nop 0
	v_cndmask_b32_e64 v8, v12, v11, s[6:7]
	v_add_u32_e32 v12, v10, v0
	s_waitcnt lgkmcnt(0)
	v_lshl_add_u64 v[12:13], v[12:13], 1, s[12:13]
	global_store_short v[12:13], v8, off
	s_or_b64 exec, exec, s[14:15]
	s_and_saveexec_b64 s[14:15], s[0:1]
	s_cbranch_execz .LBB165_51
.LBB165_77:
	v_bfe_u32 v8, v6, 16, 1
	s_movk_i32 s6, 0x7fff
	v_add3_u32 v8, v6, v8, s6
	v_lshrrev_b32_e32 v8, 16, v8
	v_mov_b32_e32 v11, 0x7fc0
	v_cmp_o_f32_e64 s[6:7], v6, v6
	v_add_u32_e32 v12, v10, v1
	v_mov_b32_e32 v13, 0
	v_cndmask_b32_e64 v6, v11, v8, s[6:7]
	s_waitcnt lgkmcnt(0)
	v_lshl_add_u64 v[12:13], v[12:13], 1, s[12:13]
	global_store_short v[12:13], v6, off
	s_or_b64 exec, exec, s[14:15]
	s_and_saveexec_b64 s[14:15], s[2:3]
	s_cbranch_execz .LBB165_52
.LBB165_78:
	v_bfe_u32 v6, v4, 16, 1
	s_movk_i32 s6, 0x7fff
	v_add3_u32 v6, v4, v6, s6
	v_lshrrev_b32_e32 v6, 16, v6
	v_mov_b32_e32 v8, 0x7fc0
	v_cmp_o_f32_e64 s[6:7], v4, v4
	v_add_u32_e32 v12, v10, v30
	v_mov_b32_e32 v13, 0
	v_cndmask_b32_e64 v4, v8, v6, s[6:7]
	s_waitcnt lgkmcnt(0)
	v_lshl_add_u64 v[12:13], v[12:13], 1, s[12:13]
	global_store_short v[12:13], v4, off
	s_or_b64 exec, exec, s[14:15]
	s_and_saveexec_b64 s[14:15], s[4:5]
	s_cbranch_execnz .LBB165_53
	s_branch .LBB165_54
.LBB165_79:
	v_bfe_u32 v4, v9, 16, 1
	s_movk_i32 s8, 0x7fff
	v_add3_u32 v4, v9, v4, s8
	v_lshrrev_b32_e32 v4, 16, v4
	v_mov_b32_e32 v6, 0x7fc0
	v_cmp_o_f32_e32 vcc, v9, v9
	v_add_u32_e32 v8, v2, v0
	v_mov_b32_e32 v9, 0
	v_cndmask_b32_e32 v4, v6, v4, vcc
	s_waitcnt lgkmcnt(0)
	v_lshl_add_u64 v[8:9], v[8:9], 1, s[12:13]
	global_store_short v[8:9], v4, off
	s_or_b64 exec, exec, s[6:7]
	s_and_saveexec_b64 s[6:7], s[0:1]
	s_cbranch_execz .LBB165_57
.LBB165_80:
	v_bfe_u32 v0, v7, 16, 1
	s_movk_i32 s0, 0x7fff
	v_add3_u32 v0, v7, v0, s0
	v_lshrrev_b32_e32 v0, 16, v0
	v_mov_b32_e32 v4, 0x7fc0
	v_cmp_o_f32_e32 vcc, v7, v7
	s_nop 1
	v_cndmask_b32_e32 v4, v4, v0, vcc
	v_add_u32_e32 v0, v2, v1
	v_mov_b32_e32 v1, 0
	s_waitcnt lgkmcnt(0)
	v_lshl_add_u64 v[0:1], v[0:1], 1, s[12:13]
	global_store_short v[0:1], v4, off
	s_or_b64 exec, exec, s[6:7]
	s_and_saveexec_b64 s[0:1], s[2:3]
	s_cbranch_execz .LBB165_58
.LBB165_81:
	v_bfe_u32 v0, v5, 16, 1
	s_movk_i32 s2, 0x7fff
	v_add3_u32 v0, v5, v0, s2
	v_lshrrev_b32_e32 v0, 16, v0
	v_mov_b32_e32 v1, 0x7fc0
	v_cmp_o_f32_e32 vcc, v5, v5
	s_nop 1
	v_cndmask_b32_e32 v4, v1, v0, vcc
	v_add_u32_e32 v0, v2, v30
	v_mov_b32_e32 v1, 0
	s_waitcnt lgkmcnt(0)
	v_lshl_add_u64 v[0:1], v[0:1], 1, s[12:13]
	global_store_short v[0:1], v4, off
	s_or_b64 exec, exec, s[0:1]
	s_and_b64 exec, exec, s[4:5]
	s_cbranch_execnz .LBB165_59
	s_branch .LBB165_60
	.section	.rodata,"a",@progbits
	.p2align	6, 0x0
	.amdhsa_kernel _ZL12mul_mat_q8_0IN3c108BFloat16ELb0EEvPKvS3_PT_iiiii
		.amdhsa_group_segment_fixed_size 28224
		.amdhsa_private_segment_fixed_size 0
		.amdhsa_kernarg_size 44
		.amdhsa_user_sgpr_count 2
		.amdhsa_user_sgpr_dispatch_ptr 0
		.amdhsa_user_sgpr_queue_ptr 0
		.amdhsa_user_sgpr_kernarg_segment_ptr 1
		.amdhsa_user_sgpr_dispatch_id 0
		.amdhsa_user_sgpr_kernarg_preload_length 0
		.amdhsa_user_sgpr_kernarg_preload_offset 0
		.amdhsa_user_sgpr_private_segment_size 0
		.amdhsa_uses_dynamic_stack 0
		.amdhsa_enable_private_segment 0
		.amdhsa_system_sgpr_workgroup_id_x 1
		.amdhsa_system_sgpr_workgroup_id_y 1
		.amdhsa_system_sgpr_workgroup_id_z 0
		.amdhsa_system_sgpr_workgroup_info 0
		.amdhsa_system_vgpr_workitem_id 1
		.amdhsa_next_free_vgpr 163
		.amdhsa_next_free_sgpr 18
		.amdhsa_accum_offset 164
		.amdhsa_reserve_vcc 1
		.amdhsa_float_round_mode_32 0
		.amdhsa_float_round_mode_16_64 0
		.amdhsa_float_denorm_mode_32 3
		.amdhsa_float_denorm_mode_16_64 3
		.amdhsa_dx10_clamp 1
		.amdhsa_ieee_mode 1
		.amdhsa_fp16_overflow 0
		.amdhsa_tg_split 0
		.amdhsa_exception_fp_ieee_invalid_op 0
		.amdhsa_exception_fp_denorm_src 0
		.amdhsa_exception_fp_ieee_div_zero 0
		.amdhsa_exception_fp_ieee_overflow 0
		.amdhsa_exception_fp_ieee_underflow 0
		.amdhsa_exception_fp_ieee_inexact 0
		.amdhsa_exception_int_div_zero 0
	.end_amdhsa_kernel
	.section	.text._ZL12mul_mat_q8_0IN3c108BFloat16ELb0EEvPKvS3_PT_iiiii,"axG",@progbits,_ZL12mul_mat_q8_0IN3c108BFloat16ELb0EEvPKvS3_PT_iiiii,comdat
.Lfunc_end165:
	.size	_ZL12mul_mat_q8_0IN3c108BFloat16ELb0EEvPKvS3_PT_iiiii, .Lfunc_end165-_ZL12mul_mat_q8_0IN3c108BFloat16ELb0EEvPKvS3_PT_iiiii
                                        ; -- End function
	.section	.AMDGPU.csdata,"",@progbits
; Kernel info:
; codeLenInByte = 7620
; NumSgprs: 24
; NumVgprs: 163
; NumAgprs: 0
; TotalNumVgprs: 163
; ScratchSize: 0
; MemoryBound: 0
; FloatMode: 240
; IeeeMode: 1
; LDSByteSize: 28224 bytes/workgroup (compile time only)
; SGPRBlocks: 2
; VGPRBlocks: 20
; NumSGPRsForWavesPerEU: 24
; NumVGPRsForWavesPerEU: 163
; AccumOffset: 164
; Occupancy: 2
; WaveLimiterHint : 0
; COMPUTE_PGM_RSRC2:SCRATCH_EN: 0
; COMPUTE_PGM_RSRC2:USER_SGPR: 2
; COMPUTE_PGM_RSRC2:TRAP_HANDLER: 0
; COMPUTE_PGM_RSRC2:TGID_X_EN: 1
; COMPUTE_PGM_RSRC2:TGID_Y_EN: 1
; COMPUTE_PGM_RSRC2:TGID_Z_EN: 0
; COMPUTE_PGM_RSRC2:TIDIG_COMP_CNT: 1
; COMPUTE_PGM_RSRC3_GFX90A:ACCUM_OFFSET: 40
; COMPUTE_PGM_RSRC3_GFX90A:TG_SPLIT: 0
	.section	.text._ZL12mul_mat_q8_0IN3c108BFloat16ELb1EEvPKvS3_PT_iiiii,"axG",@progbits,_ZL12mul_mat_q8_0IN3c108BFloat16ELb1EEvPKvS3_PT_iiiii,comdat
	.globl	_ZL12mul_mat_q8_0IN3c108BFloat16ELb1EEvPKvS3_PT_iiiii ; -- Begin function _ZL12mul_mat_q8_0IN3c108BFloat16ELb1EEvPKvS3_PT_iiiii
	.p2align	8
	.type	_ZL12mul_mat_q8_0IN3c108BFloat16ELb1EEvPKvS3_PT_iiiii,@function
_ZL12mul_mat_q8_0IN3c108BFloat16ELb1EEvPKvS3_PT_iiiii: ; @_ZL12mul_mat_q8_0IN3c108BFloat16ELb1EEvPKvS3_PT_iiiii
; %bb.0:
	s_load_dwordx4 s[8:11], s[0:1], 0x18
	s_load_dword s14, s[0:1], 0x28
	s_lshl_b32 s15, s3, 6
	v_bfe_u32 v37, v0, 10, 10
	s_waitcnt lgkmcnt(0)
	s_cmp_gt_i32 s8, 31
	s_cbranch_scc1 .LBB166_2
; %bb.1:
	v_bfe_u32 v34, v0, 10, 10
	v_and_b32_e32 v1, 0x3ff, v0
	v_add_u32_e32 v39, s15, v34
	s_mov_b64 s[4:5], 0
	s_mov_b32 s3, 0
	s_branch .LBB166_3
.LBB166_2:
	s_mov_b64 s[4:5], -1
                                        ; implicit-def: $sgpr3
                                        ; implicit-def: $vgpr34
                                        ; implicit-def: $vgpr1
                                        ; implicit-def: $vgpr39
.LBB166_3:
	s_load_dwordx2 s[12:13], s[0:1], 0x10
	s_lshl_b32 s6, s2, 7
	s_andn2_b64 vcc, exec, s[4:5]
	v_mov_b32_e32 v3, s3
	v_mov_b32_e32 v2, s3
	;; [unrolled: 1-line block ×32, first 2 shown]
	s_cbranch_vccnz .LBB166_9
; %bb.4:
	s_ashr_i32 s4, s8, 31
	s_load_dwordx4 s[0:3], s[0:1], 0x0
	s_lshr_b32 s4, s4, 27
	s_ashr_i32 s5, s11, 31
	s_add_i32 s4, s8, s4
	s_lshr_b32 s5, s5, 27
	s_ashr_i32 s4, s4, 5
	s_add_i32 s5, s11, s5
	s_ashr_i32 s11, s5, 5
	s_mul_i32 s5, s4, s6
	s_mul_hi_i32 s7, s5, 34
	s_mul_i32 s5, s5, 34
	s_waitcnt lgkmcnt(0)
	s_add_u32 s5, s0, s5
	s_addc_u32 s7, s1, s7
	s_not_b32 s0, s6
	s_add_i32 s1, s0, s9
	v_and_b32_e32 v1, 0x3ff, v0
	v_lshlrev_b32_e32 v2, 2, v1
	v_min_i32_e32 v3, s1, v37
	s_movk_i32 s16, 0x84
	v_add_u32_e32 v6, 8, v37
	v_mul_lo_u32 v36, v3, s4
	v_mad_u64_u32 v[38:39], s[8:9], v3, s16, v[2:3]
	v_min_i32_e32 v3, s1, v6
	v_add_u32_e32 v7, 16, v37
	v_mul_lo_u32 v40, v3, s4
	v_mad_u64_u32 v[42:43], s[8:9], v3, s16, v[2:3]
	v_min_i32_e32 v3, s1, v7
	;; [unrolled: 4-line block ×7, first 2 shown]
	v_mul_lo_u32 v64, v3, s4
	v_mad_u64_u32 v[66:67], s[8:9], v3, s16, v[2:3]
	v_add_u32_e32 v3, 64, v37
	v_min_i32_e32 v3, s1, v3
	v_mul_lo_u32 v68, v3, s4
	v_mad_u64_u32 v[70:71], s[8:9], v3, s16, v[2:3]
	v_add_u32_e32 v3, 0x48, v37
	v_min_i32_e32 v3, s1, v3
	;; [unrolled: 4-line block ×8, first 2 shown]
	v_and_b32_e32 v34, 28, v2
	v_mad_u64_u32 v[98:99], s[8:9], v3, s16, v[2:3]
	v_lshrrev_b32_e32 v2, 2, v1
	v_lshl_add_u32 v4, v37, 3, v2
	v_min_i32_e32 v2, s1, v4
	v_mul_lo_u32 v96, v3, s4
	v_ashrrev_i32_e32 v3, 31, v2
	v_lshrrev_b32_e32 v3, 29, v3
	v_add_u32_e32 v3, v2, v3
	v_and_b32_e32 v100, 3, v1
	v_mul_lo_u32 v102, v2, s4
	v_ashrrev_i32_e32 v3, 3, v3
	v_lshlrev_b32_e32 v14, 4, v2
	v_add_u32_e32 v2, 64, v4
	v_lshlrev_b32_e32 v3, 2, v3
	v_lshlrev_b32_e32 v5, 2, v100
	s_movk_i32 s16, 0x6200
	v_min_i32_e32 v2, s1, v2
	v_add3_u32 v13, v3, v5, s16
	v_ashrrev_i32_e32 v3, 31, v2
	v_lshrrev_b32_e32 v3, 29, v3
	v_add_u32_e32 v3, v2, v3
	v_ashrrev_i32_e32 v3, 3, v3
	v_and_b32_e32 v4, 63, v4
	v_lshlrev_b32_e32 v3, 2, v3
	v_add_u32_e32 v39, s15, v37
	s_add_i32 s1, s10, -1
	v_or_b32_e32 v18, s15, v4
	v_lshl_or_b32 v4, v4, 4, v5
	v_mul_lo_u32 v104, v2, s4
	v_add3_u32 v15, v3, v5, s16
	v_lshlrev_b32_e32 v16, 4, v2
	v_cvt_f64_i32_e32 v[2:3], s1
	v_add_u32_e32 v41, 0x6a40, v4
	v_cvt_f64_u32_e32 v[4:5], v39
	v_and_b32_e32 v17, 31, v1
	v_min_i32_e32 v18, s1, v18
	v_min_f64 v[4:5], v[4:5], v[2:3]
	v_mad_u64_u32 v[108:109], s[8:9], v18, s11, v[100:101]
	v_cvt_i32_f64_e32 v4, v[4:5]
	v_lshlrev_b32_e32 v17, 2, v17
	v_lshlrev_b32_e32 v18, 7, v37
	v_mul_lo_u32 v43, s11, v4
	v_or_b32_e32 v4, v18, v17
	v_add_u32_e32 v45, 0x4200, v4
	v_add_u32_e32 v4, 8, v39
	v_cvt_f64_u32_e32 v[4:5], v4
	v_min_f64 v[4:5], v[4:5], v[2:3]
	v_cvt_i32_f64_e32 v4, v[4:5]
	v_mul_lo_u32 v47, s11, v4
	v_lshl_or_b32 v4, v6, 7, v17
	v_add_u32_e32 v49, 0x4200, v4
	v_add_u32_e32 v4, 16, v39
	v_cvt_f64_u32_e32 v[4:5], v4
	v_min_f64 v[4:5], v[4:5], v[2:3]
	v_cvt_i32_f64_e32 v4, v[4:5]
	v_mul_lo_u32 v51, s11, v4
	v_lshl_or_b32 v4, v7, 7, v17
	;; [unrolled: 7-line block ×6, first 2 shown]
	v_add_u32_e32 v69, 0x4200, v4
	v_add_u32_e32 v4, 56, v39
	v_cvt_f64_u32_e32 v[4:5], v4
	v_min_f64 v[2:3], v[4:5], v[2:3]
	v_cvt_i32_f64_e32 v2, v[2:3]
	v_add_u32_e32 v4, 0x60, v1
	v_mul_lo_u32 v71, s11, v2
	v_lshl_or_b32 v2, v12, 7, v17
	v_add_u32_e32 v3, 64, v1
	v_lshrrev_b32_e32 v4, 1, v4
	v_add_u32_e32 v73, 0x4200, v2
	v_add_u32_e32 v2, 32, v1
	v_lshlrev_b32_e32 v5, 4, v1
	v_and_b32_e32 v4, 0xfc, v4
	s_movk_i32 s1, 0x6800
	v_lshrrev_b32_e32 v3, 1, v3
	v_add3_u32 v79, v5, v4, s1
	v_and_b32_e32 v3, 0xfc, v3
	s_movk_i32 s1, 0x6600
	v_lshrrev_b32_e32 v2, 1, v2
	v_lshrrev_b32_e32 v0, 3, v1
	v_add3_u32 v81, v5, v3, s1
	v_and_b32_e32 v2, 0xfc, v2
	s_movk_i32 s1, 0x6400
	s_mov_b32 s0, 0
	v_add3_u32 v83, v5, v2, s1
	v_lshlrev_b32_e32 v2, 2, v0
	v_mov_b32_e32 v35, 0
	v_add3_u32 v85, v5, v2, s16
	v_mov_b32_e32 v2, 0x6a40
	s_mov_b32 s1, s0
	v_lshl_add_u64 v[106:107], s[2:3], 0, v[34:35]
	v_mul_u32_u24_e32 v75, 0x84, v1
	v_add_u32_e32 v77, 0x4200, v18
	v_lshl_add_u32 v87, v37, 4, v2
	v_mov_b64_e32 v[32:33], s[0:1]
	v_add_u32_e32 v89, v13, v14
	v_add_u32_e32 v91, v15, v16
	v_mov_b64_e32 v[24:25], s[0:1]
	v_mov_b64_e32 v[16:17], s[0:1]
	;; [unrolled: 1-line block ×15, first 2 shown]
.LBB166_5:                              ; =>This Loop Header: Depth=1
                                        ;     Child Loop BB166_6 Depth 2
	s_mul_i32 s8, s0, 34
	s_mul_hi_u32 s1, s0, 34
	s_add_u32 s8, s5, s8
	s_addc_u32 s9, s7, s1
	v_mad_u64_u32 v[110:111], s[16:17], v0, 34, s[8:9]
	v_lshl_add_u64 v[110:111], v[110:111], 0, v[34:35]
	v_lshl_add_u64 v[110:111], v[110:111], 0, 2
	v_mad_i64_i32 v[112:113], s[16:17], v36, 34, v[110:111]
	v_mad_i64_i32 v[114:115], s[16:17], v40, 34, v[110:111]
	;; [unrolled: 1-line block ×8, first 2 shown]
	global_load_dword v93, v[112:113], off
	global_load_dword v95, v[114:115], off
	;; [unrolled: 1-line block ×8, first 2 shown]
	v_mad_i64_i32 v[112:113], s[16:17], v68, 34, v[110:111]
	v_mad_i64_i32 v[114:115], s[16:17], v72, 34, v[110:111]
	;; [unrolled: 1-line block ×8, first 2 shown]
	global_load_dword v128, v[112:113], off
	global_load_dword v129, v[114:115], off
                                        ; kill: killed $vgpr114_vgpr115
                                        ; kill: killed $vgpr112_vgpr113
	global_load_dword v130, v[116:117], off
	global_load_dword v131, v[118:119], off
	;; [unrolled: 1-line block ×4, first 2 shown]
                                        ; kill: killed $vgpr116_vgpr117
                                        ; kill: killed $vgpr122_vgpr123
                                        ; kill: killed $vgpr120_vgpr121
                                        ; kill: killed $vgpr118_vgpr119
	global_load_dword v134, v[124:125], off
	global_load_dword v135, v[110:111], off
	v_mad_u64_u32 v[110:111], s[8:9], v100, 34, s[8:9]
	v_mad_i64_i32 v[112:113], s[8:9], v102, 34, v[110:111]
	v_mad_i64_i32 v[110:111], s[8:9], v104, 34, v[110:111]
	v_add_u32_e32 v124, s0, v0
	global_load_ushort v136, v[112:113], off
	global_load_ushort v137, v[110:111], off
	v_add_u32_e32 v110, v124, v43
	v_add_u32_e32 v112, v124, v47
	;; [unrolled: 1-line block ×5, first 2 shown]
	v_mad_i64_i32 v[110:111], s[8:9], v110, 36, v[106:107]
	v_mad_i64_i32 v[112:113], s[8:9], v112, 36, v[106:107]
	;; [unrolled: 1-line block ×5, first 2 shown]
	v_add_u32_e32 v120, v124, v63
	v_add_u32_e32 v122, v124, v67
	;; [unrolled: 1-line block ×4, first 2 shown]
	v_mad_i64_i32 v[120:121], s[8:9], v120, 36, v[106:107]
	v_mad_i64_i32 v[122:123], s[8:9], v122, 36, v[106:107]
	;; [unrolled: 1-line block ×3, first 2 shown]
	v_mad_u64_u32 v[126:127], s[8:9], v126, 36, s[2:3]
	global_load_dword v110, v[110:111], off offset:4
	s_nop 0
	global_load_dword v111, v[112:113], off offset:4
	s_nop 0
	global_load_dword v112, v[114:115], off offset:4
	global_load_dword v113, v[116:117], off offset:4
	s_nop 0
	global_load_dword v114, v[118:119], off offset:4
	global_load_dword v115, v[126:127], off
	global_load_dword v116, v[120:121], off offset:4
	global_load_dword v117, v[122:123], off offset:4
	s_nop 0
	global_load_dword v118, v[124:125], off offset:4
	s_mov_b32 s1, -8
	s_waitcnt vmcnt(26)
	ds_write_b32 v38, v93
	s_waitcnt vmcnt(25)
	ds_write_b32 v42, v95
	;; [unrolled: 2-line block ×14, first 2 shown]
	v_mov_b32_e32 v97, v83
	v_mov_b32_e32 v99, v81
	v_mov_b32_e32 v101, v79
	v_mov_b32_e32 v103, v77
	v_mov_b32_e32 v105, v75
	s_waitcnt vmcnt(10)
	v_cvt_f32_f16_e32 v93, v136
	s_waitcnt vmcnt(9)
	v_cvt_f32_f16_e32 v95, v137
	ds_write_b32 v94, v134
	ds_write_b32 v98, v135
	;; [unrolled: 1-line block ×4, first 2 shown]
	s_waitcnt vmcnt(8)
	ds_write_b32 v45, v110
	s_waitcnt vmcnt(7)
	ds_write_b32 v49, v111
	s_waitcnt vmcnt(6)
	ds_write_b32 v53, v112
	s_waitcnt vmcnt(5)
	ds_write_b32 v57, v113
	s_waitcnt vmcnt(4)
	ds_write_b32 v61, v114
	s_waitcnt vmcnt(3)
	v_cvt_f32_f16_e32 v93, v115
	s_waitcnt vmcnt(2)
	ds_write_b32 v65, v116
	s_waitcnt vmcnt(1)
	ds_write_b32 v69, v117
	;; [unrolled: 2-line block ×3, first 2 shown]
	ds_write_b32 v41, v93
	v_mov_b32_e32 v93, v87
	v_mov_b32_e32 v95, v85
	s_waitcnt lgkmcnt(0)
	s_barrier
.LBB166_6:                              ;   Parent Loop BB166_5 Depth=1
                                        ; =>  This Inner Loop Header: Depth=2
	v_add_u32_e32 v112, 0x1088, v105
	ds_read2_b32 v[150:151], v93 offset1:32
	ds_read_b128 v[152:155], v103
	ds_read_b128 v[156:159], v103 offset:16
	ds_read_b32 v114, v95
	ds_read2_b32 v[122:123], v105 offset1:1
	ds_read2_b32 v[130:131], v105 offset0:2 offset1:3
	ds_read2_b32 v[136:137], v105 offset0:4 offset1:5
	;; [unrolled: 1-line block ×3, first 2 shown]
	v_add_u32_e32 v111, 0x1080, v105
	ds_read_b32 v110, v97
	ds_read2_b32 v[116:117], v111 offset1:1
	ds_read2_b32 v[124:125], v112 offset1:1
	v_add_u32_e32 v112, 0x1090, v105
	ds_read2_b32 v[132:133], v112 offset1:1
	v_add_u32_e32 v112, 0x1098, v105
	v_add_u32_e32 v115, 0x2108, v105
	ds_read2_b32 v[142:143], v112 offset1:1
	v_add_u32_e32 v113, 0x2100, v105
	ds_read_b32 v112, v99
	ds_read2_b32 v[120:121], v113 offset1:1
	ds_read2_b32 v[128:129], v115 offset1:1
	v_add_u32_e32 v115, 0x2110, v105
	ds_read2_b32 v[138:139], v115 offset1:1
	v_add_u32_e32 v115, 0x2118, v105
	;; [unrolled: 2-line block ×3, first 2 shown]
	ds_read_b32 v118, v101
	ds_read2_b32 v[126:127], v115 offset1:1
	v_add_u32_e32 v119, 0x3188, v105
	ds_read2_b32 v[134:135], v119 offset1:1
	v_add_u32_e32 v119, 0x3190, v105
	v_mov_b32_e32 v109, 0
	v_mov_b32_e32 v111, 0
	;; [unrolled: 1-line block ×4, first 2 shown]
	ds_read2_b32 v[144:145], v119 offset1:1
	s_waitcnt lgkmcnt(14)
	v_dot4c_i32_i8_e32 v109, v122, v152
	s_waitcnt lgkmcnt(12)
	v_dot4c_i32_i8_e32 v111, v116, v152
	;; [unrolled: 2-line block ×4, first 2 shown]
	v_add_u32_e32 v119, 0x3198, v105
	v_dot4c_i32_i8_e32 v109, v123, v153
	v_dot4c_i32_i8_e32 v111, v117, v153
	;; [unrolled: 1-line block ×4, first 2 shown]
	ds_read2_b32 v[148:149], v119 offset1:1
	v_dot4c_i32_i8_e32 v109, v130, v154
	v_dot4c_i32_i8_e32 v111, v124, v154
	v_dot4c_i32_i8_e32 v113, v128, v154
	s_waitcnt lgkmcnt(2)
	v_dot4c_i32_i8_e32 v115, v134, v154
	v_dot4c_i32_i8_e32 v109, v131, v155
	v_dot4c_i32_i8_e32 v111, v125, v155
	v_dot4c_i32_i8_e32 v113, v129, v155
	v_dot4c_i32_i8_e32 v115, v135, v155
	v_dot4c_i32_i8_e32 v109, v136, v156
	v_dot4c_i32_i8_e32 v111, v132, v156
	v_dot4c_i32_i8_e32 v113, v138, v156
	s_waitcnt lgkmcnt(1)
	v_dot4c_i32_i8_e32 v115, v144, v156
	v_dot4c_i32_i8_e32 v109, v137, v157
	v_dot4c_i32_i8_e32 v111, v133, v157
	v_dot4c_i32_i8_e32 v113, v139, v157
	v_dot4c_i32_i8_e32 v115, v145, v157
	;; [unrolled: 9-line block ×3, first 2 shown]
	ds_read_b128 v[152:155], v103 offset:1024
	ds_read_b128 v[156:159], v103 offset:1040
	v_mov_b32_e32 v119, 0
	v_cvt_f32_i32_e32 v162, v109
	v_mov_b32_e32 v109, 0
	s_waitcnt lgkmcnt(1)
	v_dot4c_i32_i8_e32 v119, v122, v152
	v_dot4c_i32_i8_e32 v119, v123, v153
	;; [unrolled: 1-line block ×4, first 2 shown]
	s_waitcnt lgkmcnt(0)
	v_dot4c_i32_i8_e32 v119, v136, v156
	v_dot4c_i32_i8_e32 v109, v116, v152
	;; [unrolled: 1-line block ×10, first 2 shown]
	v_cvt_f32_i32_e32 v163, v119
	v_dot4c_i32_i8_e32 v109, v142, v158
	v_pk_mul_f32 v[160:161], v[114:115], v[150:151] op_sel_hi:[0,1]
	v_dot4c_i32_i8_e32 v109, v143, v159
	v_pk_fma_f32 v[32:33], v[160:161], v[162:163], v[32:33]
	v_cvt_f32_i32_e32 v162, v111
	v_pk_mul_f32 v[160:161], v[110:111], v[150:151] op_sel_hi:[0,1]
	v_cvt_f32_i32_e32 v163, v109
	v_mov_b32_e32 v109, 0
	v_dot4c_i32_i8_e32 v109, v120, v152
	v_dot4c_i32_i8_e32 v109, v121, v153
	;; [unrolled: 1-line block ×8, first 2 shown]
	v_pk_fma_f32 v[30:31], v[160:161], v[162:163], v[30:31]
	v_pk_mul_f32 v[160:161], v[112:113], v[150:151] op_sel_hi:[0,1]
	v_pk_mul_f32 v[150:151], v[118:119], v[150:151] op_sel_hi:[0,1]
	v_cvt_f32_i32_e32 v163, v109
	v_mov_b32_e32 v109, 0
	v_dot4c_i32_i8_e32 v109, v126, v152
	v_dot4c_i32_i8_e32 v109, v127, v153
	;; [unrolled: 1-line block ×8, first 2 shown]
	v_cvt_f32_i32_e32 v152, v115
	v_cvt_f32_i32_e32 v162, v113
	v_mov_b32_e32 v111, 0
	v_cvt_f32_i32_e32 v153, v109
	v_mov_b32_e32 v109, 0
	v_mov_b32_e32 v113, 0
	;; [unrolled: 1-line block ×3, first 2 shown]
	v_pk_fma_f32 v[26:27], v[150:151], v[152:153], v[26:27]
	ds_read2_b32 v[150:151], v93 offset0:64 offset1:96
	ds_read_b128 v[152:155], v103 offset:2048
	ds_read_b128 v[156:159], v103 offset:2064
	v_mov_b32_e32 v119, 0
	v_pk_fma_f32 v[28:29], v[160:161], v[162:163], v[28:29]
	s_add_i32 s1, s1, 8
	s_waitcnt lgkmcnt(1)
	v_dot4c_i32_i8_e32 v109, v122, v152
	v_dot4c_i32_i8_e32 v111, v116, v152
	;; [unrolled: 1-line block ×16, first 2 shown]
	s_waitcnt lgkmcnt(0)
	v_dot4c_i32_i8_e32 v109, v136, v156
	v_dot4c_i32_i8_e32 v111, v132, v156
	;; [unrolled: 1-line block ×16, first 2 shown]
	ds_read_b128 v[152:155], v103 offset:3072
	ds_read_b128 v[156:159], v103 offset:3088
	v_cvt_f32_i32_e32 v162, v109
	v_mov_b32_e32 v109, 0
	v_pk_mul_f32 v[160:161], v[114:115], v[150:151] op_sel_hi:[0,1]
	s_waitcnt lgkmcnt(1)
	v_dot4c_i32_i8_e32 v119, v122, v152
	v_dot4c_i32_i8_e32 v119, v123, v153
	;; [unrolled: 1-line block ×4, first 2 shown]
	s_waitcnt lgkmcnt(0)
	v_dot4c_i32_i8_e32 v119, v136, v156
	v_dot4c_i32_i8_e32 v109, v116, v152
	;; [unrolled: 1-line block ×10, first 2 shown]
	v_cvt_f32_i32_e32 v163, v119
	v_dot4c_i32_i8_e32 v109, v142, v158
	v_dot4c_i32_i8_e32 v109, v143, v159
	v_add_u32_e32 v105, 32, v105
	v_pk_fma_f32 v[24:25], v[160:161], v[162:163], v[24:25]
	v_cvt_f32_i32_e32 v162, v111
	v_cvt_f32_i32_e32 v163, v109
	v_mov_b32_e32 v109, 0
	v_dot4c_i32_i8_e32 v109, v120, v152
	v_dot4c_i32_i8_e32 v109, v121, v153
	;; [unrolled: 1-line block ×7, first 2 shown]
	v_pk_mul_f32 v[160:161], v[110:111], v[150:151] op_sel_hi:[0,1]
	v_dot4c_i32_i8_e32 v109, v147, v159
	v_pk_fma_f32 v[22:23], v[160:161], v[162:163], v[22:23]
	v_pk_mul_f32 v[160:161], v[112:113], v[150:151] op_sel_hi:[0,1]
	v_pk_mul_f32 v[150:151], v[118:119], v[150:151] op_sel_hi:[0,1]
	v_cvt_f32_i32_e32 v163, v109
	v_mov_b32_e32 v109, 0
	v_dot4c_i32_i8_e32 v109, v126, v152
	v_dot4c_i32_i8_e32 v109, v127, v153
	v_dot4c_i32_i8_e32 v109, v134, v154
	v_dot4c_i32_i8_e32 v109, v135, v155
	v_dot4c_i32_i8_e32 v109, v144, v156
	v_dot4c_i32_i8_e32 v109, v145, v157
	v_dot4c_i32_i8_e32 v109, v148, v158
	v_dot4c_i32_i8_e32 v109, v149, v159
	v_cvt_f32_i32_e32 v152, v115
	v_cvt_f32_i32_e32 v162, v113
	v_mov_b32_e32 v111, 0
	v_cvt_f32_i32_e32 v153, v109
	v_mov_b32_e32 v109, 0
	v_mov_b32_e32 v113, 0
	;; [unrolled: 1-line block ×3, first 2 shown]
	v_pk_fma_f32 v[18:19], v[150:151], v[152:153], v[18:19]
	ds_read2_b32 v[150:151], v93 offset0:128 offset1:160
	ds_read_b128 v[152:155], v103 offset:4096
	ds_read_b128 v[156:159], v103 offset:4112
	v_mov_b32_e32 v119, 0
	v_pk_fma_f32 v[20:21], v[160:161], v[162:163], v[20:21]
	v_add_u32_e32 v101, 4, v101
	s_waitcnt lgkmcnt(1)
	v_dot4c_i32_i8_e32 v109, v122, v152
	v_dot4c_i32_i8_e32 v111, v116, v152
	;; [unrolled: 1-line block ×16, first 2 shown]
	s_waitcnt lgkmcnt(0)
	v_dot4c_i32_i8_e32 v109, v136, v156
	v_dot4c_i32_i8_e32 v111, v132, v156
	;; [unrolled: 1-line block ×16, first 2 shown]
	ds_read_b128 v[152:155], v103 offset:5120
	ds_read_b128 v[156:159], v103 offset:5136
	v_cvt_f32_i32_e32 v162, v109
	v_mov_b32_e32 v109, 0
	v_pk_mul_f32 v[160:161], v[114:115], v[150:151] op_sel_hi:[0,1]
	s_waitcnt lgkmcnt(1)
	v_dot4c_i32_i8_e32 v119, v122, v152
	v_dot4c_i32_i8_e32 v119, v123, v153
	;; [unrolled: 1-line block ×4, first 2 shown]
	s_waitcnt lgkmcnt(0)
	v_dot4c_i32_i8_e32 v119, v136, v156
	v_dot4c_i32_i8_e32 v109, v116, v152
	;; [unrolled: 1-line block ×10, first 2 shown]
	v_cvt_f32_i32_e32 v163, v119
	v_dot4c_i32_i8_e32 v109, v142, v158
	v_dot4c_i32_i8_e32 v109, v143, v159
	v_add_u32_e32 v99, 4, v99
	v_pk_fma_f32 v[16:17], v[160:161], v[162:163], v[16:17]
	v_cvt_f32_i32_e32 v162, v111
	v_cvt_f32_i32_e32 v163, v109
	v_mov_b32_e32 v109, 0
	v_dot4c_i32_i8_e32 v109, v120, v152
	v_dot4c_i32_i8_e32 v109, v121, v153
	;; [unrolled: 1-line block ×7, first 2 shown]
	v_pk_mul_f32 v[160:161], v[110:111], v[150:151] op_sel_hi:[0,1]
	v_dot4c_i32_i8_e32 v109, v147, v159
	v_pk_fma_f32 v[14:15], v[160:161], v[162:163], v[14:15]
	v_pk_mul_f32 v[160:161], v[112:113], v[150:151] op_sel_hi:[0,1]
	v_cvt_f32_i32_e32 v162, v113
	v_cvt_f32_i32_e32 v163, v109
	v_mov_b32_e32 v109, 0
	v_dot4c_i32_i8_e32 v109, v126, v152
	v_dot4c_i32_i8_e32 v109, v127, v153
	;; [unrolled: 1-line block ×8, first 2 shown]
	v_cvt_f32_i32_e32 v152, v115
	v_pk_mul_f32 v[150:151], v[118:119], v[150:151] op_sel_hi:[0,1]
	v_pk_fma_f32 v[12:13], v[160:161], v[162:163], v[12:13]
	v_cvt_f32_i32_e32 v153, v109
	v_mov_b32_e32 v109, 0
	v_mov_b32_e32 v113, 0
	v_mov_b32_e32 v119, 0
	v_pk_fma_f32 v[10:11], v[150:151], v[152:153], v[10:11]
	ds_read2_b32 v[150:151], v93 offset0:192 offset1:224
	ds_read_b128 v[152:155], v103 offset:6144
	ds_read_b128 v[156:159], v103 offset:6160
	v_mov_b32_e32 v160, 0
	v_mov_b32_e32 v111, 0
	s_waitcnt lgkmcnt(2)
	v_pk_mul_f32 v[114:115], v[114:115], v[150:151] op_sel_hi:[0,1]
	s_waitcnt lgkmcnt(1)
	v_dot4c_i32_i8_e32 v109, v122, v152
	v_dot4c_i32_i8_e32 v113, v116, v152
	v_dot4c_i32_i8_e32 v119, v120, v152
	v_dot4c_i32_i8_e32 v160, v126, v152
	v_dot4c_i32_i8_e32 v109, v123, v153
	v_dot4c_i32_i8_e32 v113, v117, v153
	v_dot4c_i32_i8_e32 v119, v121, v153
	v_dot4c_i32_i8_e32 v160, v127, v153
	v_dot4c_i32_i8_e32 v109, v130, v154
	v_dot4c_i32_i8_e32 v113, v124, v154
	v_dot4c_i32_i8_e32 v119, v128, v154
	v_dot4c_i32_i8_e32 v160, v134, v154
	v_dot4c_i32_i8_e32 v109, v131, v155
	v_dot4c_i32_i8_e32 v113, v125, v155
	v_dot4c_i32_i8_e32 v119, v129, v155
	v_dot4c_i32_i8_e32 v160, v135, v155
	s_waitcnt lgkmcnt(0)
	v_dot4c_i32_i8_e32 v109, v136, v156
	v_dot4c_i32_i8_e32 v113, v132, v156
	;; [unrolled: 1-line block ×16, first 2 shown]
	ds_read_b128 v[152:155], v103 offset:7168
	ds_read_b128 v[156:159], v103 offset:7184
	v_add_u32_e32 v103, 32, v103
	v_add_u32_e32 v97, 4, v97
	;; [unrolled: 1-line block ×3, first 2 shown]
	s_waitcnt lgkmcnt(1)
	v_dot4c_i32_i8_e32 v111, v122, v152
	v_dot4c_i32_i8_e32 v111, v123, v153
	;; [unrolled: 1-line block ×4, first 2 shown]
	v_cvt_f32_i32_e32 v122, v109
	v_mov_b32_e32 v109, 0
	s_waitcnt lgkmcnt(0)
	v_dot4c_i32_i8_e32 v111, v136, v156
	v_dot4c_i32_i8_e32 v109, v116, v152
	;; [unrolled: 1-line block ×10, first 2 shown]
	v_cvt_f32_i32_e32 v123, v111
	v_dot4c_i32_i8_e32 v109, v142, v158
	v_dot4c_i32_i8_e32 v109, v143, v159
	v_pk_mul_f32 v[110:111], v[110:111], v[150:151] op_sel_hi:[0,1]
	v_pk_fma_f32 v[8:9], v[114:115], v[122:123], v[8:9]
	v_cvt_f32_i32_e32 v114, v113
	v_cvt_f32_i32_e32 v115, v109
	v_mov_b32_e32 v109, 0
	v_dot4c_i32_i8_e32 v109, v120, v152
	v_dot4c_i32_i8_e32 v109, v121, v153
	;; [unrolled: 1-line block ×8, first 2 shown]
	v_pk_fma_f32 v[6:7], v[110:111], v[114:115], v[6:7]
	v_pk_mul_f32 v[110:111], v[112:113], v[150:151] op_sel_hi:[0,1]
	v_cvt_f32_i32_e32 v112, v119
	v_cvt_f32_i32_e32 v113, v109
	v_mov_b32_e32 v109, 0
	v_dot4c_i32_i8_e32 v109, v126, v152
	v_dot4c_i32_i8_e32 v109, v127, v153
	;; [unrolled: 1-line block ×8, first 2 shown]
	v_pk_fma_f32 v[4:5], v[110:111], v[112:113], v[4:5]
	v_cvt_f32_i32_e32 v112, v160
	v_pk_mul_f32 v[110:111], v[118:119], v[150:151] op_sel_hi:[0,1]
	v_cvt_f32_i32_e32 v113, v109
	v_add_u32_e32 v93, 4, v93
	s_cmp_lt_u32 s1, 24
	v_pk_fma_f32 v[2:3], v[110:111], v[112:113], v[2:3]
	s_cbranch_scc1 .LBB166_6
; %bb.7:                                ;   in Loop: Header=BB166_5 Depth=1
	s_add_i32 s0, s0, 4
	s_cmp_ge_i32 s0, s4
	s_barrier
	s_cbranch_scc0 .LBB166_5
; %bb.8:
	v_mov_b32_e32 v34, v37
.LBB166_9:
	v_cmp_gt_u32_e32 vcc, s10, v39
	s_and_saveexec_b64 s[0:1], vcc
	s_cbranch_execz .LBB166_60
; %bb.10:
	v_add_u32_e32 v0, s6, v1
	v_mul_lo_u32 v35, v39, s14
	v_cmp_gt_u32_e32 vcc, s14, v0
	s_and_saveexec_b64 s[2:3], vcc
	s_cbranch_execz .LBB166_12
; %bb.11:
	v_bfe_u32 v1, v32, 16, 1
	s_movk_i32 s0, 0x7fff
	v_add3_u32 v1, v32, v1, s0
	v_lshrrev_b32_e32 v1, 16, v1
	v_mov_b32_e32 v36, 0x7fc0
	v_cmp_o_f32_e64 s[0:1], v32, v32
	v_mov_b32_e32 v37, 0
	s_nop 0
	v_cndmask_b32_e64 v1, v36, v1, s[0:1]
	v_add_u32_e32 v36, v0, v35
	s_waitcnt lgkmcnt(0)
	v_lshl_add_u64 v[36:37], v[36:37], 1, s[12:13]
	global_store_short v[36:37], v1, off
.LBB166_12:
	s_or_b64 exec, exec, s[2:3]
	v_add_u32_e32 v1, 32, v0
	v_cmp_gt_u32_e64 s[0:1], s14, v1
	s_and_saveexec_b64 s[4:5], s[0:1]
	s_cbranch_execz .LBB166_14
; %bb.13:
	v_bfe_u32 v32, v30, 16, 1
	s_movk_i32 s2, 0x7fff
	v_add3_u32 v32, v30, v32, s2
	v_lshrrev_b32_e32 v32, 16, v32
	v_mov_b32_e32 v36, 0x7fc0
	v_cmp_o_f32_e64 s[2:3], v30, v30
	v_mov_b32_e32 v37, 0
	s_nop 0
	v_cndmask_b32_e64 v30, v36, v32, s[2:3]
	v_add_u32_e32 v36, v1, v35
	s_waitcnt lgkmcnt(0)
	v_lshl_add_u64 v[36:37], v[36:37], 1, s[12:13]
	global_store_short v[36:37], v30, off
.LBB166_14:
	s_or_b64 exec, exec, s[4:5]
	v_add_u32_e32 v30, 64, v0
	v_cmp_gt_u32_e64 s[2:3], s14, v30
	s_and_saveexec_b64 s[6:7], s[2:3]
	s_cbranch_execz .LBB166_16
; %bb.15:
	v_bfe_u32 v32, v28, 16, 1
	s_movk_i32 s4, 0x7fff
	v_add3_u32 v32, v28, v32, s4
	v_lshrrev_b32_e32 v32, 16, v32
	v_mov_b32_e32 v36, 0x7fc0
	v_cmp_o_f32_e64 s[4:5], v28, v28
	v_mov_b32_e32 v37, 0
	s_nop 0
	v_cndmask_b32_e64 v28, v36, v32, s[4:5]
	v_add_u32_e32 v36, v30, v35
	s_waitcnt lgkmcnt(0)
	v_lshl_add_u64 v[36:37], v[36:37], 1, s[12:13]
	global_store_short v[36:37], v28, off
.LBB166_16:
	s_or_b64 exec, exec, s[6:7]
	v_add_u32_e32 v28, 0x60, v0
	v_cmp_gt_u32_e64 s[4:5], s14, v28
	s_and_saveexec_b64 s[8:9], s[4:5]
	s_cbranch_execz .LBB166_18
; %bb.17:
	v_bfe_u32 v32, v26, 16, 1
	s_movk_i32 s6, 0x7fff
	v_add3_u32 v32, v26, v32, s6
	v_lshrrev_b32_e32 v32, 16, v32
	v_mov_b32_e32 v36, 0x7fc0
	v_cmp_o_f32_e64 s[6:7], v26, v26
	v_mov_b32_e32 v37, 0
	s_nop 0
	v_cndmask_b32_e64 v26, v36, v32, s[6:7]
	v_add_u32_e32 v36, v28, v35
	s_waitcnt lgkmcnt(0)
	v_lshl_add_u64 v[36:37], v[36:37], 1, s[12:13]
	global_store_short v[36:37], v26, off
.LBB166_18:
	s_or_b64 exec, exec, s[8:9]
	v_add3_u32 v26, v34, s15, 8
	v_cmp_gt_u32_e64 s[6:7], s10, v26
	s_and_b64 exec, exec, s[6:7]
	s_cbranch_execz .LBB166_60
; %bb.19:
	v_mul_lo_u32 v26, v26, s14
	s_and_saveexec_b64 s[8:9], vcc
	s_cbranch_execnz .LBB166_61
; %bb.20:
	s_or_b64 exec, exec, s[8:9]
	s_and_saveexec_b64 s[8:9], s[0:1]
	s_cbranch_execnz .LBB166_62
.LBB166_21:
	s_or_b64 exec, exec, s[8:9]
	s_and_saveexec_b64 s[8:9], s[2:3]
	s_cbranch_execnz .LBB166_63
.LBB166_22:
	s_or_b64 exec, exec, s[8:9]
	s_and_saveexec_b64 s[8:9], s[4:5]
	s_cbranch_execz .LBB166_24
.LBB166_23:
	v_bfe_u32 v29, v27, 16, 1
	s_movk_i32 s6, 0x7fff
	v_add3_u32 v29, v27, v29, s6
	v_lshrrev_b32_e32 v29, 16, v29
	v_mov_b32_e32 v31, 0x7fc0
	v_cmp_o_f32_e64 s[6:7], v27, v27
	v_add_u32_e32 v26, v26, v28
	v_mov_b32_e32 v27, 0
	v_cndmask_b32_e64 v29, v31, v29, s[6:7]
	s_waitcnt lgkmcnt(0)
	v_lshl_add_u64 v[26:27], v[26:27], 1, s[12:13]
	global_store_short v[26:27], v29, off
.LBB166_24:
	s_or_b64 exec, exec, s[8:9]
	v_add3_u32 v26, v34, s15, 16
	v_cmp_gt_u32_e64 s[6:7], s10, v26
	s_and_b64 exec, exec, s[6:7]
	s_cbranch_execz .LBB166_60
; %bb.25:
	v_mul_lo_u32 v26, v26, s14
	s_and_saveexec_b64 s[8:9], vcc
	s_cbranch_execnz .LBB166_64
; %bb.26:
	s_or_b64 exec, exec, s[8:9]
	s_and_saveexec_b64 s[8:9], s[0:1]
	s_cbranch_execnz .LBB166_65
.LBB166_27:
	s_or_b64 exec, exec, s[8:9]
	s_and_saveexec_b64 s[8:9], s[2:3]
	s_cbranch_execnz .LBB166_66
.LBB166_28:
	s_or_b64 exec, exec, s[8:9]
	s_and_saveexec_b64 s[8:9], s[4:5]
	s_cbranch_execz .LBB166_30
.LBB166_29:
	v_bfe_u32 v20, v18, 16, 1
	s_movk_i32 s6, 0x7fff
	v_add3_u32 v20, v18, v20, s6
	v_lshrrev_b32_e32 v20, 16, v20
	v_mov_b32_e32 v22, 0x7fc0
	v_cmp_o_f32_e64 s[6:7], v18, v18
	v_add_u32_e32 v26, v26, v28
	v_mov_b32_e32 v27, 0
	v_cndmask_b32_e64 v18, v22, v20, s[6:7]
	s_waitcnt lgkmcnt(0)
	v_lshl_add_u64 v[26:27], v[26:27], 1, s[12:13]
	global_store_short v[26:27], v18, off
.LBB166_30:
	s_or_b64 exec, exec, s[8:9]
	v_add3_u32 v18, v34, s15, 24
	v_cmp_gt_u32_e64 s[6:7], s10, v18
	s_and_b64 exec, exec, s[6:7]
	s_cbranch_execz .LBB166_60
; %bb.31:
	v_mul_lo_u32 v18, v18, s14
	s_and_saveexec_b64 s[8:9], vcc
	s_cbranch_execnz .LBB166_67
; %bb.32:
	s_or_b64 exec, exec, s[8:9]
	s_and_saveexec_b64 s[8:9], s[0:1]
	s_cbranch_execnz .LBB166_68
.LBB166_33:
	s_or_b64 exec, exec, s[8:9]
	s_and_saveexec_b64 s[8:9], s[2:3]
	s_cbranch_execnz .LBB166_69
.LBB166_34:
	s_or_b64 exec, exec, s[8:9]
	s_and_saveexec_b64 s[8:9], s[4:5]
	s_cbranch_execz .LBB166_36
.LBB166_35:
	v_bfe_u32 v20, v19, 16, 1
	s_movk_i32 s6, 0x7fff
	v_add3_u32 v20, v19, v20, s6
	v_lshrrev_b32_e32 v20, 16, v20
	v_mov_b32_e32 v21, 0x7fc0
	v_cmp_o_f32_e64 s[6:7], v19, v19
	v_add_u32_e32 v18, v18, v28
	v_mov_b32_e32 v19, 0
	v_cndmask_b32_e64 v20, v21, v20, s[6:7]
	s_waitcnt lgkmcnt(0)
	v_lshl_add_u64 v[18:19], v[18:19], 1, s[12:13]
	global_store_short v[18:19], v20, off
.LBB166_36:
	s_or_b64 exec, exec, s[8:9]
	v_add3_u32 v18, v34, s15, 32
	v_cmp_gt_u32_e64 s[6:7], s10, v18
	s_and_b64 exec, exec, s[6:7]
	s_cbranch_execz .LBB166_60
; %bb.37:
	v_mul_lo_u32 v18, v18, s14
	s_and_saveexec_b64 s[8:9], vcc
	s_cbranch_execnz .LBB166_70
; %bb.38:
	s_or_b64 exec, exec, s[8:9]
	s_and_saveexec_b64 s[8:9], s[0:1]
	s_cbranch_execnz .LBB166_71
.LBB166_39:
	s_or_b64 exec, exec, s[8:9]
	s_and_saveexec_b64 s[8:9], s[2:3]
	s_cbranch_execnz .LBB166_72
.LBB166_40:
	s_or_b64 exec, exec, s[8:9]
	s_and_saveexec_b64 s[8:9], s[4:5]
	s_cbranch_execz .LBB166_42
.LBB166_41:
	v_bfe_u32 v12, v10, 16, 1
	s_movk_i32 s6, 0x7fff
	v_add3_u32 v12, v10, v12, s6
	v_lshrrev_b32_e32 v12, 16, v12
	v_mov_b32_e32 v14, 0x7fc0
	v_cmp_o_f32_e64 s[6:7], v10, v10
	v_add_u32_e32 v18, v18, v28
	v_mov_b32_e32 v19, 0
	v_cndmask_b32_e64 v10, v14, v12, s[6:7]
	s_waitcnt lgkmcnt(0)
	v_lshl_add_u64 v[18:19], v[18:19], 1, s[12:13]
	global_store_short v[18:19], v10, off
.LBB166_42:
	s_or_b64 exec, exec, s[8:9]
	v_add3_u32 v10, v34, s15, 40
	v_cmp_gt_u32_e64 s[6:7], s10, v10
	s_and_b64 exec, exec, s[6:7]
	s_cbranch_execz .LBB166_60
; %bb.43:
	v_mul_lo_u32 v10, v10, s14
	s_and_saveexec_b64 s[8:9], vcc
	s_cbranch_execnz .LBB166_73
; %bb.44:
	s_or_b64 exec, exec, s[8:9]
	s_and_saveexec_b64 s[8:9], s[0:1]
	s_cbranch_execnz .LBB166_74
.LBB166_45:
	s_or_b64 exec, exec, s[8:9]
	s_and_saveexec_b64 s[8:9], s[2:3]
	s_cbranch_execnz .LBB166_75
.LBB166_46:
	s_or_b64 exec, exec, s[8:9]
	s_and_saveexec_b64 s[8:9], s[4:5]
	s_cbranch_execz .LBB166_48
.LBB166_47:
	v_bfe_u32 v12, v11, 16, 1
	s_movk_i32 s6, 0x7fff
	v_add3_u32 v12, v11, v12, s6
	v_lshrrev_b32_e32 v12, 16, v12
	v_mov_b32_e32 v13, 0x7fc0
	v_cmp_o_f32_e64 s[6:7], v11, v11
	v_add_u32_e32 v10, v10, v28
	v_mov_b32_e32 v11, 0
	v_cndmask_b32_e64 v12, v13, v12, s[6:7]
	s_waitcnt lgkmcnt(0)
	v_lshl_add_u64 v[10:11], v[10:11], 1, s[12:13]
	global_store_short v[10:11], v12, off
.LBB166_48:
	s_or_b64 exec, exec, s[8:9]
	v_add3_u32 v10, v34, s15, 48
	v_cmp_gt_u32_e64 s[6:7], s10, v10
	s_and_b64 exec, exec, s[6:7]
	s_cbranch_execz .LBB166_60
; %bb.49:
	v_mul_lo_u32 v10, v10, s14
	s_and_saveexec_b64 s[8:9], vcc
	s_cbranch_execnz .LBB166_76
; %bb.50:
	s_or_b64 exec, exec, s[8:9]
	s_and_saveexec_b64 s[8:9], s[0:1]
	s_cbranch_execnz .LBB166_77
.LBB166_51:
	s_or_b64 exec, exec, s[8:9]
	s_and_saveexec_b64 s[8:9], s[2:3]
	s_cbranch_execnz .LBB166_78
.LBB166_52:
	s_or_b64 exec, exec, s[8:9]
	s_and_saveexec_b64 s[8:9], s[4:5]
	s_cbranch_execz .LBB166_54
.LBB166_53:
	v_bfe_u32 v4, v2, 16, 1
	s_movk_i32 s6, 0x7fff
	v_add3_u32 v4, v2, v4, s6
	v_lshrrev_b32_e32 v4, 16, v4
	v_mov_b32_e32 v6, 0x7fc0
	v_cmp_o_f32_e64 s[6:7], v2, v2
	v_add_u32_e32 v10, v10, v28
	v_mov_b32_e32 v11, 0
	v_cndmask_b32_e64 v2, v6, v4, s[6:7]
	s_waitcnt lgkmcnt(0)
	v_lshl_add_u64 v[10:11], v[10:11], 1, s[12:13]
	global_store_short v[10:11], v2, off
.LBB166_54:
	s_or_b64 exec, exec, s[8:9]
	v_add3_u32 v2, v34, s15, 56
	v_cmp_gt_u32_e64 s[6:7], s10, v2
	s_and_b64 exec, exec, s[6:7]
	s_cbranch_execz .LBB166_60
; %bb.55:
	v_mul_lo_u32 v2, v2, s14
	s_and_saveexec_b64 s[6:7], vcc
	s_cbranch_execnz .LBB166_79
; %bb.56:
	s_or_b64 exec, exec, s[6:7]
	s_and_saveexec_b64 s[6:7], s[0:1]
	s_cbranch_execnz .LBB166_80
.LBB166_57:
	s_or_b64 exec, exec, s[6:7]
	s_and_saveexec_b64 s[0:1], s[2:3]
	s_cbranch_execnz .LBB166_81
.LBB166_58:
	s_or_b64 exec, exec, s[0:1]
	s_and_b64 exec, exec, s[4:5]
	s_cbranch_execz .LBB166_60
.LBB166_59:
	v_bfe_u32 v0, v3, 16, 1
	s_movk_i32 s0, 0x7fff
	v_add3_u32 v0, v3, v0, s0
	v_lshrrev_b32_e32 v0, 16, v0
	v_mov_b32_e32 v1, 0x7fc0
	v_cmp_o_f32_e32 vcc, v3, v3
	s_nop 1
	v_cndmask_b32_e32 v3, v1, v0, vcc
	v_add_u32_e32 v0, v2, v28
	v_mov_b32_e32 v1, 0
	s_waitcnt lgkmcnt(0)
	v_lshl_add_u64 v[0:1], v[0:1], 1, s[12:13]
	global_store_short v[0:1], v3, off
.LBB166_60:
	s_endpgm
.LBB166_61:
	v_bfe_u32 v32, v33, 16, 1
	s_movk_i32 s6, 0x7fff
	v_add3_u32 v32, v33, v32, s6
	v_lshrrev_b32_e32 v32, 16, v32
	v_mov_b32_e32 v35, 0x7fc0
	v_cmp_o_f32_e64 s[6:7], v33, v33
	v_mov_b32_e32 v33, 0
	s_nop 0
	v_cndmask_b32_e64 v35, v35, v32, s[6:7]
	v_add_u32_e32 v32, v26, v0
	s_waitcnt lgkmcnt(0)
	v_lshl_add_u64 v[32:33], v[32:33], 1, s[12:13]
	global_store_short v[32:33], v35, off
	s_or_b64 exec, exec, s[8:9]
	s_and_saveexec_b64 s[8:9], s[0:1]
	s_cbranch_execz .LBB166_21
.LBB166_62:
	v_bfe_u32 v32, v31, 16, 1
	s_movk_i32 s6, 0x7fff
	v_add3_u32 v32, v31, v32, s6
	v_lshrrev_b32_e32 v32, 16, v32
	v_mov_b32_e32 v33, 0x7fc0
	v_cmp_o_f32_e64 s[6:7], v31, v31
	s_nop 1
	v_cndmask_b32_e64 v31, v33, v32, s[6:7]
	v_add_u32_e32 v32, v26, v1
	v_mov_b32_e32 v33, 0
	s_waitcnt lgkmcnt(0)
	v_lshl_add_u64 v[32:33], v[32:33], 1, s[12:13]
	global_store_short v[32:33], v31, off
	s_or_b64 exec, exec, s[8:9]
	s_and_saveexec_b64 s[8:9], s[2:3]
	s_cbranch_execz .LBB166_22
.LBB166_63:
	v_bfe_u32 v31, v29, 16, 1
	s_movk_i32 s6, 0x7fff
	v_add3_u32 v31, v29, v31, s6
	v_lshrrev_b32_e32 v31, 16, v31
	v_mov_b32_e32 v32, 0x7fc0
	v_cmp_o_f32_e64 s[6:7], v29, v29
	v_mov_b32_e32 v33, 0
	s_nop 0
	v_cndmask_b32_e64 v29, v32, v31, s[6:7]
	v_add_u32_e32 v32, v26, v30
	s_waitcnt lgkmcnt(0)
	v_lshl_add_u64 v[32:33], v[32:33], 1, s[12:13]
	global_store_short v[32:33], v29, off
	s_or_b64 exec, exec, s[8:9]
	s_and_saveexec_b64 s[8:9], s[4:5]
	s_cbranch_execnz .LBB166_23
	s_branch .LBB166_24
.LBB166_64:
	v_bfe_u32 v27, v24, 16, 1
	s_movk_i32 s6, 0x7fff
	v_add3_u32 v27, v24, v27, s6
	v_lshrrev_b32_e32 v27, 16, v27
	v_mov_b32_e32 v29, 0x7fc0
	v_cmp_o_f32_e64 s[6:7], v24, v24
	v_add_u32_e32 v32, v26, v0
	v_mov_b32_e32 v33, 0
	v_cndmask_b32_e64 v24, v29, v27, s[6:7]
	s_waitcnt lgkmcnt(0)
	v_lshl_add_u64 v[32:33], v[32:33], 1, s[12:13]
	global_store_short v[32:33], v24, off
	s_or_b64 exec, exec, s[8:9]
	s_and_saveexec_b64 s[8:9], s[0:1]
	s_cbranch_execz .LBB166_27
.LBB166_65:
	v_bfe_u32 v24, v22, 16, 1
	s_movk_i32 s6, 0x7fff
	v_add3_u32 v24, v22, v24, s6
	v_lshrrev_b32_e32 v24, 16, v24
	v_mov_b32_e32 v27, 0x7fc0
	v_cmp_o_f32_e64 s[6:7], v22, v22
	v_add_u32_e32 v32, v26, v1
	v_mov_b32_e32 v33, 0
	v_cndmask_b32_e64 v22, v27, v24, s[6:7]
	s_waitcnt lgkmcnt(0)
	v_lshl_add_u64 v[32:33], v[32:33], 1, s[12:13]
	global_store_short v[32:33], v22, off
	s_or_b64 exec, exec, s[8:9]
	s_and_saveexec_b64 s[8:9], s[2:3]
	s_cbranch_execz .LBB166_28
.LBB166_66:
	v_bfe_u32 v22, v20, 16, 1
	s_movk_i32 s6, 0x7fff
	v_add3_u32 v22, v20, v22, s6
	v_lshrrev_b32_e32 v22, 16, v22
	v_mov_b32_e32 v24, 0x7fc0
	v_cmp_o_f32_e64 s[6:7], v20, v20
	v_add_u32_e32 v32, v26, v30
	v_mov_b32_e32 v33, 0
	v_cndmask_b32_e64 v20, v24, v22, s[6:7]
	s_waitcnt lgkmcnt(0)
	v_lshl_add_u64 v[32:33], v[32:33], 1, s[12:13]
	global_store_short v[32:33], v20, off
	s_or_b64 exec, exec, s[8:9]
	s_and_saveexec_b64 s[8:9], s[4:5]
	s_cbranch_execnz .LBB166_29
	s_branch .LBB166_30
.LBB166_67:
	v_bfe_u32 v20, v25, 16, 1
	s_movk_i32 s6, 0x7fff
	v_add3_u32 v20, v25, v20, s6
	v_lshrrev_b32_e32 v20, 16, v20
	v_mov_b32_e32 v22, 0x7fc0
	v_cmp_o_f32_e64 s[6:7], v25, v25
	v_add_u32_e32 v24, v18, v0
	v_mov_b32_e32 v25, 0
	v_cndmask_b32_e64 v20, v22, v20, s[6:7]
	s_waitcnt lgkmcnt(0)
	v_lshl_add_u64 v[24:25], v[24:25], 1, s[12:13]
	global_store_short v[24:25], v20, off
	s_or_b64 exec, exec, s[8:9]
	s_and_saveexec_b64 s[8:9], s[0:1]
	s_cbranch_execz .LBB166_33
.LBB166_68:
	v_bfe_u32 v20, v23, 16, 1
	s_movk_i32 s6, 0x7fff
	v_add3_u32 v20, v23, v20, s6
	v_lshrrev_b32_e32 v20, 16, v20
	v_mov_b32_e32 v22, 0x7fc0
	v_cmp_o_f32_e64 s[6:7], v23, v23
	v_mov_b32_e32 v23, 0
	s_nop 0
	v_cndmask_b32_e64 v20, v22, v20, s[6:7]
	v_add_u32_e32 v22, v18, v1
	s_waitcnt lgkmcnt(0)
	v_lshl_add_u64 v[22:23], v[22:23], 1, s[12:13]
	global_store_short v[22:23], v20, off
	s_or_b64 exec, exec, s[8:9]
	s_and_saveexec_b64 s[8:9], s[2:3]
	s_cbranch_execz .LBB166_34
.LBB166_69:
	v_bfe_u32 v20, v21, 16, 1
	s_movk_i32 s6, 0x7fff
	v_add3_u32 v20, v21, v20, s6
	v_lshrrev_b32_e32 v20, 16, v20
	v_mov_b32_e32 v22, 0x7fc0
	v_cmp_o_f32_e64 s[6:7], v21, v21
	v_mov_b32_e32 v21, 0
	s_nop 0
	v_cndmask_b32_e64 v22, v22, v20, s[6:7]
	v_add_u32_e32 v20, v18, v30
	s_waitcnt lgkmcnt(0)
	v_lshl_add_u64 v[20:21], v[20:21], 1, s[12:13]
	global_store_short v[20:21], v22, off
	s_or_b64 exec, exec, s[8:9]
	s_and_saveexec_b64 s[8:9], s[4:5]
	s_cbranch_execnz .LBB166_35
	s_branch .LBB166_36
.LBB166_70:
	v_bfe_u32 v19, v16, 16, 1
	s_movk_i32 s6, 0x7fff
	v_add3_u32 v19, v16, v19, s6
	v_lshrrev_b32_e32 v19, 16, v19
	v_mov_b32_e32 v20, 0x7fc0
	v_cmp_o_f32_e64 s[6:7], v16, v16
	v_mov_b32_e32 v21, 0
	s_nop 0
	v_cndmask_b32_e64 v16, v20, v19, s[6:7]
	v_add_u32_e32 v20, v18, v0
	s_waitcnt lgkmcnt(0)
	v_lshl_add_u64 v[20:21], v[20:21], 1, s[12:13]
	global_store_short v[20:21], v16, off
	s_or_b64 exec, exec, s[8:9]
	s_and_saveexec_b64 s[8:9], s[0:1]
	s_cbranch_execz .LBB166_39
.LBB166_71:
	v_bfe_u32 v16, v14, 16, 1
	s_movk_i32 s6, 0x7fff
	v_add3_u32 v16, v14, v16, s6
	v_lshrrev_b32_e32 v16, 16, v16
	v_mov_b32_e32 v19, 0x7fc0
	v_cmp_o_f32_e64 s[6:7], v14, v14
	v_add_u32_e32 v20, v18, v1
	v_mov_b32_e32 v21, 0
	v_cndmask_b32_e64 v14, v19, v16, s[6:7]
	s_waitcnt lgkmcnt(0)
	v_lshl_add_u64 v[20:21], v[20:21], 1, s[12:13]
	global_store_short v[20:21], v14, off
	s_or_b64 exec, exec, s[8:9]
	s_and_saveexec_b64 s[8:9], s[2:3]
	s_cbranch_execz .LBB166_40
.LBB166_72:
	v_bfe_u32 v14, v12, 16, 1
	s_movk_i32 s6, 0x7fff
	v_add3_u32 v14, v12, v14, s6
	v_lshrrev_b32_e32 v14, 16, v14
	v_mov_b32_e32 v16, 0x7fc0
	v_cmp_o_f32_e64 s[6:7], v12, v12
	v_add_u32_e32 v20, v18, v30
	v_mov_b32_e32 v21, 0
	v_cndmask_b32_e64 v12, v16, v14, s[6:7]
	s_waitcnt lgkmcnt(0)
	v_lshl_add_u64 v[20:21], v[20:21], 1, s[12:13]
	global_store_short v[20:21], v12, off
	s_or_b64 exec, exec, s[8:9]
	s_and_saveexec_b64 s[8:9], s[4:5]
	s_cbranch_execnz .LBB166_41
	s_branch .LBB166_42
.LBB166_73:
	v_bfe_u32 v12, v17, 16, 1
	s_movk_i32 s6, 0x7fff
	v_add3_u32 v12, v17, v12, s6
	v_lshrrev_b32_e32 v12, 16, v12
	v_mov_b32_e32 v14, 0x7fc0
	v_cmp_o_f32_e64 s[6:7], v17, v17
	v_add_u32_e32 v16, v10, v0
	v_mov_b32_e32 v17, 0
	v_cndmask_b32_e64 v12, v14, v12, s[6:7]
	s_waitcnt lgkmcnt(0)
	v_lshl_add_u64 v[16:17], v[16:17], 1, s[12:13]
	global_store_short v[16:17], v12, off
	s_or_b64 exec, exec, s[8:9]
	s_and_saveexec_b64 s[8:9], s[0:1]
	s_cbranch_execz .LBB166_45
.LBB166_74:
	v_bfe_u32 v12, v15, 16, 1
	s_movk_i32 s6, 0x7fff
	v_add3_u32 v12, v15, v12, s6
	v_lshrrev_b32_e32 v12, 16, v12
	v_mov_b32_e32 v14, 0x7fc0
	v_cmp_o_f32_e64 s[6:7], v15, v15
	v_mov_b32_e32 v15, 0
	s_nop 0
	v_cndmask_b32_e64 v12, v14, v12, s[6:7]
	v_add_u32_e32 v14, v10, v1
	s_waitcnt lgkmcnt(0)
	v_lshl_add_u64 v[14:15], v[14:15], 1, s[12:13]
	global_store_short v[14:15], v12, off
	s_or_b64 exec, exec, s[8:9]
	s_and_saveexec_b64 s[8:9], s[2:3]
	s_cbranch_execz .LBB166_46
.LBB166_75:
	v_bfe_u32 v12, v13, 16, 1
	s_movk_i32 s6, 0x7fff
	v_add3_u32 v12, v13, v12, s6
	v_lshrrev_b32_e32 v12, 16, v12
	v_mov_b32_e32 v14, 0x7fc0
	v_cmp_o_f32_e64 s[6:7], v13, v13
	v_mov_b32_e32 v13, 0
	s_nop 0
	v_cndmask_b32_e64 v14, v14, v12, s[6:7]
	v_add_u32_e32 v12, v10, v30
	s_waitcnt lgkmcnt(0)
	v_lshl_add_u64 v[12:13], v[12:13], 1, s[12:13]
	global_store_short v[12:13], v14, off
	s_or_b64 exec, exec, s[8:9]
	s_and_saveexec_b64 s[8:9], s[4:5]
	s_cbranch_execnz .LBB166_47
	s_branch .LBB166_48
.LBB166_76:
	v_bfe_u32 v11, v8, 16, 1
	s_movk_i32 s6, 0x7fff
	v_add3_u32 v11, v8, v11, s6
	v_lshrrev_b32_e32 v11, 16, v11
	v_mov_b32_e32 v12, 0x7fc0
	v_cmp_o_f32_e64 s[6:7], v8, v8
	v_mov_b32_e32 v13, 0
	s_nop 0
	v_cndmask_b32_e64 v8, v12, v11, s[6:7]
	v_add_u32_e32 v12, v10, v0
	s_waitcnt lgkmcnt(0)
	v_lshl_add_u64 v[12:13], v[12:13], 1, s[12:13]
	global_store_short v[12:13], v8, off
	s_or_b64 exec, exec, s[8:9]
	s_and_saveexec_b64 s[8:9], s[0:1]
	s_cbranch_execz .LBB166_51
.LBB166_77:
	v_bfe_u32 v8, v6, 16, 1
	s_movk_i32 s6, 0x7fff
	v_add3_u32 v8, v6, v8, s6
	v_lshrrev_b32_e32 v8, 16, v8
	v_mov_b32_e32 v11, 0x7fc0
	v_cmp_o_f32_e64 s[6:7], v6, v6
	v_add_u32_e32 v12, v10, v1
	v_mov_b32_e32 v13, 0
	v_cndmask_b32_e64 v6, v11, v8, s[6:7]
	s_waitcnt lgkmcnt(0)
	v_lshl_add_u64 v[12:13], v[12:13], 1, s[12:13]
	global_store_short v[12:13], v6, off
	s_or_b64 exec, exec, s[8:9]
	s_and_saveexec_b64 s[8:9], s[2:3]
	s_cbranch_execz .LBB166_52
.LBB166_78:
	v_bfe_u32 v6, v4, 16, 1
	s_movk_i32 s6, 0x7fff
	v_add3_u32 v6, v4, v6, s6
	v_lshrrev_b32_e32 v6, 16, v6
	v_mov_b32_e32 v8, 0x7fc0
	v_cmp_o_f32_e64 s[6:7], v4, v4
	v_add_u32_e32 v12, v10, v30
	v_mov_b32_e32 v13, 0
	v_cndmask_b32_e64 v4, v8, v6, s[6:7]
	s_waitcnt lgkmcnt(0)
	v_lshl_add_u64 v[12:13], v[12:13], 1, s[12:13]
	global_store_short v[12:13], v4, off
	s_or_b64 exec, exec, s[8:9]
	s_and_saveexec_b64 s[8:9], s[4:5]
	s_cbranch_execnz .LBB166_53
	s_branch .LBB166_54
.LBB166_79:
	v_bfe_u32 v4, v9, 16, 1
	s_movk_i32 s8, 0x7fff
	v_add3_u32 v4, v9, v4, s8
	v_lshrrev_b32_e32 v4, 16, v4
	v_mov_b32_e32 v6, 0x7fc0
	v_cmp_o_f32_e32 vcc, v9, v9
	v_add_u32_e32 v8, v2, v0
	v_mov_b32_e32 v9, 0
	v_cndmask_b32_e32 v4, v6, v4, vcc
	s_waitcnt lgkmcnt(0)
	v_lshl_add_u64 v[8:9], v[8:9], 1, s[12:13]
	global_store_short v[8:9], v4, off
	s_or_b64 exec, exec, s[6:7]
	s_and_saveexec_b64 s[6:7], s[0:1]
	s_cbranch_execz .LBB166_57
.LBB166_80:
	v_bfe_u32 v0, v7, 16, 1
	s_movk_i32 s0, 0x7fff
	v_add3_u32 v0, v7, v0, s0
	v_lshrrev_b32_e32 v0, 16, v0
	v_mov_b32_e32 v4, 0x7fc0
	v_cmp_o_f32_e32 vcc, v7, v7
	s_nop 1
	v_cndmask_b32_e32 v4, v4, v0, vcc
	v_add_u32_e32 v0, v2, v1
	v_mov_b32_e32 v1, 0
	s_waitcnt lgkmcnt(0)
	v_lshl_add_u64 v[0:1], v[0:1], 1, s[12:13]
	global_store_short v[0:1], v4, off
	s_or_b64 exec, exec, s[6:7]
	s_and_saveexec_b64 s[0:1], s[2:3]
	s_cbranch_execz .LBB166_58
.LBB166_81:
	v_bfe_u32 v0, v5, 16, 1
	s_movk_i32 s2, 0x7fff
	v_add3_u32 v0, v5, v0, s2
	v_lshrrev_b32_e32 v0, 16, v0
	v_mov_b32_e32 v1, 0x7fc0
	v_cmp_o_f32_e32 vcc, v5, v5
	s_nop 1
	v_cndmask_b32_e32 v4, v1, v0, vcc
	v_add_u32_e32 v0, v2, v30
	v_mov_b32_e32 v1, 0
	s_waitcnt lgkmcnt(0)
	v_lshl_add_u64 v[0:1], v[0:1], 1, s[12:13]
	global_store_short v[0:1], v4, off
	s_or_b64 exec, exec, s[0:1]
	s_and_b64 exec, exec, s[4:5]
	s_cbranch_execnz .LBB166_59
	s_branch .LBB166_60
	.section	.rodata,"a",@progbits
	.p2align	6, 0x0
	.amdhsa_kernel _ZL12mul_mat_q8_0IN3c108BFloat16ELb1EEvPKvS3_PT_iiiii
		.amdhsa_group_segment_fixed_size 28224
		.amdhsa_private_segment_fixed_size 0
		.amdhsa_kernarg_size 44
		.amdhsa_user_sgpr_count 2
		.amdhsa_user_sgpr_dispatch_ptr 0
		.amdhsa_user_sgpr_queue_ptr 0
		.amdhsa_user_sgpr_kernarg_segment_ptr 1
		.amdhsa_user_sgpr_dispatch_id 0
		.amdhsa_user_sgpr_kernarg_preload_length 0
		.amdhsa_user_sgpr_kernarg_preload_offset 0
		.amdhsa_user_sgpr_private_segment_size 0
		.amdhsa_uses_dynamic_stack 0
		.amdhsa_enable_private_segment 0
		.amdhsa_system_sgpr_workgroup_id_x 1
		.amdhsa_system_sgpr_workgroup_id_y 1
		.amdhsa_system_sgpr_workgroup_id_z 0
		.amdhsa_system_sgpr_workgroup_info 0
		.amdhsa_system_vgpr_workitem_id 1
		.amdhsa_next_free_vgpr 164
		.amdhsa_next_free_sgpr 18
		.amdhsa_accum_offset 164
		.amdhsa_reserve_vcc 1
		.amdhsa_float_round_mode_32 0
		.amdhsa_float_round_mode_16_64 0
		.amdhsa_float_denorm_mode_32 3
		.amdhsa_float_denorm_mode_16_64 3
		.amdhsa_dx10_clamp 1
		.amdhsa_ieee_mode 1
		.amdhsa_fp16_overflow 0
		.amdhsa_tg_split 0
		.amdhsa_exception_fp_ieee_invalid_op 0
		.amdhsa_exception_fp_denorm_src 0
		.amdhsa_exception_fp_ieee_div_zero 0
		.amdhsa_exception_fp_ieee_overflow 0
		.amdhsa_exception_fp_ieee_underflow 0
		.amdhsa_exception_fp_ieee_inexact 0
		.amdhsa_exception_int_div_zero 0
	.end_amdhsa_kernel
	.section	.text._ZL12mul_mat_q8_0IN3c108BFloat16ELb1EEvPKvS3_PT_iiiii,"axG",@progbits,_ZL12mul_mat_q8_0IN3c108BFloat16ELb1EEvPKvS3_PT_iiiii,comdat
.Lfunc_end166:
	.size	_ZL12mul_mat_q8_0IN3c108BFloat16ELb1EEvPKvS3_PT_iiiii, .Lfunc_end166-_ZL12mul_mat_q8_0IN3c108BFloat16ELb1EEvPKvS3_PT_iiiii
                                        ; -- End function
	.section	.AMDGPU.csdata,"",@progbits
; Kernel info:
; codeLenInByte = 7900
; NumSgprs: 24
; NumVgprs: 164
; NumAgprs: 0
; TotalNumVgprs: 164
; ScratchSize: 0
; MemoryBound: 0
; FloatMode: 240
; IeeeMode: 1
; LDSByteSize: 28224 bytes/workgroup (compile time only)
; SGPRBlocks: 2
; VGPRBlocks: 20
; NumSGPRsForWavesPerEU: 24
; NumVGPRsForWavesPerEU: 164
; AccumOffset: 164
; Occupancy: 2
; WaveLimiterHint : 0
; COMPUTE_PGM_RSRC2:SCRATCH_EN: 0
; COMPUTE_PGM_RSRC2:USER_SGPR: 2
; COMPUTE_PGM_RSRC2:TRAP_HANDLER: 0
; COMPUTE_PGM_RSRC2:TGID_X_EN: 1
; COMPUTE_PGM_RSRC2:TGID_Y_EN: 1
; COMPUTE_PGM_RSRC2:TGID_Z_EN: 0
; COMPUTE_PGM_RSRC2:TIDIG_COMP_CNT: 1
; COMPUTE_PGM_RSRC3_GFX90A:ACCUM_OFFSET: 40
; COMPUTE_PGM_RSRC3_GFX90A:TG_SPLIT: 0
	.section	.text._ZL12mul_mat_q2_KIN3c108BFloat16ELb0EEvPKvS3_PT_iiiii,"axG",@progbits,_ZL12mul_mat_q2_KIN3c108BFloat16ELb0EEvPKvS3_PT_iiiii,comdat
	.globl	_ZL12mul_mat_q2_KIN3c108BFloat16ELb0EEvPKvS3_PT_iiiii ; -- Begin function _ZL12mul_mat_q2_KIN3c108BFloat16ELb0EEvPKvS3_PT_iiiii
	.p2align	8
	.type	_ZL12mul_mat_q2_KIN3c108BFloat16ELb0EEvPKvS3_PT_iiiii,@function
_ZL12mul_mat_q2_KIN3c108BFloat16ELb0EEvPKvS3_PT_iiiii: ; @_ZL12mul_mat_q2_KIN3c108BFloat16ELb0EEvPKvS3_PT_iiiii
; %bb.0:
	s_load_dword s15, s[0:1], 0x18
	s_load_dwordx4 s[8:11], s[0:1], 0x20
	s_waitcnt lgkmcnt(0)
	s_lshl_b32 s11, s3, 6
	v_bfe_u32 v45, v0, 10, 10
	s_cmpk_gt_i32 s15, 0xff
	s_cbranch_scc1 .LBB167_2
; %bb.1:
	v_bfe_u32 v1, v0, 10, 10
	s_mov_b32 s4, 0
	v_and_b32_e32 v41, 0x3ff, v0
	v_add_u32_e32 v49, s11, v1
	s_mov_b32 s5, s4
	s_mov_b64 s[6:7], 0
	s_branch .LBB167_3
.LBB167_2:
	s_mov_b64 s[6:7], -1
                                        ; implicit-def: $sgpr4_sgpr5
                                        ; implicit-def: $vgpr1
                                        ; implicit-def: $vgpr41
                                        ; implicit-def: $vgpr49
.LBB167_3:
	s_load_dwordx2 s[12:13], s[0:1], 0x10
	s_lshl_b32 s14, s2, 7
	s_andn2_b64 vcc, exec, s[6:7]
	v_mov_b64_e32 v[16:17], s[4:5]
	v_mov_b64_e32 v[24:25], s[4:5]
	;; [unrolled: 1-line block ×16, first 2 shown]
	s_cbranch_vccnz .LBB167_17
; %bb.4:
	s_ashr_i32 s4, s15, 31
	s_load_dwordx4 s[0:3], s[0:1], 0x0
	s_lshr_b32 s4, s4, 24
	s_add_i32 s15, s15, s4
	s_ashr_i32 s5, s9, 31
	s_ashr_i32 s4, s15, 8
	s_lshr_b32 s5, s5, 27
	s_add_i32 s5, s9, s5
	s_mul_i32 s6, s4, s14
	s_ashr_i32 s9, s5, 5
	s_mul_hi_i32 s7, s6, 0x54
	s_mulk_i32 s6, 0x54
	s_waitcnt lgkmcnt(0)
	s_add_u32 s6, s0, s6
	s_addc_u32 s7, s1, s7
	s_lshl_b32 s15, s4, 3
	v_and_b32_e32 v41, 0x3ff, v0
	v_mov_b32_e32 v0, s15
	v_mad_i32_i24 v46, s4, v45, v0
	v_add_u32_e32 v48, s15, v46
	v_add_u32_e32 v50, s15, v48
	;; [unrolled: 1-line block ×11, first 2 shown]
	v_lshlrev_b32_e32 v89, 4, v45
	v_lshrrev_b32_e32 v0, 1, v41
	v_add_u32_e32 v72, s15, v70
	v_and_b32_e32 v82, 1, v41
	v_add_u32_e32 v0, v0, v89
	v_add_u32_e32 v76, s15, v72
	v_and_b32_e32 v1, 0x7f, v0
	v_lshlrev_b32_e32 v3, 2, v82
	v_lshrrev_b32_e32 v0, 2, v0
	v_add_u32_e32 v80, s15, v76
	v_mul_i32_i24_e32 v84, s4, v1
	v_lshl_or_b32 v1, v1, 3, v3
	v_and_b32_e32 v0, 28, v0
	s_movk_i32 s15, 0x7280
	v_lshrrev_b32_e32 v95, 3, v41
	v_add3_u32 v93, v1, v0, s15
	v_lshl_add_u32 v0, v45, 2, v95
	v_and_b32_e32 v1, 7, v41
	v_cmp_lt_u32_e32 vcc, 3, v1
	v_and_b32_e32 v3, 0x7fc, v0
	v_lshlrev_b32_e32 v1, 2, v1
	s_movk_i32 s16, 0x6200
	s_lshl_b32 s17, s4, 5
	v_add3_u32 v4, v3, v1, s16
	v_add_u32_e32 v3, 32, v0
	v_mov_b32_e32 v6, s17
	v_mul_i32_i24_e32 v92, s4, v0
	v_lshlrev_b32_e32 v5, 5, v0
	v_mad_i32_i24 v94, s4, v0, v6
	v_and_b32_e32 v6, 0xffc, v3
	v_lshlrev_b32_e32 v7, 5, v3
	v_add_u32_e32 v3, 64, v0
	v_add_u32_e32 v0, 0x60, v0
	v_mov_b32_e32 v43, 0
	v_lshlrev_b32_e32 v2, 2, v41
	s_movk_i32 s1, 0x84
	v_and_b32_e32 v8, 0xffc, v3
	v_lshlrev_b32_e32 v9, 5, v3
	v_and_b32_e32 v3, 0xffc, v0
	v_and_b32_e32 v42, 60, v2
	v_mad_u32_u24 v47, v45, s1, v2
	v_and_b32_e32 v90, 12, v2
	v_add3_u32 v10, v3, v1, s16
	v_and_b32_e32 v2, 28, v2
	v_mov_b32_e32 v3, v43
	v_lshl_add_u64 v[100:101], s[2:3], 0, v[2:3]
	v_lshrrev_b32_e32 v2, 2, v41
	v_lshl_add_u32 v2, v45, 3, v2
	v_and_b32_e32 v3, 63, v2
	v_add3_u32 v6, v6, v1, s16
	v_add3_u32 v8, v8, v1, s16
	s_add_i32 s16, s8, -1
	v_or_b32_e32 v13, s11, v3
	v_add_u32_e32 v96, s17, v94
	v_and_b32_e32 v2, 3, v41
	v_min_i32_e32 v13, s16, v13
	v_add_u32_e32 v98, s17, v96
	v_lshlrev_b32_e32 v11, 5, v0
	v_cvt_f64_i32_e32 v[0:1], s16
	v_mad_u64_u32 v[102:103], s[16:17], v13, s9, v[2:3]
	v_lshlrev_b32_e32 v2, 2, v2
	v_add_u32_e32 v49, s11, v45
	v_lshl_or_b32 v2, v3, 4, v2
	v_add_u32_e32 v97, 0x76a0, v2
	v_cvt_f64_u32_e32 v[2:3], v49
	v_min_f64 v[2:3], v[2:3], v[0:1]
	v_cvt_i32_f64_e32 v2, v[2:3]
	v_mul_lo_u32 v99, s9, v2
	v_add_u32_e32 v2, 8, v49
	v_cvt_f64_u32_e32 v[2:3], v2
	v_min_f64 v[2:3], v[2:3], v[0:1]
	v_cvt_i32_f64_e32 v2, v[2:3]
	v_mul_lo_u32 v107, s9, v2
	;; [unrolled: 5-line block ×7, first 2 shown]
	v_add_u32_e32 v2, 56, v49
	v_cvt_f64_u32_e32 v[2:3], v2
	v_min_f64 v[0:1], v[2:3], v[0:1]
	v_lshrrev_b32_e32 v40, 4, v41
	v_cvt_i32_f64_e32 v0, v[0:1]
	v_mul_lo_u32 v133, s9, v0
	v_lshlrev_b32_e32 v0, 3, v41
	v_lshlrev_b32_e32 v15, 2, v40
	v_add_u32_e32 v1, 32, v41
	v_add3_u32 v136, v15, v0, s15
	v_mov_b32_e32 v0, 0x1080
	v_mad_u32_u24 v137, v41, s1, v0
	v_lshrrev_b32_e32 v0, 2, v1
	v_lshlrev_b32_e32 v2, 3, v1
	v_and_b32_e32 v0, 0x7c, v0
	v_and_b32_e32 v12, 31, v41
	v_lshlrev_b32_e32 v103, 7, v45
	v_add_u32_e32 v3, 64, v41
	v_add3_u32 v138, v2, v0, s15
	v_mov_b32_e32 v0, 0x2100
	v_lshl_or_b32 v12, v12, 2, v103
	v_mad_u32_u24 v139, v41, s1, v0
	v_lshrrev_b32_e32 v0, 2, v3
	v_add_u32_e32 v105, 0x4200, v12
	v_add_u32_e32 v109, 0x4600, v12
	;; [unrolled: 1-line block ×8, first 2 shown]
	v_lshlrev_b32_e32 v12, 3, v3
	v_and_b32_e32 v0, 0x7c, v0
	s_mov_b32 s0, 0
	v_add_u32_e32 v13, 0x60, v41
	v_add3_u32 v140, v12, v0, s15
	v_mov_b32_e32 v0, 0x3180
	v_mad_u32_u24 v141, v41, s1, v0
	v_lshrrev_b32_e32 v0, 2, v13
	s_mov_b32 s1, s0
	v_lshlrev_b32_e32 v14, 3, v13
	v_and_b32_e32 v0, 0x7c, v0
	v_and_b32_e32 v146, 0x1fc, v13
	v_lshlrev_b32_e32 v148, 5, v41
	v_and_b32_e32 v149, 0x1fc, v3
	v_and_b32_e32 v151, 0x1fc, v1
	;; [unrolled: 1-line block ×3, first 2 shown]
	v_mov_b64_e32 v[78:79], s[0:1]
	s_movk_i32 s5, 0x54
	v_mul_i32_i24_e32 v44, s4, v45
	v_add_u32_e32 v51, 0x420, v47
	v_add_u32_e32 v53, 0x840, v47
	;; [unrolled: 1-line block ×15, first 2 shown]
	v_cndmask_b32_e64 v88, 0, 1, vcc
	v_mov_b32_e32 v91, v43
	v_mul_u32_u24_e32 v135, 0x84, v41
	v_add3_u32 v142, v14, v0, s15
	v_lshrrev_b32_e32 v143, 3, v1
	v_lshrrev_b32_e32 v144, 3, v3
	;; [unrolled: 1-line block ×3, first 2 shown]
	v_or_b32_e32 v147, 0x4200, v146
	v_or_b32_e32 v150, 0x4200, v149
	;; [unrolled: 1-line block ×4, first 2 shown]
	v_add_u32_e32 v155, 0x6e08, v146
	v_add_u32_e32 v156, 0x6a08, v149
	;; [unrolled: 1-line block ×14, first 2 shown]
	s_mov_b32 s1, 0x1010101
	v_mov_b32_e32 v169, 4
	v_mov_b32_e32 v170, 15
	v_mov_b64_e32 v[38:39], v[78:79]
	v_mov_b64_e32 v[30:31], v[78:79]
	;; [unrolled: 1-line block ×15, first 2 shown]
	s_branch .LBB167_6
.LBB167_5:                              ;   in Loop: Header=BB167_6 Depth=1
	s_add_i32 s0, s0, 2
	s_cmp_ge_i32 s0, s4
	s_cbranch_scc1 .LBB167_16
.LBB167_6:                              ; =>This Loop Header: Depth=1
                                        ;     Child Loop BB167_7 Depth 2
                                        ;     Child Loop BB167_9 Depth 2
	;; [unrolled: 1-line block ×4, first 2 shown]
	s_mul_i32 s15, s0, 0x54
	s_mul_hi_u32 s9, s0, 0x54
	s_add_u32 s16, s6, s15
	s_addc_u32 s17, s7, s9
	v_mov_b64_e32 v[0:1], s[16:17]
	v_mad_u64_u32 v[2:3], s[16:17], v40, s5, v[0:1]
	v_lshl_add_u64 v[2:3], v[2:3], 0, v[42:43]
	v_lshl_add_u64 v[2:3], v[2:3], 0, 16
	v_mad_u64_u32 v[4:5], s[16:17], v44, s5, v[2:3]
	v_mad_u64_u32 v[6:7], s[16:17], v46, s5, v[2:3]
	v_mad_u64_u32 v[8:9], s[16:17], v48, s5, v[2:3]
	v_mad_u64_u32 v[10:11], s[16:17], v50, s5, v[2:3]
	v_mad_u64_u32 v[12:13], s[16:17], v52, s5, v[2:3]
	v_mad_u64_u32 v[14:15], s[16:17], v54, s5, v[2:3]
	v_mad_u64_u32 v[112:113], s[16:17], v58, s5, v[2:3]
	v_mad_u64_u32 v[114:115], s[16:17], v60, s5, v[2:3]
	global_load_dword v104, v[4:5], off
	global_load_dword v106, v[6:7], off
	;; [unrolled: 1-line block ×8, first 2 shown]
	v_mad_u64_u32 v[4:5], s[16:17], v62, s5, v[2:3]
	v_mad_u64_u32 v[6:7], s[16:17], v64, s5, v[2:3]
	;; [unrolled: 1-line block ×8, first 2 shown]
	global_load_dword v120, v[4:5], off
	global_load_dword v121, v[6:7], off
	;; [unrolled: 1-line block ×8, first 2 shown]
	v_mad_u64_u32 v[2:3], s[16:17], v84, s5, v[0:1]
	v_mad_u64_u32 v[0:1], s[16:17], v88, s5, v[0:1]
	v_lshl_add_u64 v[0:1], v[0:1], 0, v[90:91]
	s_lshl_b32 s9, s0, 3
	v_mad_u64_u32 v[2:3], s[16:17], v82, s5, v[2:3]
	v_mad_u64_u32 v[4:5], s[16:17], v92, s5, v[0:1]
	v_mad_u64_u32 v[6:7], s[16:17], v94, s5, v[0:1]
	v_mad_u64_u32 v[8:9], s[16:17], v96, s5, v[0:1]
	v_mad_u64_u32 v[0:1], s[16:17], v98, s5, v[0:1]
	v_add_u32_e32 v112, s9, v95
	global_load_dword v175, v[2:3], off offset:80
	global_load_dword v176, v[4:5], off
	global_load_dword v177, v[6:7], off
	s_nop 0
	global_load_dword v8, v[8:9], off
	s_nop 0
	global_load_dword v178, v[0:1], off
	v_add_u32_e32 v0, v112, v99
	v_add_u32_e32 v2, v112, v107
	;; [unrolled: 1-line block ×6, first 2 shown]
	v_mad_i64_i32 v[0:1], s[16:17], v0, 36, v[100:101]
	v_mad_i64_i32 v[2:3], s[16:17], v2, 36, v[100:101]
	;; [unrolled: 1-line block ×5, first 2 shown]
	v_add_u32_e32 v12, v112, v129
	v_add_u32_e32 v14, v112, v131
	;; [unrolled: 1-line block ×3, first 2 shown]
	v_mad_i64_i32 v[12:13], s[16:17], v12, 36, v[100:101]
	v_mad_i64_i32 v[14:15], s[16:17], v14, 36, v[100:101]
	;; [unrolled: 1-line block ×3, first 2 shown]
	v_mad_u64_u32 v[114:115], s[16:17], v9, 36, s[2:3]
	global_load_dword v0, v[0:1], off offset:4
	s_nop 0
	global_load_dword v1, v[2:3], off offset:4
	s_nop 0
	global_load_dword v2, v[4:5], off offset:4
	global_load_dword v3, v[6:7], off offset:4
	s_nop 0
	global_load_dword v4, v[10:11], off offset:4
	global_load_dword v5, v[114:115], off
	global_load_dword v6, v[12:13], off offset:4
	global_load_dword v7, v[14:15], off offset:4
	s_nop 0
	global_load_dword v10, v[112:113], off offset:4
	s_mov_b32 s17, -2
	v_mov_b32_e32 v11, v103
	v_mov_b32_e32 v13, v89
	s_waitcnt vmcnt(29)
	ds_write_b32 v47, v104
	s_waitcnt vmcnt(28)
	ds_write_b32 v51, v106
	;; [unrolled: 2-line block ×26, first 2 shown]
	s_waitcnt vmcnt(3)
	v_cvt_f32_f16_e32 v0, v5
	s_mov_b32 s15, 0
	s_waitcnt vmcnt(2)
	ds_write_b32 v130, v6
	s_waitcnt vmcnt(1)
	ds_write_b32 v132, v7
	;; [unrolled: 2-line block ×3, first 2 shown]
	ds_write_b32 v97, v0
	s_waitcnt lgkmcnt(0)
	s_barrier
.LBB167_7:                              ;   Parent Loop BB167_6 Depth=1
                                        ; =>  This Inner Loop Header: Depth=2
	s_and_b32 s16, s15, -16
	v_add_u32_e32 v104, s16, v148
	s_add_i32 s16, s17, 2
	s_and_b32 s18, s16, 0x3ffffff8
	s_lshl_b32 s18, s18, 2
	v_add_u32_e32 v0, 0x7400, v13
	v_add_u32_e32 v8, s18, v135
	ds_read2_b32 v[112:113], v0 offset0:168 offset1:200
	ds_read_b128 v[4:7], v11 offset:16896
	ds_read_b128 v[0:3], v11 offset:16912
	ds_read2_b32 v[14:15], v8 offset1:1
	ds_read2_b32 v[114:115], v8 offset0:4 offset1:5
	s_lshr_b32 s19, s16, 2
	s_and_b32 s19, s19, 0x3ffffffc
	v_mov_b32_e32 v116, 0
	s_waitcnt lgkmcnt(1)
	v_ashrrev_i32_e32 v10, s16, v14
	v_and_b32_e32 v175, 0x3030303, v10
	v_ashrrev_i32_e32 v10, s16, v15
	ds_read2_b32 v[14:15], v8 offset0:2 offset1:3
	v_and_b32_e32 v172, 0x3030303, v10
	v_mov_b32_e32 v218, 0
	v_mov_b32_e32 v219, 0
	;; [unrolled: 1-line block ×3, first 2 shown]
	s_waitcnt lgkmcnt(0)
	v_ashrrev_i32_e32 v10, s16, v14
	v_and_b32_e32 v173, 0x3030303, v10
	v_ashrrev_i32_e32 v10, s16, v15
	v_and_b32_e32 v174, 0x3030303, v10
	;; [unrolled: 2-line block ×3, first 2 shown]
	v_ashrrev_i32_e32 v10, s16, v115
	ds_read2_b32 v[114:115], v8 offset0:6 offset1:7
	v_and_b32_e32 v122, 0x3030303, v10
	v_add_u32_e32 v10, s19, v136
	v_mov_b32_e32 v220, 0
	v_mov_b32_e32 v221, 0
	s_waitcnt lgkmcnt(0)
	v_ashrrev_i32_e32 v8, s16, v114
	v_and_b32_e32 v123, 0x3030303, v8
	v_ashrrev_i32_e32 v8, s16, v115
	v_and_b32_e32 v171, 0x3030303, v8
	v_add3_u32 v8, v154, s17, v104
	ds_read_b32 v10, v10
	ds_read_u16 v12, v8 offset:8194
	s_add_i32 s15, s15, 2
	s_cmp_lt_u32 s16, 6
	s_waitcnt lgkmcnt(0)
	v_bfe_u32 v8, v12, 4, 4
	v_mul_lo_u32 v176, v8, s1
	v_mov_b32_e32 v8, 0
	v_and_b32_e32 v191, 15, v12
	v_lshrrev_b32_sdwa v14, v169, v12 dst_sel:DWORD dst_unused:UNUSED_PAD src0_sel:DWORD src1_sel:BYTE_1
	v_and_b32_sdwa v192, v12, v170 dst_sel:DWORD dst_unused:UNUSED_PAD src0_sel:BYTE_1 src1_sel:DWORD
	v_add_u32_e32 v12, s18, v137
	v_dot4c_i32_i8_e32 v8, v175, v4
	v_mul_lo_u32 v189, v14, s1
	v_mov_b32_e32 v14, 0
	ds_read2_b32 v[118:119], v12 offset1:1
	v_dot4c_i32_i8_e32 v8, v172, v5
	v_dot4c_i32_i8_e32 v14, v15, v0
	;; [unrolled: 1-line block ×8, first 2 shown]
	v_mul_lo_u32 v8, v191, v8
	v_dot4c_i32_i8_e32 v116, v176, v5
	v_mad_u64_u32 v[114:115], s[20:21], v192, v14, v[8:9]
	s_waitcnt lgkmcnt(0)
	v_ashrrev_i32_e32 v14, s16, v118
	v_and_b32_e32 v188, 0x3030303, v14
	v_ashrrev_i32_e32 v14, s16, v119
	ds_read2_b32 v[118:119], v12 offset0:2 offset1:3
	v_and_b32_e32 v185, 0x3030303, v14
	v_cvt_f32_i32_e32 v115, v114
	v_dot4c_i32_i8_e32 v116, v176, v6
	v_dot4c_i32_i8_e32 v116, v176, v7
	s_waitcnt lgkmcnt(0)
	v_ashrrev_i32_e32 v14, s16, v118
	v_and_b32_e32 v186, 0x3030303, v14
	v_ashrrev_i32_e32 v14, s16, v119
	ds_read2_b32 v[118:119], v12 offset0:4 offset1:5
	v_and_b32_e32 v187, 0x3030303, v14
	v_dot4c_i32_i8_e32 v116, v189, v0
	v_dot4c_i32_i8_e32 v116, v189, v1
	;; [unrolled: 1-line block ×3, first 2 shown]
	s_waitcnt lgkmcnt(0)
	v_ashrrev_i32_e32 v14, s16, v118
	v_and_b32_e32 v177, 0x3030303, v14
	v_ashrrev_i32_e32 v14, s16, v119
	ds_read2_b32 v[118:119], v12 offset0:6 offset1:7
	v_and_b32_e32 v178, 0x3030303, v14
	v_add_u32_e32 v14, s19, v138
	v_dot4c_i32_i8_e32 v116, v189, v3
	v_cvt_f32_f16_e32 v8, v10
	s_waitcnt lgkmcnt(0)
	v_ashrrev_i32_e32 v12, s16, v118
	v_and_b32_e32 v179, 0x3030303, v12
	v_ashrrev_i32_e32 v12, s16, v119
	v_and_b32_e32 v180, 0x3030303, v12
	v_add3_u32 v12, v152, s17, v104
	ds_read_b32 v14, v14
	ds_read_u16 v106, v12 offset:9218
	v_mov_b32_e32 v118, 0
	v_cvt_f32_f16_sdwa v10, v10 dst_sel:DWORD dst_unused:UNUSED_PAD src0_sel:WORD_1
	s_waitcnt lgkmcnt(0)
	v_bfe_u32 v12, v106, 4, 4
	v_mul_lo_u32 v190, v12, s1
	v_mov_b32_e32 v12, 0
	v_lshrrev_b32_sdwa v108, v169, v106 dst_sel:DWORD dst_unused:UNUSED_PAD src0_sel:DWORD src1_sel:BYTE_1
	v_dot4c_i32_i8_e32 v12, v188, v4
	v_mul_lo_u32 v201, v108, s1
	v_mov_b32_e32 v108, 0
	v_dot4c_i32_i8_e32 v12, v185, v5
	v_dot4c_i32_i8_e32 v108, v177, v0
	;; [unrolled: 1-line block ×5, first 2 shown]
	v_and_b32_e32 v204, 15, v106
	v_dot4c_i32_i8_e32 v108, v179, v2
	v_dot4c_i32_i8_e32 v108, v180, v3
	v_mul_lo_u32 v12, v204, v12
	v_and_b32_sdwa v205, v106, v170 dst_sel:DWORD dst_unused:UNUSED_PAD src0_sel:BYTE_1 src1_sel:DWORD
	v_add_u32_e32 v106, s18, v139
	v_mad_u64_u32 v[120:121], s[20:21], v205, v108, v[12:13]
	v_cvt_f32_i32_e32 v117, v120
	ds_read2_b32 v[120:121], v106 offset1:1
	v_dot4c_i32_i8_e32 v118, v190, v4
	v_dot4c_i32_i8_e32 v118, v190, v5
	;; [unrolled: 1-line block ×4, first 2 shown]
	s_waitcnt lgkmcnt(0)
	v_ashrrev_i32_e32 v108, s16, v120
	v_and_b32_e32 v200, 0x3030303, v108
	v_ashrrev_i32_e32 v108, s16, v121
	ds_read2_b32 v[120:121], v106 offset0:2 offset1:3
	v_and_b32_e32 v197, 0x3030303, v108
	v_dot4c_i32_i8_e32 v118, v201, v0
	v_dot4c_i32_i8_e32 v118, v201, v1
	v_dot4c_i32_i8_e32 v118, v201, v2
	s_waitcnt lgkmcnt(0)
	v_ashrrev_i32_e32 v108, s16, v120
	v_and_b32_e32 v198, 0x3030303, v108
	v_ashrrev_i32_e32 v108, s16, v121
	ds_read2_b32 v[120:121], v106 offset0:4 offset1:5
	v_and_b32_e32 v199, 0x3030303, v108
	v_dot4c_i32_i8_e32 v118, v201, v3
	v_cvt_f32_f16_e32 v12, v14
	v_cvt_f32_f16_sdwa v14, v14 dst_sel:DWORD dst_unused:UNUSED_PAD src0_sel:WORD_1
	s_waitcnt lgkmcnt(0)
	v_ashrrev_i32_e32 v108, s16, v120
	v_and_b32_e32 v193, 0x3030303, v108
	v_ashrrev_i32_e32 v108, s16, v121
	ds_read2_b32 v[120:121], v106 offset0:6 offset1:7
	v_and_b32_e32 v194, 0x3030303, v108
	v_add_u32_e32 v108, s19, v140
	s_waitcnt lgkmcnt(0)
	v_ashrrev_i32_e32 v106, s16, v120
	v_and_b32_e32 v195, 0x3030303, v106
	v_ashrrev_i32_e32 v106, s16, v121
	v_and_b32_e32 v196, 0x3030303, v106
	v_add3_u32 v106, v150, s17, v104
	ds_read_b32 v110, v108
	ds_read_u16 v108, v106 offset:10242
	v_add3_u32 v104, v147, s17, v104
	s_mov_b32 s17, s16
	s_waitcnt lgkmcnt(0)
	v_bfe_u32 v106, v108, 4, 4
	v_mul_lo_u32 v203, v106, s1
	v_mov_b32_e32 v106, 0
	v_lshrrev_b32_sdwa v114, v169, v108 dst_sel:DWORD dst_unused:UNUSED_PAD src0_sel:DWORD src1_sel:BYTE_1
	v_dot4c_i32_i8_e32 v106, v200, v4
	v_mul_lo_u32 v211, v114, s1
	v_mov_b32_e32 v114, 0
	v_dot4c_i32_i8_e32 v106, v197, v5
	v_dot4c_i32_i8_e32 v114, v193, v0
	;; [unrolled: 1-line block ×5, first 2 shown]
	v_and_b32_e32 v213, 15, v108
	v_dot4c_i32_i8_e32 v114, v195, v2
	v_dot4c_i32_i8_e32 v114, v196, v3
	v_mul_lo_u32 v106, v213, v106
	v_and_b32_sdwa v214, v108, v170 dst_sel:DWORD dst_unused:UNUSED_PAD src0_sel:BYTE_1 src1_sel:DWORD
	v_dot4c_i32_i8_e32 v218, v203, v4
	v_mad_u64_u32 v[120:121], s[20:21], v214, v114, v[106:107]
	v_add_u32_e32 v106, s18, v141
	v_cvt_f32_i32_e32 v119, v120
	ds_read2_b32 v[120:121], v106 offset1:1
	v_dot4c_i32_i8_e32 v218, v203, v5
	v_dot4c_i32_i8_e32 v218, v203, v6
	;; [unrolled: 1-line block ×4, first 2 shown]
	s_waitcnt lgkmcnt(0)
	v_ashrrev_i32_e32 v114, s16, v120
	v_and_b32_e32 v210, 0x3030303, v114
	v_ashrrev_i32_e32 v114, s16, v121
	ds_read2_b32 v[120:121], v106 offset0:2 offset1:3
	v_and_b32_e32 v207, 0x3030303, v114
	v_dot4c_i32_i8_e32 v218, v211, v1
	v_dot4c_i32_i8_e32 v218, v211, v2
	;; [unrolled: 1-line block ×3, first 2 shown]
	s_waitcnt lgkmcnt(0)
	v_ashrrev_i32_e32 v114, s16, v120
	v_and_b32_e32 v208, 0x3030303, v114
	v_ashrrev_i32_e32 v114, s16, v121
	ds_read2_b32 v[120:121], v106 offset0:4 offset1:5
	v_and_b32_e32 v209, 0x3030303, v114
	v_cvt_f32_f16_e32 v108, v110
	v_cvt_f32_f16_sdwa v110, v110 dst_sel:DWORD dst_unused:UNUSED_PAD src0_sel:WORD_1
	s_waitcnt lgkmcnt(0)
	v_ashrrev_i32_e32 v114, s16, v120
	v_and_b32_e32 v181, 0x3030303, v114
	v_ashrrev_i32_e32 v114, s16, v121
	ds_read2_b32 v[120:121], v106 offset0:6 offset1:7
	v_and_b32_e32 v182, 0x3030303, v114
	s_waitcnt lgkmcnt(0)
	v_ashrrev_i32_e32 v106, s16, v120
	v_and_b32_e32 v183, 0x3030303, v106
	v_ashrrev_i32_e32 v106, s16, v121
	v_and_b32_e32 v184, 0x3030303, v106
	v_add_u32_e32 v106, s19, v142
	ds_read_b32 v106, v106
	ds_read_u16 v104, v104 offset:11266
	v_mov_b32_e32 v120, 0
	s_waitcnt lgkmcnt(0)
	v_bfe_u32 v114, v104, 4, 4
	v_mul_lo_u32 v212, v114, s1
	v_mov_b32_e32 v114, 0
	v_dot4c_i32_i8_e32 v114, v210, v4
	v_dot4c_i32_i8_e32 v219, v212, v4
	;; [unrolled: 1-line block ×4, first 2 shown]
	v_lshrrev_b32_sdwa v5, v169, v104 dst_sel:DWORD dst_unused:UNUSED_PAD src0_sel:DWORD src1_sel:BYTE_1
	v_mul_lo_u32 v202, v5, s1
	v_mov_b32_e32 v5, 0
	v_dot4c_i32_i8_e32 v219, v212, v6
	v_dot4c_i32_i8_e32 v5, v181, v0
	;; [unrolled: 1-line block ×6, first 2 shown]
	v_and_b32_e32 v215, 15, v104
	v_dot4c_i32_i8_e32 v219, v202, v0
	v_dot4c_i32_i8_e32 v5, v183, v2
	v_mul_lo_u32 v4, v215, v114
	v_dot4c_i32_i8_e32 v219, v202, v1
	v_dot4c_i32_i8_e32 v5, v184, v3
	v_and_b32_sdwa v206, v104, v170 dst_sel:DWORD dst_unused:UNUSED_PAD src0_sel:BYTE_1 src1_sel:DWORD
	v_dot4c_i32_i8_e32 v219, v202, v2
	v_dot4c_i32_i8_e32 v219, v202, v3
	v_mad_u64_u32 v[0:1], s[18:19], v206, v5, v[4:5]
	v_cvt_f32_i32_e32 v121, v0
	ds_read_b128 v[4:7], v11 offset:17920
	ds_read_b128 v[0:3], v11 offset:17936
	v_mov_b32_e32 v114, 0
	v_cvt_f32_f16_e32 v104, v106
	v_cvt_f32_f16_sdwa v106, v106 dst_sel:DWORD dst_unused:UNUSED_PAD src0_sel:WORD_1
	s_waitcnt lgkmcnt(1)
	v_dot4c_i32_i8_e32 v120, v176, v4
	v_dot4c_i32_i8_e32 v120, v176, v5
	;; [unrolled: 1-line block ×6, first 2 shown]
	s_waitcnt lgkmcnt(0)
	v_dot4c_i32_i8_e32 v216, v15, v0
	v_dot4c_i32_i8_e32 v114, v173, v6
	;; [unrolled: 1-line block ×8, first 2 shown]
	v_mul_lo_u32 v114, v114, v191
	v_dot4c_i32_i8_e32 v216, v171, v3
	v_dot4c_i32_i8_e32 v120, v189, v3
	s_nop 1
	v_mad_u64_u32 v[216:217], s[18:19], v216, v192, v[114:115]
	v_cvt_f32_i32_e32 v114, v216
	v_cvt_f32_i32_e32 v217, v116
	;; [unrolled: 1-line block ×3, first 2 shown]
	v_mov_b32_e32 v120, 0
	v_dot4c_i32_i8_e32 v120, v190, v4
	v_dot4c_i32_i8_e32 v120, v190, v5
	v_pk_mul_f32 v[216:217], v[10:11], v[216:217] op_sel_hi:[0,1]
	v_pk_fma_f32 v[216:217], v[8:9], v[114:115], v[216:217] op_sel_hi:[0,1,1] neg_lo:[0,0,1] neg_hi:[0,0,1]
	v_mov_b32_e32 v115, v112
	v_mov_b32_e32 v112, 0
	;; [unrolled: 1-line block ×3, first 2 shown]
	v_dot4c_i32_i8_e32 v112, v188, v4
	v_dot4c_i32_i8_e32 v120, v190, v6
	v_mov_b32_e32 v113, 0
	v_dot4c_i32_i8_e32 v112, v185, v5
	v_dot4c_i32_i8_e32 v120, v190, v7
	;; [unrolled: 1-line block ×10, first 2 shown]
	v_mul_lo_u32 v112, v112, v204
	v_dot4c_i32_i8_e32 v113, v180, v3
	v_dot4c_i32_i8_e32 v120, v201, v3
	v_pk_fma_f32 v[78:79], v[114:115], v[216:217], v[78:79]
	s_nop 0
	v_mad_u64_u32 v[112:113], s[18:19], v113, v205, v[112:113]
	v_cvt_f32_i32_e32 v116, v112
	v_cvt_f32_i32_e32 v113, v118
	;; [unrolled: 1-line block ×3, first 2 shown]
	v_pk_mul_f32 v[112:113], v[14:15], v[112:113] op_sel_hi:[0,1]
	v_pk_fma_f32 v[112:113], v[12:13], v[116:117], v[112:113] op_sel_hi:[0,1,1] neg_lo:[0,0,1] neg_hi:[0,0,1]
	v_mov_b32_e32 v116, 0
	v_dot4c_i32_i8_e32 v116, v203, v4
	v_pk_fma_f32 v[86:87], v[114:115], v[112:113], v[86:87]
	v_mov_b32_e32 v112, 0
	v_dot4c_i32_i8_e32 v116, v203, v5
	v_dot4c_i32_i8_e32 v112, v200, v4
	;; [unrolled: 1-line block ×3, first 2 shown]
	v_mov_b32_e32 v113, 0
	v_dot4c_i32_i8_e32 v112, v197, v5
	v_dot4c_i32_i8_e32 v116, v203, v7
	;; [unrolled: 1-line block ×10, first 2 shown]
	v_mul_lo_u32 v112, v112, v213
	v_dot4c_i32_i8_e32 v113, v196, v3
	v_dot4c_i32_i8_e32 v116, v211, v3
	v_mov_b32_e32 v117, 0
	s_nop 0
	v_mad_u64_u32 v[112:113], s[18:19], v113, v214, v[112:113]
	v_cvt_f32_i32_e32 v118, v112
	v_cvt_f32_i32_e32 v113, v218
	v_cvt_f32_i32_e32 v112, v116
	v_mov_b32_e32 v218, 0
	v_pk_mul_f32 v[112:113], v[110:111], v[112:113] op_sel_hi:[0,1]
	v_pk_fma_f32 v[112:113], v[108:109], v[118:119], v[112:113] op_sel_hi:[0,1,1] neg_lo:[0,0,1] neg_hi:[0,0,1]
	v_pk_fma_f32 v[74:75], v[114:115], v[112:113], v[74:75]
	v_mov_b32_e32 v113, 0
	v_mov_b32_e32 v112, 0
	v_dot4c_i32_i8_e32 v113, v212, v4
	v_dot4c_i32_i8_e32 v112, v210, v4
	;; [unrolled: 1-line block ×5, first 2 shown]
	v_mov_b32_e32 v5, 0
	v_dot4c_i32_i8_e32 v113, v212, v7
	v_dot4c_i32_i8_e32 v5, v181, v0
	;; [unrolled: 1-line block ×9, first 2 shown]
	v_mul_lo_u32 v4, v112, v215
	v_dot4c_i32_i8_e32 v5, v184, v3
	v_dot4c_i32_i8_e32 v113, v202, v3
	v_mov_b32_e32 v119, 0
	s_nop 0
	v_mad_u64_u32 v[0:1], s[18:19], v5, v206, v[4:5]
	v_cvt_f32_i32_e32 v120, v0
	v_cvt_f32_i32_e32 v1, v219
	;; [unrolled: 1-line block ×3, first 2 shown]
	v_mov_b32_e32 v219, 0
	v_pk_mul_f32 v[0:1], v[106:107], v[0:1] op_sel_hi:[0,1]
	v_pk_fma_f32 v[0:1], v[104:105], v[120:121], v[0:1] op_sel_hi:[0,1,1] neg_lo:[0,0,1] neg_hi:[0,0,1]
	v_pk_fma_f32 v[56:57], v[114:115], v[0:1], v[56:57]
	v_add_u32_e32 v0, 0x7600, v13
	ds_read2_b32 v[112:113], v0 offset0:104 offset1:136
	ds_read_b128 v[4:7], v11 offset:18944
	ds_read_b128 v[0:3], v11 offset:18960
	v_mov_b32_e32 v114, 0
	v_mov_b32_e32 v115, 0
	s_waitcnt lgkmcnt(1)
	v_dot4c_i32_i8_e32 v114, v175, v4
	v_dot4c_i32_i8_e32 v114, v172, v5
	s_waitcnt lgkmcnt(0)
	v_dot4c_i32_i8_e32 v115, v15, v0
	v_dot4c_i32_i8_e32 v114, v173, v6
	;; [unrolled: 1-line block ×7, first 2 shown]
	v_mul_lo_u32 v114, v114, v191
	v_dot4c_i32_i8_e32 v218, v190, v4
	v_mad_u64_u32 v[114:115], s[18:19], v115, v192, v[114:115]
	v_cvt_f32_i32_e32 v120, v114
	v_mov_b32_e32 v114, 0
	v_dot4c_i32_i8_e32 v114, v188, v4
	v_mov_b32_e32 v115, 0
	v_dot4c_i32_i8_e32 v114, v185, v5
	v_dot4c_i32_i8_e32 v115, v177, v0
	;; [unrolled: 1-line block ×8, first 2 shown]
	v_mul_lo_u32 v114, v114, v204
	v_dot4c_i32_i8_e32 v220, v212, v4
	v_mad_u64_u32 v[114:115], s[18:19], v115, v205, v[114:115]
	v_cvt_f32_i32_e32 v118, v114
	v_mov_b32_e32 v114, 0
	v_dot4c_i32_i8_e32 v114, v200, v4
	v_mov_b32_e32 v115, 0
	v_dot4c_i32_i8_e32 v114, v197, v5
	v_dot4c_i32_i8_e32 v115, v193, v0
	;; [unrolled: 1-line block ×8, first 2 shown]
	v_mul_lo_u32 v114, v114, v213
	v_dot4c_i32_i8_e32 v218, v190, v5
	v_mad_u64_u32 v[114:115], s[18:19], v115, v214, v[114:115]
	v_cvt_f32_i32_e32 v116, v114
	v_mov_b32_e32 v114, 0
	v_dot4c_i32_i8_e32 v114, v210, v4
	v_dot4c_i32_i8_e32 v219, v203, v5
	;; [unrolled: 1-line block ×4, first 2 shown]
	v_mov_b32_e32 v5, 0
	v_dot4c_i32_i8_e32 v117, v176, v6
	v_dot4c_i32_i8_e32 v218, v190, v6
	;; [unrolled: 1-line block ×20, first 2 shown]
	v_mul_lo_u32 v4, v114, v215
	v_dot4c_i32_i8_e32 v220, v202, v1
	v_dot4c_i32_i8_e32 v5, v184, v3
	;; [unrolled: 1-line block ×6, first 2 shown]
	v_mad_u64_u32 v[0:1], s[18:19], v5, v206, v[4:5]
	v_dot4c_i32_i8_e32 v117, v189, v3
	v_dot4c_i32_i8_e32 v218, v201, v3
	v_dot4c_i32_i8_e32 v219, v211, v3
	v_dot4c_i32_i8_e32 v220, v202, v3
	v_cvt_f32_i32_e32 v114, v0
	ds_read_b128 v[4:7], v11 offset:19968
	ds_read_b128 v[0:3], v11 offset:19984
	v_mov_b32_e32 v115, 0
	s_waitcnt lgkmcnt(1)
	v_dot4c_i32_i8_e32 v115, v175, v4
	v_dot4c_i32_i8_e32 v115, v172, v5
	;; [unrolled: 1-line block ×8, first 2 shown]
	s_waitcnt lgkmcnt(0)
	v_dot4c_i32_i8_e32 v119, v189, v0
	v_mul_lo_u32 v216, v115, v191
	v_mov_b32_e32 v115, 0
	v_dot4c_i32_i8_e32 v115, v15, v0
	v_dot4c_i32_i8_e32 v115, v122, v1
	v_dot4c_i32_i8_e32 v119, v189, v1
	v_dot4c_i32_i8_e32 v115, v123, v2
	v_dot4c_i32_i8_e32 v119, v189, v2
	v_dot4c_i32_i8_e32 v115, v171, v3
	v_dot4c_i32_i8_e32 v119, v189, v3
	s_nop 1
	v_mad_u64_u32 v[216:217], s[18:19], v115, v192, v[216:217]
	v_cvt_f32_i32_e32 v121, v216
	v_cvt_f32_i32_e32 v217, v119
	;; [unrolled: 1-line block ×3, first 2 shown]
	v_mov_b32_e32 v115, 0
	v_dot4c_i32_i8_e32 v115, v188, v4
	v_mov_b32_e32 v117, 0
	v_dot4c_i32_i8_e32 v115, v185, v5
	v_pk_mul_f32 v[216:217], v[10:11], v[216:217] op_sel_hi:[0,1]
	v_dot4c_i32_i8_e32 v117, v190, v4
	v_dot4c_i32_i8_e32 v115, v186, v6
	v_pk_fma_f32 v[120:121], v[8:9], v[120:121], v[216:217] op_sel_hi:[0,1,1] neg_lo:[0,0,1] neg_hi:[0,0,1]
	v_dot4c_i32_i8_e32 v117, v190, v5
	v_dot4c_i32_i8_e32 v115, v187, v7
	v_pk_fma_f32 v[38:39], v[112:113], v[120:121], v[38:39]
	v_dot4c_i32_i8_e32 v117, v190, v6
	v_dot4c_i32_i8_e32 v117, v190, v7
	v_mul_lo_u32 v120, v115, v204
	v_mov_b32_e32 v115, 0
	v_dot4c_i32_i8_e32 v115, v177, v0
	v_dot4c_i32_i8_e32 v117, v201, v0
	v_dot4c_i32_i8_e32 v115, v178, v1
	v_dot4c_i32_i8_e32 v117, v201, v1
	v_dot4c_i32_i8_e32 v115, v179, v2
	v_dot4c_i32_i8_e32 v117, v201, v2
	v_dot4c_i32_i8_e32 v115, v180, v3
	v_dot4c_i32_i8_e32 v117, v201, v3
	v_add_u32_e32 v216, 0x7800, v13
	v_mov_b32_e32 v217, 0
	v_mad_u64_u32 v[120:121], s[18:19], v115, v205, v[120:121]
	v_cvt_f32_i32_e32 v119, v120
	v_cvt_f32_i32_e32 v121, v117
	;; [unrolled: 1-line block ×3, first 2 shown]
	v_mov_b32_e32 v115, 0
	v_dot4c_i32_i8_e32 v115, v200, v4
	v_dot4c_i32_i8_e32 v115, v197, v5
	v_pk_mul_f32 v[120:121], v[14:15], v[120:121] op_sel_hi:[0,1]
	v_pk_fma_f32 v[118:119], v[12:13], v[118:119], v[120:121] op_sel_hi:[0,1,1] neg_lo:[0,0,1] neg_hi:[0,0,1]
	v_mov_b32_e32 v120, 0
	v_dot4c_i32_i8_e32 v120, v203, v4
	v_dot4c_i32_i8_e32 v115, v198, v6
	;; [unrolled: 1-line block ×4, first 2 shown]
	v_pk_fma_f32 v[36:37], v[112:113], v[118:119], v[36:37]
	v_dot4c_i32_i8_e32 v120, v203, v6
	v_dot4c_i32_i8_e32 v120, v203, v7
	v_mul_lo_u32 v118, v115, v213
	v_mov_b32_e32 v115, 0
	v_dot4c_i32_i8_e32 v115, v193, v0
	v_dot4c_i32_i8_e32 v120, v211, v0
	;; [unrolled: 1-line block ×8, first 2 shown]
	s_nop 1
	v_mad_u64_u32 v[118:119], s[18:19], v115, v214, v[118:119]
	v_cvt_f32_i32_e32 v117, v118
	v_cvt_f32_i32_e32 v119, v120
	v_cvt_f32_i32_e32 v118, v219
	v_mov_b32_e32 v115, 0
	v_dot4c_i32_i8_e32 v115, v210, v4
	v_dot4c_i32_i8_e32 v115, v207, v5
	v_pk_mul_f32 v[118:119], v[110:111], v[118:119] op_sel_hi:[0,1]
	v_pk_fma_f32 v[116:117], v[108:109], v[116:117], v[118:119] op_sel_hi:[0,1,1] neg_lo:[0,0,1] neg_hi:[0,0,1]
	v_pk_fma_f32 v[34:35], v[112:113], v[116:117], v[34:35]
	v_mov_b32_e32 v116, 0
	v_dot4c_i32_i8_e32 v116, v212, v4
	v_dot4c_i32_i8_e32 v116, v212, v5
	v_dot4c_i32_i8_e32 v116, v212, v6
	v_mov_b32_e32 v5, 0
	v_dot4c_i32_i8_e32 v116, v212, v7
	v_dot4c_i32_i8_e32 v5, v181, v0
	;; [unrolled: 1-line block ×9, first 2 shown]
	v_mul_lo_u32 v4, v115, v215
	v_dot4c_i32_i8_e32 v5, v184, v3
	v_dot4c_i32_i8_e32 v116, v202, v3
	v_mov_b32_e32 v117, 0
	v_mov_b32_e32 v119, 0
	v_mad_u64_u32 v[0:1], s[18:19], v5, v206, v[4:5]
	v_cvt_f32_i32_e32 v115, v0
	v_cvt_f32_i32_e32 v1, v116
	;; [unrolled: 1-line block ×3, first 2 shown]
	v_mov_b32_e32 v220, 0
	v_pk_mul_f32 v[0:1], v[106:107], v[0:1] op_sel_hi:[0,1]
	v_pk_fma_f32 v[0:1], v[104:105], v[114:115], v[0:1] op_sel_hi:[0,1,1] neg_lo:[0,0,1] neg_hi:[0,0,1]
	v_pk_fma_f32 v[32:33], v[112:113], v[0:1], v[32:33]
	ds_read2_b32 v[112:113], v216 offset0:40 offset1:72
	ds_read_b128 v[4:7], v11 offset:20992
	ds_read_b128 v[0:3], v11 offset:21008
	v_mov_b32_e32 v114, 0
	v_mov_b32_e32 v115, 0
	s_waitcnt lgkmcnt(1)
	v_dot4c_i32_i8_e32 v114, v175, v4
	v_dot4c_i32_i8_e32 v114, v172, v5
	s_waitcnt lgkmcnt(0)
	v_dot4c_i32_i8_e32 v115, v15, v0
	v_dot4c_i32_i8_e32 v114, v173, v6
	;; [unrolled: 1-line block ×7, first 2 shown]
	v_mul_lo_u32 v114, v114, v191
	v_dot4c_i32_i8_e32 v217, v190, v4
	v_mad_u64_u32 v[114:115], s[18:19], v115, v192, v[114:115]
	v_cvt_f32_i32_e32 v120, v114
	v_mov_b32_e32 v114, 0
	v_dot4c_i32_i8_e32 v114, v188, v4
	v_mov_b32_e32 v115, 0
	v_dot4c_i32_i8_e32 v114, v185, v5
	v_dot4c_i32_i8_e32 v115, v177, v0
	;; [unrolled: 1-line block ×8, first 2 shown]
	v_mul_lo_u32 v114, v114, v204
	v_dot4c_i32_i8_e32 v221, v212, v4
	v_mad_u64_u32 v[114:115], s[18:19], v115, v205, v[114:115]
	v_cvt_f32_i32_e32 v118, v114
	v_mov_b32_e32 v114, 0
	v_dot4c_i32_i8_e32 v114, v200, v4
	v_mov_b32_e32 v115, 0
	v_dot4c_i32_i8_e32 v114, v197, v5
	v_dot4c_i32_i8_e32 v115, v193, v0
	;; [unrolled: 1-line block ×8, first 2 shown]
	v_mul_lo_u32 v114, v114, v213
	v_dot4c_i32_i8_e32 v217, v190, v5
	v_mad_u64_u32 v[114:115], s[18:19], v115, v214, v[114:115]
	v_cvt_f32_i32_e32 v116, v114
	v_mov_b32_e32 v114, 0
	v_dot4c_i32_i8_e32 v114, v210, v4
	v_dot4c_i32_i8_e32 v220, v203, v5
	v_dot4c_i32_i8_e32 v114, v207, v5
	v_dot4c_i32_i8_e32 v221, v212, v5
	v_mov_b32_e32 v5, 0
	v_dot4c_i32_i8_e32 v117, v176, v6
	v_dot4c_i32_i8_e32 v217, v190, v6
	;; [unrolled: 1-line block ×20, first 2 shown]
	v_mul_lo_u32 v4, v114, v215
	v_dot4c_i32_i8_e32 v221, v202, v1
	v_dot4c_i32_i8_e32 v5, v184, v3
	;; [unrolled: 1-line block ×6, first 2 shown]
	v_mad_u64_u32 v[0:1], s[18:19], v5, v206, v[4:5]
	v_dot4c_i32_i8_e32 v117, v189, v3
	v_dot4c_i32_i8_e32 v217, v201, v3
	;; [unrolled: 1-line block ×4, first 2 shown]
	v_cvt_f32_i32_e32 v114, v0
	ds_read_b128 v[4:7], v11 offset:22016
	ds_read_b128 v[0:3], v11 offset:22032
	v_mov_b32_e32 v115, 0
	s_waitcnt lgkmcnt(1)
	v_dot4c_i32_i8_e32 v115, v175, v4
	v_dot4c_i32_i8_e32 v115, v172, v5
	;; [unrolled: 1-line block ×8, first 2 shown]
	s_waitcnt lgkmcnt(0)
	v_dot4c_i32_i8_e32 v119, v189, v0
	v_mul_lo_u32 v218, v115, v191
	v_mov_b32_e32 v115, 0
	v_dot4c_i32_i8_e32 v115, v15, v0
	v_dot4c_i32_i8_e32 v115, v122, v1
	;; [unrolled: 1-line block ×7, first 2 shown]
	s_nop 1
	v_mad_u64_u32 v[218:219], s[18:19], v115, v192, v[218:219]
	v_cvt_f32_i32_e32 v121, v218
	v_cvt_f32_i32_e32 v219, v119
	;; [unrolled: 1-line block ×3, first 2 shown]
	v_mov_b32_e32 v115, 0
	v_dot4c_i32_i8_e32 v115, v188, v4
	v_mov_b32_e32 v117, 0
	v_dot4c_i32_i8_e32 v115, v185, v5
	v_pk_mul_f32 v[218:219], v[10:11], v[218:219] op_sel_hi:[0,1]
	v_dot4c_i32_i8_e32 v117, v190, v4
	v_dot4c_i32_i8_e32 v115, v186, v6
	v_pk_fma_f32 v[120:121], v[8:9], v[120:121], v[218:219] op_sel_hi:[0,1,1] neg_lo:[0,0,1] neg_hi:[0,0,1]
	v_dot4c_i32_i8_e32 v117, v190, v5
	v_dot4c_i32_i8_e32 v115, v187, v7
	v_pk_fma_f32 v[30:31], v[112:113], v[120:121], v[30:31]
	v_dot4c_i32_i8_e32 v117, v190, v6
	v_dot4c_i32_i8_e32 v117, v190, v7
	v_mul_lo_u32 v120, v115, v204
	v_mov_b32_e32 v115, 0
	v_dot4c_i32_i8_e32 v115, v177, v0
	v_dot4c_i32_i8_e32 v117, v201, v0
	;; [unrolled: 1-line block ×8, first 2 shown]
	v_mov_b32_e32 v218, 0
	s_nop 0
	v_mad_u64_u32 v[120:121], s[18:19], v115, v205, v[120:121]
	v_cvt_f32_i32_e32 v119, v120
	v_cvt_f32_i32_e32 v121, v117
	;; [unrolled: 1-line block ×3, first 2 shown]
	v_mov_b32_e32 v115, 0
	v_dot4c_i32_i8_e32 v115, v200, v4
	v_dot4c_i32_i8_e32 v115, v197, v5
	v_pk_mul_f32 v[120:121], v[14:15], v[120:121] op_sel_hi:[0,1]
	v_pk_fma_f32 v[118:119], v[12:13], v[118:119], v[120:121] op_sel_hi:[0,1,1] neg_lo:[0,0,1] neg_hi:[0,0,1]
	v_mov_b32_e32 v120, 0
	v_dot4c_i32_i8_e32 v120, v203, v4
	v_dot4c_i32_i8_e32 v115, v198, v6
	;; [unrolled: 1-line block ×4, first 2 shown]
	v_pk_fma_f32 v[28:29], v[112:113], v[118:119], v[28:29]
	v_dot4c_i32_i8_e32 v120, v203, v6
	v_dot4c_i32_i8_e32 v120, v203, v7
	v_mul_lo_u32 v118, v115, v213
	v_mov_b32_e32 v115, 0
	v_dot4c_i32_i8_e32 v115, v193, v0
	v_dot4c_i32_i8_e32 v120, v211, v0
	;; [unrolled: 1-line block ×8, first 2 shown]
	v_mov_b32_e32 v217, 0
	s_nop 0
	v_mad_u64_u32 v[118:119], s[18:19], v115, v214, v[118:119]
	v_cvt_f32_i32_e32 v117, v118
	v_cvt_f32_i32_e32 v119, v120
	;; [unrolled: 1-line block ×3, first 2 shown]
	v_mov_b32_e32 v115, 0
	v_dot4c_i32_i8_e32 v115, v210, v4
	v_dot4c_i32_i8_e32 v115, v207, v5
	v_pk_mul_f32 v[118:119], v[110:111], v[118:119] op_sel_hi:[0,1]
	v_pk_fma_f32 v[116:117], v[108:109], v[116:117], v[118:119] op_sel_hi:[0,1,1] neg_lo:[0,0,1] neg_hi:[0,0,1]
	v_pk_fma_f32 v[26:27], v[112:113], v[116:117], v[26:27]
	v_mov_b32_e32 v116, 0
	v_dot4c_i32_i8_e32 v116, v212, v4
	v_dot4c_i32_i8_e32 v116, v212, v5
	;; [unrolled: 1-line block ×3, first 2 shown]
	v_mov_b32_e32 v5, 0
	v_dot4c_i32_i8_e32 v116, v212, v7
	v_dot4c_i32_i8_e32 v5, v181, v0
	;; [unrolled: 1-line block ×9, first 2 shown]
	v_mul_lo_u32 v4, v115, v215
	v_dot4c_i32_i8_e32 v5, v184, v3
	v_dot4c_i32_i8_e32 v116, v202, v3
	v_mov_b32_e32 v117, 0
	v_mov_b32_e32 v119, 0
	v_mad_u64_u32 v[0:1], s[18:19], v5, v206, v[4:5]
	v_cvt_f32_i32_e32 v115, v0
	v_cvt_f32_i32_e32 v1, v116
	;; [unrolled: 1-line block ×3, first 2 shown]
	v_pk_mul_f32 v[0:1], v[106:107], v[0:1] op_sel_hi:[0,1]
	v_pk_fma_f32 v[0:1], v[104:105], v[114:115], v[0:1] op_sel_hi:[0,1,1] neg_lo:[0,0,1] neg_hi:[0,0,1]
	v_pk_fma_f32 v[24:25], v[112:113], v[0:1], v[24:25]
	ds_read2_b32 v[112:113], v216 offset0:104 offset1:136
	ds_read_b128 v[4:7], v11 offset:23040
	ds_read_b128 v[0:3], v11 offset:23056
	v_mov_b32_e32 v114, 0
	v_mov_b32_e32 v115, 0
	;; [unrolled: 1-line block ×3, first 2 shown]
	s_waitcnt lgkmcnt(1)
	v_dot4c_i32_i8_e32 v114, v175, v4
	v_dot4c_i32_i8_e32 v114, v172, v5
	s_waitcnt lgkmcnt(0)
	v_dot4c_i32_i8_e32 v115, v15, v0
	v_dot4c_i32_i8_e32 v114, v173, v6
	;; [unrolled: 1-line block ×7, first 2 shown]
	v_mul_lo_u32 v114, v114, v191
	v_dot4c_i32_i8_e32 v217, v190, v4
	v_mad_u64_u32 v[114:115], s[18:19], v115, v192, v[114:115]
	v_cvt_f32_i32_e32 v120, v114
	v_mov_b32_e32 v114, 0
	v_dot4c_i32_i8_e32 v114, v188, v4
	v_mov_b32_e32 v115, 0
	v_dot4c_i32_i8_e32 v114, v185, v5
	v_dot4c_i32_i8_e32 v115, v177, v0
	;; [unrolled: 1-line block ×8, first 2 shown]
	v_mul_lo_u32 v114, v114, v204
	v_dot4c_i32_i8_e32 v216, v212, v4
	v_mad_u64_u32 v[114:115], s[18:19], v115, v205, v[114:115]
	v_cvt_f32_i32_e32 v118, v114
	v_mov_b32_e32 v114, 0
	v_dot4c_i32_i8_e32 v114, v200, v4
	v_mov_b32_e32 v115, 0
	v_dot4c_i32_i8_e32 v114, v197, v5
	v_dot4c_i32_i8_e32 v115, v193, v0
	;; [unrolled: 1-line block ×8, first 2 shown]
	v_mul_lo_u32 v114, v114, v213
	v_dot4c_i32_i8_e32 v217, v190, v5
	v_mad_u64_u32 v[114:115], s[18:19], v115, v214, v[114:115]
	v_cvt_f32_i32_e32 v116, v114
	v_mov_b32_e32 v114, 0
	v_dot4c_i32_i8_e32 v114, v210, v4
	v_dot4c_i32_i8_e32 v218, v203, v5
	;; [unrolled: 1-line block ×4, first 2 shown]
	v_mov_b32_e32 v5, 0
	v_dot4c_i32_i8_e32 v117, v176, v6
	v_dot4c_i32_i8_e32 v217, v190, v6
	;; [unrolled: 1-line block ×20, first 2 shown]
	v_mul_lo_u32 v4, v114, v215
	v_dot4c_i32_i8_e32 v216, v202, v1
	v_dot4c_i32_i8_e32 v5, v184, v3
	v_dot4c_i32_i8_e32 v117, v189, v2
	v_dot4c_i32_i8_e32 v217, v201, v2
	v_dot4c_i32_i8_e32 v218, v211, v2
	v_dot4c_i32_i8_e32 v216, v202, v2
	v_mad_u64_u32 v[0:1], s[18:19], v5, v206, v[4:5]
	v_dot4c_i32_i8_e32 v117, v189, v3
	v_dot4c_i32_i8_e32 v217, v201, v3
	;; [unrolled: 1-line block ×4, first 2 shown]
	v_cvt_f32_i32_e32 v114, v0
	ds_read_b128 v[4:7], v11 offset:24064
	ds_read_b128 v[0:3], v11 offset:24080
	v_mov_b32_e32 v115, 0
	s_waitcnt lgkmcnt(1)
	v_dot4c_i32_i8_e32 v115, v175, v4
	v_dot4c_i32_i8_e32 v115, v172, v5
	;; [unrolled: 1-line block ×8, first 2 shown]
	s_waitcnt lgkmcnt(0)
	v_dot4c_i32_i8_e32 v119, v189, v0
	v_mul_lo_u32 v172, v115, v191
	v_mov_b32_e32 v115, 0
	v_dot4c_i32_i8_e32 v115, v15, v0
	v_dot4c_i32_i8_e32 v115, v122, v1
	;; [unrolled: 1-line block ×7, first 2 shown]
	v_mov_b32_e32 v15, 0
	v_dot4c_i32_i8_e32 v15, v177, v0
	v_mad_u64_u32 v[122:123], s[18:19], v115, v192, v[172:173]
	v_cvt_f32_i32_e32 v121, v122
	v_cvt_f32_i32_e32 v123, v119
	;; [unrolled: 1-line block ×3, first 2 shown]
	v_dot4c_i32_i8_e32 v15, v178, v1
	v_dot4c_i32_i8_e32 v15, v179, v2
	;; [unrolled: 1-line block ×3, first 2 shown]
	v_pk_mul_f32 v[122:123], v[10:11], v[122:123] op_sel_hi:[0,1]
	v_mov_b32_e32 v10, 0
	v_dot4c_i32_i8_e32 v10, v190, v4
	v_pk_fma_f32 v[120:121], v[8:9], v[120:121], v[122:123] op_sel_hi:[0,1,1] neg_lo:[0,0,1] neg_hi:[0,0,1]
	v_mov_b32_e32 v8, 0
	v_dot4c_i32_i8_e32 v10, v190, v5
	v_dot4c_i32_i8_e32 v8, v188, v4
	;; [unrolled: 1-line block ×10, first 2 shown]
	v_pk_fma_f32 v[22:23], v[112:113], v[120:121], v[22:23]
	v_mul_lo_u32 v8, v8, v204
	v_dot4c_i32_i8_e32 v10, v201, v3
	v_mad_u64_u32 v[120:121], s[18:19], v15, v205, v[8:9]
	v_cvt_f32_i32_e32 v119, v120
	s_nop 0
	v_cvt_f32_i32_e32 v121, v10
	v_cvt_f32_i32_e32 v120, v217
	v_mov_b32_e32 v10, 0
	v_dot4c_i32_i8_e32 v10, v203, v4
	v_mov_b32_e32 v8, 0
	v_pk_mul_f32 v[14:15], v[14:15], v[120:121] op_sel_hi:[0,1]
	v_dot4c_i32_i8_e32 v10, v203, v5
	v_pk_fma_f32 v[14:15], v[12:13], v[118:119], v[14:15] op_sel_hi:[0,1,1] neg_lo:[0,0,1] neg_hi:[0,0,1]
	v_dot4c_i32_i8_e32 v8, v200, v4
	v_dot4c_i32_i8_e32 v10, v203, v6
	v_mov_b32_e32 v12, 0
	v_dot4c_i32_i8_e32 v8, v197, v5
	v_dot4c_i32_i8_e32 v10, v203, v7
	;; [unrolled: 1-line block ×10, first 2 shown]
	v_mul_lo_u32 v8, v8, v213
	v_dot4c_i32_i8_e32 v12, v196, v3
	v_pk_fma_f32 v[20:21], v[112:113], v[14:15], v[20:21]
	v_dot4c_i32_i8_e32 v10, v211, v3
	v_add_u32_e32 v13, 4, v13
	v_mad_u64_u32 v[14:15], s[18:19], v12, v214, v[8:9]
	s_nop 0
	v_cvt_f32_i32_e32 v15, v10
	v_mov_b32_e32 v10, 0
	v_mov_b32_e32 v8, 0
	v_dot4c_i32_i8_e32 v10, v212, v4
	v_dot4c_i32_i8_e32 v8, v210, v4
	;; [unrolled: 1-line block ×5, first 2 shown]
	v_mov_b32_e32 v5, 0
	v_dot4c_i32_i8_e32 v10, v212, v7
	v_dot4c_i32_i8_e32 v5, v181, v0
	;; [unrolled: 1-line block ×9, first 2 shown]
	v_mul_lo_u32 v4, v8, v215
	v_dot4c_i32_i8_e32 v5, v184, v3
	v_dot4c_i32_i8_e32 v10, v202, v3
	v_cvt_f32_i32_e32 v117, v14
	v_cvt_f32_i32_e32 v14, v218
	v_mad_u64_u32 v[0:1], s[18:19], v5, v206, v[4:5]
	v_cvt_f32_i32_e32 v115, v0
	v_cvt_f32_i32_e32 v1, v10
	;; [unrolled: 1-line block ×3, first 2 shown]
	v_pk_mul_f32 v[14:15], v[110:111], v[14:15] op_sel_hi:[0,1]
	v_pk_fma_f32 v[14:15], v[108:109], v[116:117], v[14:15] op_sel_hi:[0,1,1] neg_lo:[0,0,1] neg_hi:[0,0,1]
	v_pk_fma_f32 v[18:19], v[112:113], v[14:15], v[18:19]
	v_pk_mul_f32 v[0:1], v[106:107], v[0:1] op_sel_hi:[0,1]
	v_pk_fma_f32 v[0:1], v[104:105], v[114:115], v[0:1] op_sel_hi:[0,1,1] neg_lo:[0,0,1] neg_hi:[0,0,1]
	v_pk_fma_f32 v[16:17], v[112:113], v[0:1], v[16:17]
	v_add_u32_e32 v11, 32, v11
	s_cbranch_scc1 .LBB167_7
; %bb.8:                                ;   in Loop: Header=BB167_6 Depth=1
	v_add_u32_e32 v8, s9, v143
	v_add_u32_e32 v0, v8, v99
	;; [unrolled: 1-line block ×9, first 2 shown]
	v_mad_i64_i32 v[112:113], s[16:17], v8, 36, v[100:101]
	v_add_u32_e32 v8, 4, v9
	v_mad_i64_i32 v[0:1], s[16:17], v0, 36, v[100:101]
	v_mad_i64_i32 v[2:3], s[16:17], v2, 36, v[100:101]
	;; [unrolled: 1-line block ×4, first 2 shown]
	v_mad_u64_u32 v[114:115], s[16:17], v8, 36, s[2:3]
	s_barrier
	v_mad_i64_i32 v[10:11], s[16:17], v10, 36, v[100:101]
	v_mad_i64_i32 v[12:13], s[16:17], v12, 36, v[100:101]
	;; [unrolled: 1-line block ×3, first 2 shown]
	global_load_dword v8, v[114:115], off
	s_nop 0
	global_load_dword v0, v[0:1], off offset:4
	s_nop 0
	global_load_dword v1, v[2:3], off offset:4
	;; [unrolled: 2-line block ×3, first 2 shown]
	global_load_dword v3, v[6:7], off offset:4
	s_nop 0
	global_load_dword v4, v[10:11], off offset:4
	global_load_dword v5, v[12:13], off offset:4
	;; [unrolled: 1-line block ×4, first 2 shown]
	s_mov_b32 s15, 8
	s_mov_b32 s16, 0
	v_mov_b32_e32 v11, v160
	v_mov_b32_e32 v13, v159
	s_waitcnt vmcnt(8)
	v_cvt_f32_f16_e32 v8, v8
	s_waitcnt vmcnt(7)
	ds_write_b32 v105, v0
	s_waitcnt vmcnt(6)
	ds_write_b32 v109, v1
	;; [unrolled: 2-line block ×8, first 2 shown]
	ds_write_b32 v97, v8
	s_waitcnt lgkmcnt(0)
	s_barrier
.LBB167_9:                              ;   Parent Loop BB167_6 Depth=1
                                        ; =>  This Inner Loop Header: Depth=2
	s_add_i32 s17, s16, 8
	s_and_b32 s19, s17, 0x3ffffff8
	s_lshl_b32 s19, s19, 2
	v_add_u32_e32 v8, s19, v135
	ds_read2_b32 v[112:113], v13 offset1:32
	ds_read_b128 v[4:7], v11
	ds_read_b128 v[0:3], v11 offset:16
	ds_read2_b32 v[14:15], v8 offset1:1
	s_lshr_b32 s20, s17, 2
	s_and_b32 s18, s15, -16
	v_add_u32_e32 v104, s16, v148
	s_and_b32 s20, s20, 0x3ffffffc
	s_waitcnt lgkmcnt(0)
	v_ashrrev_i32_e32 v10, s16, v14
	v_and_b32_e32 v187, 0x3030303, v10
	v_ashrrev_i32_e32 v10, s16, v15
	ds_read2_b32 v[14:15], v8 offset0:2 offset1:3
	v_and_b32_e32 v184, 0x3030303, v10
	v_mov_b32_e32 v213, 0
	v_mov_b32_e32 v215, 0
	v_mov_b32_e32 v217, 0
	s_waitcnt lgkmcnt(0)
	v_ashrrev_i32_e32 v10, s16, v14
	v_and_b32_e32 v185, 0x3030303, v10
	v_ashrrev_i32_e32 v10, s16, v15
	ds_read2_b32 v[14:15], v8 offset0:4 offset1:5
	v_and_b32_e32 v186, 0x3030303, v10
	v_mov_b32_e32 v221, 0
	v_mov_b32_e32 v115, 0
	;; [unrolled: 1-line block ×3, first 2 shown]
	s_waitcnt lgkmcnt(0)
	v_ashrrev_i32_e32 v10, s16, v14
	v_and_b32_e32 v177, 0x3030303, v10
	v_ashrrev_i32_e32 v10, s16, v15
	ds_read2_b32 v[14:15], v8 offset0:6 offset1:7
	v_and_b32_e32 v178, 0x3030303, v10
	v_add_u32_e32 v10, s20, v136
	v_mov_b32_e32 v216, 0
	v_mov_b32_e32 v220, 0
	s_waitcnt lgkmcnt(0)
	v_ashrrev_i32_e32 v8, s16, v14
	v_and_b32_e32 v179, 0x3030303, v8
	v_ashrrev_i32_e32 v8, s16, v15
	v_and_b32_e32 v180, 0x3030303, v8
	v_add3_u32 v8, v158, s18, v104
	ds_read_b32 v10, v10
	ds_read_u16 v8, v8
	v_dot4c_i32_i8_e32 v115, v187, v4
	v_dot4c_i32_i8_e32 v115, v184, v5
	;; [unrolled: 1-line block ×3, first 2 shown]
	s_waitcnt lgkmcnt(1)
	v_cvt_f32_f16_sdwa v14, v10 dst_sel:DWORD dst_unused:UNUSED_PAD src0_sel:WORD_1
	s_waitcnt lgkmcnt(0)
	v_bfe_u32 v12, v8, 4, 4
	v_mul_lo_u32 v205, v12, s1
	v_and_b32_e32 v196, 15, v8
	v_lshrrev_b32_sdwa v12, v169, v8 dst_sel:DWORD dst_unused:UNUSED_PAD src0_sel:DWORD src1_sel:BYTE_1
	v_and_b32_sdwa v206, v8, v170 dst_sel:DWORD dst_unused:UNUSED_PAD src0_sel:BYTE_1 src1_sel:DWORD
	v_add_u32_e32 v8, s19, v137
	v_mul_lo_u32 v204, v12, s1
	v_mov_b32_e32 v12, 0
	ds_read2_b32 v[116:117], v8 offset1:1
	v_dot4c_i32_i8_e32 v12, v177, v0
	v_dot4c_i32_i8_e32 v12, v178, v1
	;; [unrolled: 1-line block ×7, first 2 shown]
	v_mul_lo_u32 v114, v206, v12
	v_cvt_f32_f16_e32 v12, v10
	s_waitcnt lgkmcnt(0)
	v_ashrrev_i32_e32 v10, s16, v116
	v_and_b32_e32 v201, 0x3030303, v10
	v_ashrrev_i32_e32 v10, s16, v117
	ds_read2_b32 v[116:117], v8 offset0:2 offset1:3
	v_and_b32_e32 v198, 0x3030303, v10
	v_dot4c_i32_i8_e32 v214, v201, v4
	v_dot4c_i32_i8_e32 v213, v205, v7
	;; [unrolled: 1-line block ×3, first 2 shown]
	s_waitcnt lgkmcnt(0)
	v_ashrrev_i32_e32 v10, s16, v116
	v_and_b32_e32 v199, 0x3030303, v10
	v_ashrrev_i32_e32 v10, s16, v117
	ds_read2_b32 v[116:117], v8 offset0:4 offset1:5
	v_and_b32_e32 v200, 0x3030303, v10
	v_dot4c_i32_i8_e32 v213, v204, v1
	v_dot4c_i32_i8_e32 v214, v198, v5
	;; [unrolled: 1-line block ×3, first 2 shown]
	s_waitcnt lgkmcnt(0)
	v_ashrrev_i32_e32 v10, s16, v116
	v_and_b32_e32 v191, 0x3030303, v10
	v_ashrrev_i32_e32 v10, s16, v117
	ds_read2_b32 v[116:117], v8 offset0:6 offset1:7
	v_and_b32_e32 v192, 0x3030303, v10
	v_add_u32_e32 v10, s20, v138
	v_dot4c_i32_i8_e32 v214, v199, v6
	v_dot4c_i32_i8_e32 v115, v186, v7
	s_waitcnt lgkmcnt(0)
	v_ashrrev_i32_e32 v8, s16, v116
	v_and_b32_e32 v193, 0x3030303, v8
	v_ashrrev_i32_e32 v8, s16, v117
	v_and_b32_e32 v194, 0x3030303, v8
	v_add3_u32 v8, v157, s18, v104
	ds_read_b32 v10, v10
	ds_read_u16 v8, v8
	v_dot4c_i32_i8_e32 v213, v204, v3
	v_dot4c_i32_i8_e32 v214, v200, v7
	v_mov_b32_e32 v222, 0
	s_waitcnt lgkmcnt(1)
	v_cvt_f32_f16_e32 v108, v10
	s_waitcnt lgkmcnt(0)
	v_bfe_u32 v15, v8, 4, 4
	v_mul_lo_u32 v203, v15, s1
	v_and_b32_e32 v209, 15, v8
	v_lshrrev_b32_sdwa v15, v169, v8 dst_sel:DWORD dst_unused:UNUSED_PAD src0_sel:DWORD src1_sel:BYTE_1
	v_and_b32_sdwa v212, v8, v170 dst_sel:DWORD dst_unused:UNUSED_PAD src0_sel:BYTE_1 src1_sel:DWORD
	v_add_u32_e32 v8, s19, v139
	ds_read2_b32 v[118:119], v8 offset1:1
	ds_read2_b32 v[120:121], v8 offset0:6 offset1:7
	v_cvt_f32_f16_sdwa v110, v10 dst_sel:DWORD dst_unused:UNUSED_PAD src0_sel:WORD_1
	v_mul_lo_u32 v211, v15, s1
	v_mov_b32_e32 v15, 0
	s_waitcnt lgkmcnt(1)
	v_ashrrev_i32_e32 v10, s16, v118
	v_and_b32_e32 v210, 0x3030303, v10
	v_ashrrev_i32_e32 v10, s16, v119
	ds_read2_b32 v[118:119], v8 offset0:2 offset1:3
	v_and_b32_e32 v122, 0x3030303, v10
	v_dot4c_i32_i8_e32 v15, v191, v0
	v_dot4c_i32_i8_e32 v15, v192, v1
	;; [unrolled: 1-line block ×3, first 2 shown]
	s_waitcnt lgkmcnt(0)
	v_ashrrev_i32_e32 v10, s16, v118
	v_and_b32_e32 v123, 0x3030303, v10
	v_ashrrev_i32_e32 v10, s16, v119
	ds_read2_b32 v[118:119], v8 offset0:4 offset1:5
	v_dot4c_i32_i8_e32 v15, v194, v3
	v_and_b32_e32 v171, 0x3030303, v10
	v_ashrrev_i32_e32 v8, s16, v120
	v_dot4c_i32_i8_e32 v215, v203, v4
	s_waitcnt lgkmcnt(0)
	v_ashrrev_i32_e32 v10, s16, v118
	v_mul_lo_u32 v116, v212, v15
	v_and_b32_e32 v15, 0x3030303, v10
	v_ashrrev_i32_e32 v10, s16, v119
	v_and_b32_e32 v119, 0x3030303, v8
	v_ashrrev_i32_e32 v8, s16, v121
	v_and_b32_e32 v117, 0x3030303, v10
	v_and_b32_e32 v121, 0x3030303, v8
	v_add3_u32 v8, v156, s18, v104
	v_add_u32_e32 v10, s20, v140
	ds_read_b32 v10, v10
	ds_read_u16 v8, v8
	v_add3_u32 v104, v155, s18, v104
	v_dot4c_i32_i8_e32 v215, v203, v5
	v_dot4c_i32_i8_e32 v216, v210, v4
	;; [unrolled: 1-line block ×3, first 2 shown]
	s_waitcnt lgkmcnt(0)
	v_bfe_u32 v106, v8, 4, 4
	v_mul_lo_u32 v176, v106, s1
	v_lshrrev_b32_sdwa v106, v169, v8 dst_sel:DWORD dst_unused:UNUSED_PAD src0_sel:DWORD src1_sel:BYTE_1
	v_mul_lo_u32 v195, v106, s1
	v_mov_b32_e32 v106, 0
	v_dot4c_i32_i8_e32 v106, v15, v0
	v_dot4c_i32_i8_e32 v106, v117, v1
	;; [unrolled: 1-line block ×4, first 2 shown]
	v_and_b32_sdwa v197, v8, v170 dst_sel:DWORD dst_unused:UNUSED_PAD src0_sel:BYTE_1 src1_sel:DWORD
	v_dot4c_i32_i8_e32 v217, v176, v4
	v_dot4c_i32_i8_e32 v217, v176, v5
	v_mul_lo_u32 v118, v197, v106
	v_add_u32_e32 v106, s19, v141
	ds_read2_b32 v[172:173], v106 offset1:1
	ds_read2_b32 v[174:175], v106 offset0:6 offset1:7
	v_dot4c_i32_i8_e32 v217, v176, v6
	v_dot4c_i32_i8_e32 v215, v203, v7
	;; [unrolled: 1-line block ×3, first 2 shown]
	s_waitcnt lgkmcnt(1)
	v_ashrrev_i32_e32 v120, s16, v172
	v_and_b32_e32 v189, 0x3030303, v120
	v_ashrrev_i32_e32 v120, s16, v173
	ds_read2_b32 v[172:173], v106 offset0:2 offset1:3
	v_and_b32_e32 v181, 0x3030303, v120
	v_dot4c_i32_i8_e32 v220, v189, v4
	v_dot4c_i32_i8_e32 v215, v211, v0
	;; [unrolled: 1-line block ×3, first 2 shown]
	s_waitcnt lgkmcnt(0)
	v_ashrrev_i32_e32 v120, s16, v172
	v_and_b32_e32 v182, 0x3030303, v120
	v_ashrrev_i32_e32 v120, s16, v173
	ds_read2_b32 v[172:173], v106 offset0:4 offset1:5
	v_ashrrev_i32_e32 v106, s16, v174
	v_and_b32_e32 v174, 0x3030303, v106
	v_ashrrev_i32_e32 v106, s16, v175
	v_and_b32_e32 v175, 0x3030303, v106
	v_add_u32_e32 v106, s20, v142
	ds_read_b32 v106, v106
	ds_read_u16 v104, v104
	v_and_b32_e32 v183, 0x3030303, v120
	s_waitcnt lgkmcnt(2)
	v_ashrrev_i32_e32 v120, s16, v172
	v_and_b32_e32 v172, 0x3030303, v120
	v_ashrrev_i32_e32 v120, s16, v173
	v_and_b32_e32 v173, 0x3030303, v120
	s_waitcnt lgkmcnt(0)
	v_bfe_u32 v120, v104, 4, 4
	v_mul_lo_u32 v190, v120, s1
	v_dot4c_i32_i8_e32 v221, v190, v4
	v_dot4c_i32_i8_e32 v221, v190, v5
	v_lshrrev_b32_sdwa v4, v169, v104 dst_sel:DWORD dst_unused:UNUSED_PAD src0_sel:DWORD src1_sel:BYTE_1
	v_dot4c_i32_i8_e32 v221, v190, v6
	v_mul_lo_u32 v207, v4, s1
	v_mov_b32_e32 v4, 0
	v_dot4c_i32_i8_e32 v221, v190, v7
	v_dot4c_i32_i8_e32 v4, v172, v0
	;; [unrolled: 1-line block ×16, first 2 shown]
	v_and_b32_sdwa v208, v104, v170 dst_sel:DWORD dst_unused:UNUSED_PAD src0_sel:BYTE_1 src1_sel:DWORD
	v_dot4c_i32_i8_e32 v215, v211, v3
	v_dot4c_i32_i8_e32 v216, v171, v7
	;; [unrolled: 1-line block ×5, first 2 shown]
	v_mul_lo_u32 v120, v208, v4
	ds_read_b128 v[4:7], v11 offset:1024
	ds_read_b128 v[0:3], v11 offset:1040
	v_mov_b32_e32 v218, 0
	v_mov_b32_e32 v219, 0
	v_mad_u64_u32 v[114:115], s[18:19], v196, v115, v[114:115]
	s_waitcnt lgkmcnt(1)
	v_dot4c_i32_i8_e32 v222, v205, v4
	v_dot4c_i32_i8_e32 v222, v205, v5
	;; [unrolled: 1-line block ×6, first 2 shown]
	s_waitcnt lgkmcnt(0)
	v_dot4c_i32_i8_e32 v219, v177, v0
	v_dot4c_i32_i8_e32 v218, v185, v6
	;; [unrolled: 1-line block ×8, first 2 shown]
	v_mul_lo_u32 v218, v218, v196
	v_dot4c_i32_i8_e32 v219, v180, v3
	v_dot4c_i32_i8_e32 v222, v204, v3
	v_cvt_f32_i32_e32 v115, v114
	v_cvt_f32_i32_e32 v215, v215
	v_mad_u64_u32 v[218:219], s[18:19], v219, v206, v[218:219]
	v_cvt_f32_i32_e32 v114, v218
	v_cvt_f32_i32_e32 v219, v213
	;; [unrolled: 1-line block ×3, first 2 shown]
	v_mov_b32_e32 v213, 0
	v_dot4c_i32_i8_e32 v213, v203, v4
	v_dot4c_i32_i8_e32 v213, v203, v5
	v_pk_mul_f32 v[218:219], v[14:15], v[218:219] op_sel_hi:[0,1]
	v_pk_fma_f32 v[218:219], v[12:13], v[114:115], v[218:219] op_sel_hi:[0,1,1] neg_lo:[0,0,1] neg_hi:[0,0,1]
	v_mov_b32_e32 v115, v112
	v_mov_b32_e32 v112, 0
	v_dot4c_i32_i8_e32 v213, v203, v6
	v_mov_b32_e32 v114, v113
	v_dot4c_i32_i8_e32 v112, v201, v4
	v_dot4c_i32_i8_e32 v213, v203, v7
	v_mov_b32_e32 v113, 0
	v_dot4c_i32_i8_e32 v112, v198, v5
	v_dot4c_i32_i8_e32 v113, v191, v0
	;; [unrolled: 1-line block ×10, first 2 shown]
	v_mul_lo_u32 v112, v112, v209
	v_dot4c_i32_i8_e32 v213, v211, v3
	v_pk_fma_f32 v[78:79], v[114:115], v[218:219], v[78:79]
	v_mad_u64_u32 v[112:113], s[18:19], v113, v212, v[112:113]
	v_mad_u64_u32 v[218:219], s[18:19], v209, v214, v[116:117]
	v_cvt_f32_i32_e32 v214, v213
	v_cvt_f32_i32_e32 v113, v218
	v_cvt_f32_i32_e32 v112, v112
	v_mov_b32_e32 v116, 0
	v_pk_mul_f32 v[214:215], v[110:111], v[214:215] op_sel_hi:[0,1]
	v_dot4c_i32_i8_e32 v116, v176, v4
	v_pk_fma_f32 v[112:113], v[108:109], v[112:113], v[214:215] op_sel_hi:[0,1,1] neg_lo:[0,0,1] neg_hi:[0,0,1]
	v_pk_fma_f32 v[86:87], v[114:115], v[112:113], v[86:87]
	v_mov_b32_e32 v112, 0
	v_dot4c_i32_i8_e32 v116, v176, v5
	v_dot4c_i32_i8_e32 v112, v210, v4
	;; [unrolled: 1-line block ×3, first 2 shown]
	v_mov_b32_e32 v113, 0
	v_dot4c_i32_i8_e32 v112, v122, v5
	v_dot4c_i32_i8_e32 v116, v176, v7
	;; [unrolled: 1-line block ×6, first 2 shown]
	v_and_b32_e32 v188, 15, v8
	v_dot4c_i32_i8_e32 v112, v171, v7
	v_dot4c_i32_i8_e32 v116, v195, v1
	;; [unrolled: 1-line block ×4, first 2 shown]
	v_mul_lo_u32 v112, v112, v188
	v_dot4c_i32_i8_e32 v113, v121, v3
	v_dot4c_i32_i8_e32 v116, v195, v3
	v_mad_u64_u32 v[214:215], s[18:19], v188, v216, v[118:119]
	s_nop 0
	v_mad_u64_u32 v[112:113], s[18:19], v113, v197, v[112:113]
	v_cvt_f32_f16_e32 v8, v10
	v_cvt_f32_f16_sdwa v10, v10 dst_sel:DWORD dst_unused:UNUSED_PAD src0_sel:WORD_1
	v_cvt_f32_i32_e32 v113, v214
	v_cvt_f32_i32_e32 v215, v217
	;; [unrolled: 1-line block ×4, first 2 shown]
	v_and_b32_e32 v202, 15, v104
	v_cvt_f32_f16_e32 v104, v106
	v_pk_mul_f32 v[214:215], v[10:11], v[214:215] op_sel_hi:[0,1]
	v_pk_fma_f32 v[112:113], v[8:9], v[112:113], v[214:215] op_sel_hi:[0,1,1] neg_lo:[0,0,1] neg_hi:[0,0,1]
	v_pk_fma_f32 v[74:75], v[114:115], v[112:113], v[74:75]
	v_mov_b32_e32 v113, 0
	v_mov_b32_e32 v112, 0
	v_dot4c_i32_i8_e32 v113, v190, v4
	v_dot4c_i32_i8_e32 v112, v189, v4
	;; [unrolled: 1-line block ×5, first 2 shown]
	v_mov_b32_e32 v5, 0
	v_dot4c_i32_i8_e32 v113, v190, v7
	v_dot4c_i32_i8_e32 v5, v172, v0
	;; [unrolled: 1-line block ×9, first 2 shown]
	v_mul_lo_u32 v4, v112, v202
	v_dot4c_i32_i8_e32 v5, v175, v3
	v_dot4c_i32_i8_e32 v113, v207, v3
	v_mad_u64_u32 v[2:3], s[18:19], v202, v220, v[120:121]
	s_nop 0
	v_mad_u64_u32 v[0:1], s[18:19], v5, v208, v[4:5]
	v_cvt_f32_f16_sdwa v106, v106 dst_sel:DWORD dst_unused:UNUSED_PAD src0_sel:WORD_1
	v_cvt_f32_i32_e32 v1, v2
	v_cvt_f32_i32_e32 v3, v221
	;; [unrolled: 1-line block ×4, first 2 shown]
	v_mov_b32_e32 v213, 0
	v_mov_b32_e32 v219, 0
	v_pk_mul_f32 v[2:3], v[106:107], v[2:3] op_sel_hi:[0,1]
	v_pk_fma_f32 v[0:1], v[104:105], v[0:1], v[2:3] op_sel_hi:[0,1,1] neg_lo:[0,0,1] neg_hi:[0,0,1]
	v_pk_fma_f32 v[56:57], v[114:115], v[0:1], v[56:57]
	ds_read2_b32 v[112:113], v13 offset0:64 offset1:96
	ds_read_b128 v[0:3], v11 offset:2048
	ds_read_b128 v[4:7], v11 offset:2064
	v_mov_b32_e32 v114, 0
	v_mov_b32_e32 v221, 0
	;; [unrolled: 1-line block ×3, first 2 shown]
	s_waitcnt lgkmcnt(1)
	v_dot4c_i32_i8_e32 v213, v205, v0
	s_waitcnt lgkmcnt(0)
	v_dot4c_i32_i8_e32 v114, v177, v4
	v_dot4c_i32_i8_e32 v114, v178, v5
	;; [unrolled: 1-line block ×7, first 2 shown]
	v_mul_lo_u32 v120, v114, v206
	v_mov_b32_e32 v114, 0
	v_dot4c_i32_i8_e32 v114, v191, v4
	v_dot4c_i32_i8_e32 v114, v192, v5
	v_dot4c_i32_i8_e32 v114, v193, v6
	v_mov_b32_e32 v115, 0
	v_dot4c_i32_i8_e32 v213, v205, v1
	v_mov_b32_e32 v218, 0
	v_dot4c_i32_i8_e32 v219, v203, v1
	v_dot4c_i32_i8_e32 v114, v194, v7
	v_mov_b32_e32 v220, 0
	v_dot4c_i32_i8_e32 v221, v176, v1
	v_mov_b32_e32 v222, 0
	v_dot4c_i32_i8_e32 v223, v190, v1
	v_dot4c_i32_i8_e32 v115, v187, v0
	;; [unrolled: 1-line block ×5, first 2 shown]
	v_mul_lo_u32 v118, v114, v212
	v_dot4c_i32_i8_e32 v220, v210, v0
	v_dot4c_i32_i8_e32 v221, v176, v2
	v_mov_b32_e32 v114, 0
	v_dot4c_i32_i8_e32 v222, v189, v0
	v_dot4c_i32_i8_e32 v223, v190, v2
	v_mov_b32_e32 v0, 0
	v_dot4c_i32_i8_e32 v213, v205, v3
	v_dot4c_i32_i8_e32 v219, v203, v3
	;; [unrolled: 1-line block ×38, first 2 shown]
	v_mul_lo_u32 v116, v114, v197
	v_dot4c_i32_i8_e32 v222, v183, v3
	v_dot4c_i32_i8_e32 v223, v207, v7
	v_mul_lo_u32 v114, v0, v208
	ds_read_b128 v[4:7], v11 offset:3072
	ds_read_b128 v[0:3], v11 offset:3088
	v_mov_b32_e32 v224, 0
	v_mov_b32_e32 v214, 0
	;; [unrolled: 1-line block ×3, first 2 shown]
	s_waitcnt lgkmcnt(1)
	v_dot4c_i32_i8_e32 v224, v205, v4
	v_dot4c_i32_i8_e32 v214, v187, v4
	;; [unrolled: 1-line block ×5, first 2 shown]
	s_waitcnt lgkmcnt(0)
	v_dot4c_i32_i8_e32 v215, v177, v0
	v_dot4c_i32_i8_e32 v214, v185, v6
	;; [unrolled: 1-line block ×4, first 2 shown]
	v_mad_u64_u32 v[216:217], s[18:19], v115, v196, v[120:121]
	v_mov_b32_e32 v115, 0
	v_dot4c_i32_i8_e32 v214, v186, v7
	v_dot4c_i32_i8_e32 v224, v204, v0
	v_dot4c_i32_i8_e32 v215, v179, v2
	v_dot4c_i32_i8_e32 v115, v201, v4
	v_mul_lo_u32 v214, v214, v196
	v_dot4c_i32_i8_e32 v224, v204, v1
	v_dot4c_i32_i8_e32 v215, v180, v3
	;; [unrolled: 1-line block ×5, first 2 shown]
	v_mad_u64_u32 v[214:215], s[18:19], v215, v206, v[214:215]
	v_dot4c_i32_i8_e32 v224, v204, v3
	v_cvt_f32_i32_e32 v215, v214
	v_cvt_f32_i32_e32 v214, v216
	;; [unrolled: 1-line block ×3, first 2 shown]
	v_mov_b32_e32 v213, 0
	v_dot4c_i32_i8_e32 v115, v200, v7
	v_cvt_f32_i32_e32 v217, v224
	v_dot4c_i32_i8_e32 v213, v203, v4
	v_dot4c_i32_i8_e32 v213, v203, v5
	v_mul_lo_u32 v120, v115, v209
	v_mov_b32_e32 v115, 0
	v_dot4c_i32_i8_e32 v115, v191, v0
	v_dot4c_i32_i8_e32 v213, v203, v6
	;; [unrolled: 1-line block ×5, first 2 shown]
	v_pk_mul_f32 v[216:217], v[14:15], v[216:217] op_sel_hi:[0,1]
	v_dot4c_i32_i8_e32 v213, v211, v0
	v_dot4c_i32_i8_e32 v115, v194, v3
	v_pk_fma_f32 v[214:215], v[12:13], v[214:215], v[216:217] op_sel_hi:[0,1,1] neg_lo:[0,0,1] neg_hi:[0,0,1]
	v_dot4c_i32_i8_e32 v213, v211, v1
	v_dot4c_i32_i8_e32 v213, v211, v2
	v_mad_u64_u32 v[216:217], s[18:19], v115, v212, v[120:121]
	v_mov_b32_e32 v115, 0
	v_dot4c_i32_i8_e32 v115, v210, v4
	v_pk_fma_f32 v[38:39], v[112:113], v[214:215], v[38:39]
	v_dot4c_i32_i8_e32 v213, v211, v3
	v_mad_u64_u32 v[214:215], s[18:19], v218, v209, v[118:119]
	v_dot4c_i32_i8_e32 v115, v122, v5
	v_cvt_f32_i32_e32 v215, v216
	v_cvt_f32_i32_e32 v217, v213
	;; [unrolled: 1-line block ×3, first 2 shown]
	v_dot4c_i32_i8_e32 v115, v123, v6
	v_cvt_f32_i32_e32 v214, v214
	v_dot4c_i32_i8_e32 v115, v171, v7
	v_pk_mul_f32 v[216:217], v[110:111], v[216:217] op_sel_hi:[0,1]
	v_mov_b32_e32 v120, 0
	v_pk_fma_f32 v[214:215], v[108:109], v[214:215], v[216:217] op_sel_hi:[0,1,1] neg_lo:[0,0,1] neg_hi:[0,0,1]
	v_mul_lo_u32 v118, v115, v188
	v_mov_b32_e32 v115, 0
	v_dot4c_i32_i8_e32 v115, v15, v0
	v_dot4c_i32_i8_e32 v115, v117, v1
	;; [unrolled: 1-line block ×3, first 2 shown]
	v_pk_fma_f32 v[36:37], v[112:113], v[214:215], v[36:37]
	v_dot4c_i32_i8_e32 v115, v121, v3
	v_mad_u64_u32 v[214:215], s[18:19], v220, v188, v[116:117]
	v_mov_b32_e32 v116, 0
	v_dot4c_i32_i8_e32 v120, v176, v4
	v_mad_u64_u32 v[216:217], s[18:19], v115, v197, v[118:119]
	v_mov_b32_e32 v115, 0
	v_dot4c_i32_i8_e32 v116, v190, v4
	v_dot4c_i32_i8_e32 v120, v176, v5
	v_dot4c_i32_i8_e32 v115, v189, v4
	v_dot4c_i32_i8_e32 v116, v190, v5
	v_dot4c_i32_i8_e32 v120, v176, v6
	v_dot4c_i32_i8_e32 v115, v181, v5
	v_dot4c_i32_i8_e32 v116, v190, v6
	v_mov_b32_e32 v5, 0
	v_dot4c_i32_i8_e32 v120, v176, v7
	v_dot4c_i32_i8_e32 v116, v190, v7
	;; [unrolled: 1-line block ×12, first 2 shown]
	v_mul_lo_u32 v4, v115, v202
	v_dot4c_i32_i8_e32 v116, v207, v2
	v_dot4c_i32_i8_e32 v5, v175, v3
	;; [unrolled: 1-line block ×4, first 2 shown]
	v_mad_u64_u32 v[0:1], s[18:19], v222, v202, v[114:115]
	v_mad_u64_u32 v[2:3], s[18:19], v5, v208, v[4:5]
	v_cvt_f32_i32_e32 v215, v216
	v_cvt_f32_i32_e32 v217, v120
	;; [unrolled: 1-line block ×8, first 2 shown]
	v_pk_mul_f32 v[216:217], v[10:11], v[216:217] op_sel_hi:[0,1]
	v_pk_mul_f32 v[2:3], v[106:107], v[2:3] op_sel_hi:[0,1]
	v_pk_fma_f32 v[214:215], v[8:9], v[214:215], v[216:217] op_sel_hi:[0,1,1] neg_lo:[0,0,1] neg_hi:[0,0,1]
	v_pk_fma_f32 v[0:1], v[104:105], v[0:1], v[2:3] op_sel_hi:[0,1,1] neg_lo:[0,0,1] neg_hi:[0,0,1]
	v_pk_fma_f32 v[34:35], v[112:113], v[214:215], v[34:35]
	v_pk_fma_f32 v[32:33], v[112:113], v[0:1], v[32:33]
	ds_read2_b32 v[112:113], v13 offset0:128 offset1:160
	ds_read_b128 v[0:3], v11 offset:4096
	ds_read_b128 v[4:7], v11 offset:4112
	v_mov_b32_e32 v114, 0
	v_mov_b32_e32 v213, 0
	;; [unrolled: 1-line block ×4, first 2 shown]
	s_waitcnt lgkmcnt(0)
	v_dot4c_i32_i8_e32 v114, v177, v4
	v_dot4c_i32_i8_e32 v114, v178, v5
	v_dot4c_i32_i8_e32 v114, v179, v6
	v_dot4c_i32_i8_e32 v114, v180, v7
	v_mov_b32_e32 v223, 0
	v_dot4c_i32_i8_e32 v213, v205, v0
	v_dot4c_i32_i8_e32 v219, v203, v0
	v_mul_lo_u32 v120, v114, v206
	v_mov_b32_e32 v114, 0
	v_dot4c_i32_i8_e32 v114, v191, v4
	v_dot4c_i32_i8_e32 v114, v192, v5
	v_dot4c_i32_i8_e32 v114, v193, v6
	v_dot4c_i32_i8_e32 v221, v176, v0
	v_dot4c_i32_i8_e32 v223, v190, v0
	v_mov_b32_e32 v115, 0
	v_dot4c_i32_i8_e32 v213, v205, v1
	v_mov_b32_e32 v218, 0
	v_dot4c_i32_i8_e32 v219, v203, v1
	v_dot4c_i32_i8_e32 v114, v194, v7
	v_mov_b32_e32 v220, 0
	v_dot4c_i32_i8_e32 v221, v176, v1
	v_mov_b32_e32 v222, 0
	v_dot4c_i32_i8_e32 v223, v190, v1
	v_dot4c_i32_i8_e32 v115, v187, v0
	;; [unrolled: 1-line block ×5, first 2 shown]
	v_mul_lo_u32 v118, v114, v212
	v_dot4c_i32_i8_e32 v220, v210, v0
	v_dot4c_i32_i8_e32 v221, v176, v2
	v_mov_b32_e32 v114, 0
	v_dot4c_i32_i8_e32 v222, v189, v0
	v_dot4c_i32_i8_e32 v223, v190, v2
	v_mov_b32_e32 v0, 0
	v_dot4c_i32_i8_e32 v213, v205, v3
	v_dot4c_i32_i8_e32 v219, v203, v3
	;; [unrolled: 1-line block ×38, first 2 shown]
	v_mul_lo_u32 v116, v114, v197
	v_dot4c_i32_i8_e32 v222, v183, v3
	v_dot4c_i32_i8_e32 v223, v207, v7
	v_mul_lo_u32 v114, v0, v208
	ds_read_b128 v[4:7], v11 offset:5120
	ds_read_b128 v[0:3], v11 offset:5136
	v_mov_b32_e32 v224, 0
	v_mov_b32_e32 v214, 0
	;; [unrolled: 1-line block ×3, first 2 shown]
	s_waitcnt lgkmcnt(1)
	v_dot4c_i32_i8_e32 v224, v205, v4
	v_dot4c_i32_i8_e32 v214, v187, v4
	v_dot4c_i32_i8_e32 v224, v205, v5
	v_dot4c_i32_i8_e32 v214, v184, v5
	v_dot4c_i32_i8_e32 v224, v205, v6
	s_waitcnt lgkmcnt(0)
	v_dot4c_i32_i8_e32 v215, v177, v0
	v_dot4c_i32_i8_e32 v214, v185, v6
	;; [unrolled: 1-line block ×4, first 2 shown]
	v_mad_u64_u32 v[216:217], s[18:19], v115, v196, v[120:121]
	v_mov_b32_e32 v115, 0
	v_dot4c_i32_i8_e32 v214, v186, v7
	v_dot4c_i32_i8_e32 v224, v204, v0
	;; [unrolled: 1-line block ×4, first 2 shown]
	v_mul_lo_u32 v214, v214, v196
	v_dot4c_i32_i8_e32 v224, v204, v1
	v_dot4c_i32_i8_e32 v215, v180, v3
	;; [unrolled: 1-line block ×5, first 2 shown]
	v_mad_u64_u32 v[214:215], s[18:19], v215, v206, v[214:215]
	v_dot4c_i32_i8_e32 v224, v204, v3
	v_cvt_f32_i32_e32 v215, v214
	v_cvt_f32_i32_e32 v214, v216
	;; [unrolled: 1-line block ×3, first 2 shown]
	v_mov_b32_e32 v213, 0
	v_dot4c_i32_i8_e32 v115, v200, v7
	v_cvt_f32_i32_e32 v217, v224
	v_dot4c_i32_i8_e32 v213, v203, v4
	v_dot4c_i32_i8_e32 v213, v203, v5
	v_mul_lo_u32 v120, v115, v209
	v_mov_b32_e32 v115, 0
	v_dot4c_i32_i8_e32 v115, v191, v0
	v_dot4c_i32_i8_e32 v213, v203, v6
	;; [unrolled: 1-line block ×5, first 2 shown]
	v_pk_mul_f32 v[216:217], v[14:15], v[216:217] op_sel_hi:[0,1]
	v_dot4c_i32_i8_e32 v213, v211, v0
	v_dot4c_i32_i8_e32 v115, v194, v3
	v_pk_fma_f32 v[214:215], v[12:13], v[214:215], v[216:217] op_sel_hi:[0,1,1] neg_lo:[0,0,1] neg_hi:[0,0,1]
	v_dot4c_i32_i8_e32 v213, v211, v1
	v_dot4c_i32_i8_e32 v213, v211, v2
	v_mad_u64_u32 v[216:217], s[18:19], v115, v212, v[120:121]
	v_mov_b32_e32 v115, 0
	v_dot4c_i32_i8_e32 v115, v210, v4
	v_pk_fma_f32 v[30:31], v[112:113], v[214:215], v[30:31]
	v_dot4c_i32_i8_e32 v213, v211, v3
	v_mad_u64_u32 v[214:215], s[18:19], v218, v209, v[118:119]
	v_dot4c_i32_i8_e32 v115, v122, v5
	v_cvt_f32_i32_e32 v215, v216
	v_cvt_f32_i32_e32 v217, v213
	;; [unrolled: 1-line block ×3, first 2 shown]
	v_dot4c_i32_i8_e32 v115, v123, v6
	v_cvt_f32_i32_e32 v214, v214
	v_dot4c_i32_i8_e32 v115, v171, v7
	v_pk_mul_f32 v[216:217], v[110:111], v[216:217] op_sel_hi:[0,1]
	v_mov_b32_e32 v120, 0
	v_pk_fma_f32 v[214:215], v[108:109], v[214:215], v[216:217] op_sel_hi:[0,1,1] neg_lo:[0,0,1] neg_hi:[0,0,1]
	v_mul_lo_u32 v118, v115, v188
	v_mov_b32_e32 v115, 0
	v_dot4c_i32_i8_e32 v115, v15, v0
	v_dot4c_i32_i8_e32 v115, v117, v1
	;; [unrolled: 1-line block ×3, first 2 shown]
	v_pk_fma_f32 v[28:29], v[112:113], v[214:215], v[28:29]
	v_dot4c_i32_i8_e32 v115, v121, v3
	v_mad_u64_u32 v[214:215], s[18:19], v220, v188, v[116:117]
	v_mov_b32_e32 v116, 0
	v_dot4c_i32_i8_e32 v120, v176, v4
	v_mad_u64_u32 v[216:217], s[18:19], v115, v197, v[118:119]
	v_mov_b32_e32 v115, 0
	v_dot4c_i32_i8_e32 v116, v190, v4
	v_dot4c_i32_i8_e32 v120, v176, v5
	v_dot4c_i32_i8_e32 v115, v189, v4
	v_dot4c_i32_i8_e32 v116, v190, v5
	v_dot4c_i32_i8_e32 v120, v176, v6
	v_dot4c_i32_i8_e32 v115, v181, v5
	v_dot4c_i32_i8_e32 v116, v190, v6
	v_mov_b32_e32 v5, 0
	v_dot4c_i32_i8_e32 v120, v176, v7
	v_dot4c_i32_i8_e32 v116, v190, v7
	;; [unrolled: 1-line block ×12, first 2 shown]
	v_mul_lo_u32 v4, v115, v202
	v_dot4c_i32_i8_e32 v116, v207, v2
	v_dot4c_i32_i8_e32 v5, v175, v3
	;; [unrolled: 1-line block ×4, first 2 shown]
	v_mad_u64_u32 v[0:1], s[18:19], v222, v202, v[114:115]
	v_mad_u64_u32 v[2:3], s[18:19], v5, v208, v[4:5]
	v_cvt_f32_i32_e32 v215, v216
	v_cvt_f32_i32_e32 v217, v120
	;; [unrolled: 1-line block ×8, first 2 shown]
	v_pk_mul_f32 v[216:217], v[10:11], v[216:217] op_sel_hi:[0,1]
	v_pk_mul_f32 v[2:3], v[106:107], v[2:3] op_sel_hi:[0,1]
	v_pk_fma_f32 v[214:215], v[8:9], v[214:215], v[216:217] op_sel_hi:[0,1,1] neg_lo:[0,0,1] neg_hi:[0,0,1]
	v_pk_fma_f32 v[0:1], v[104:105], v[0:1], v[2:3] op_sel_hi:[0,1,1] neg_lo:[0,0,1] neg_hi:[0,0,1]
	v_pk_fma_f32 v[26:27], v[112:113], v[214:215], v[26:27]
	v_pk_fma_f32 v[24:25], v[112:113], v[0:1], v[24:25]
	ds_read2_b32 v[112:113], v13 offset0:192 offset1:224
	ds_read_b128 v[0:3], v11 offset:6144
	ds_read_b128 v[4:7], v11 offset:6160
	v_mov_b32_e32 v114, 0
	v_mov_b32_e32 v217, 0
	;; [unrolled: 1-line block ×4, first 2 shown]
	s_waitcnt lgkmcnt(0)
	v_dot4c_i32_i8_e32 v114, v177, v4
	v_dot4c_i32_i8_e32 v114, v178, v5
	;; [unrolled: 1-line block ×4, first 2 shown]
	v_mov_b32_e32 v115, 0
	v_dot4c_i32_i8_e32 v217, v205, v0
	v_dot4c_i32_i8_e32 v219, v203, v0
	v_mul_lo_u32 v120, v114, v206
	v_mov_b32_e32 v114, 0
	v_dot4c_i32_i8_e32 v114, v191, v4
	v_dot4c_i32_i8_e32 v114, v192, v5
	;; [unrolled: 1-line block ×5, first 2 shown]
	v_mov_b32_e32 v216, 0
	v_dot4c_i32_i8_e32 v217, v205, v1
	v_mov_b32_e32 v218, 0
	v_dot4c_i32_i8_e32 v219, v203, v1
	v_dot4c_i32_i8_e32 v114, v194, v7
	v_mov_b32_e32 v215, 0
	v_dot4c_i32_i8_e32 v214, v176, v1
	v_mov_b32_e32 v213, 0
	v_dot4c_i32_i8_e32 v115, v190, v1
	v_dot4c_i32_i8_e32 v216, v187, v0
	v_dot4c_i32_i8_e32 v217, v205, v2
	v_dot4c_i32_i8_e32 v218, v201, v0
	v_dot4c_i32_i8_e32 v219, v203, v2
	v_mul_lo_u32 v118, v114, v212
	v_dot4c_i32_i8_e32 v215, v210, v0
	v_dot4c_i32_i8_e32 v214, v176, v2
	v_mov_b32_e32 v114, 0
	v_dot4c_i32_i8_e32 v213, v189, v0
	v_dot4c_i32_i8_e32 v115, v190, v2
	v_mov_b32_e32 v0, 0
	v_dot4c_i32_i8_e32 v217, v205, v3
	v_dot4c_i32_i8_e32 v219, v203, v3
	;; [unrolled: 1-line block ×38, first 2 shown]
	v_mul_lo_u32 v116, v114, v197
	v_dot4c_i32_i8_e32 v213, v183, v3
	v_dot4c_i32_i8_e32 v115, v207, v7
	v_mul_lo_u32 v114, v0, v208
	ds_read_b128 v[4:7], v11 offset:7168
	ds_read_b128 v[0:3], v11 offset:7184
	v_mov_b32_e32 v220, 0
	s_add_i32 s15, s15, 2
	s_add_i32 s16, s16, 2
	s_waitcnt lgkmcnt(1)
	v_dot4c_i32_i8_e32 v220, v187, v4
	v_mov_b32_e32 v187, 0
	v_dot4c_i32_i8_e32 v187, v205, v4
	v_dot4c_i32_i8_e32 v220, v184, v5
	;; [unrolled: 1-line block ×5, first 2 shown]
	v_mov_b32_e32 v185, 0
	v_dot4c_i32_i8_e32 v187, v205, v7
	s_waitcnt lgkmcnt(0)
	v_dot4c_i32_i8_e32 v185, v177, v0
	v_dot4c_i32_i8_e32 v187, v204, v0
	;; [unrolled: 1-line block ×7, first 2 shown]
	v_mul_lo_u32 v184, v220, v196
	v_dot4c_i32_i8_e32 v185, v180, v3
	v_dot4c_i32_i8_e32 v187, v204, v3
	v_mad_u64_u32 v[178:179], s[18:19], v216, v196, v[120:121]
	s_nop 0
	v_mad_u64_u32 v[184:185], s[18:19], v185, v206, v[184:185]
	v_cvt_f32_i32_e32 v179, v184
	v_cvt_f32_i32_e32 v185, v187
	v_cvt_f32_i32_e32 v184, v217
	v_cvt_f32_i32_e32 v178, v178
	v_mov_b32_e32 v120, 0
	v_dot4c_i32_i8_e32 v120, v191, v0
	v_pk_mul_f32 v[184:185], v[14:15], v[184:185] op_sel_hi:[0,1]
	v_mov_b32_e32 v14, 0
	v_dot4c_i32_i8_e32 v14, v203, v4
	v_pk_fma_f32 v[178:179], v[12:13], v[178:179], v[184:185] op_sel_hi:[0,1,1] neg_lo:[0,0,1] neg_hi:[0,0,1]
	v_mov_b32_e32 v12, 0
	v_dot4c_i32_i8_e32 v14, v203, v5
	v_dot4c_i32_i8_e32 v12, v201, v4
	;; [unrolled: 1-line block ×12, first 2 shown]
	v_mul_lo_u32 v12, v12, v209
	v_dot4c_i32_i8_e32 v120, v194, v3
	v_pk_fma_f32 v[22:23], v[112:113], v[178:179], v[22:23]
	v_dot4c_i32_i8_e32 v14, v211, v3
	v_mad_u64_u32 v[178:179], s[18:19], v218, v209, v[118:119]
	v_mad_u64_u32 v[184:185], s[18:19], v120, v212, v[12:13]
	v_cvt_f32_i32_e32 v179, v184
	v_cvt_f32_i32_e32 v185, v14
	;; [unrolled: 1-line block ×4, first 2 shown]
	v_mov_b32_e32 v12, 0
	v_dot4c_i32_i8_e32 v12, v210, v4
	v_pk_mul_f32 v[184:185], v[110:111], v[184:185] op_sel_hi:[0,1]
	v_pk_fma_f32 v[178:179], v[108:109], v[178:179], v[184:185] op_sel_hi:[0,1,1] neg_lo:[0,0,1] neg_hi:[0,0,1]
	v_mov_b32_e32 v108, 0
	v_dot4c_i32_i8_e32 v108, v176, v4
	v_dot4c_i32_i8_e32 v108, v176, v5
	;; [unrolled: 1-line block ×3, first 2 shown]
	v_mov_b32_e32 v110, 0
	v_dot4c_i32_i8_e32 v12, v122, v5
	v_dot4c_i32_i8_e32 v108, v176, v7
	;; [unrolled: 1-line block ×10, first 2 shown]
	v_mul_lo_u32 v12, v12, v188
	v_dot4c_i32_i8_e32 v110, v121, v3
	v_dot4c_i32_i8_e32 v108, v195, v3
	v_mad_u64_u32 v[14:15], s[18:19], v215, v188, v[116:117]
	s_nop 0
	v_mad_u64_u32 v[116:117], s[18:19], v110, v197, v[12:13]
	v_cvt_f32_i32_e32 v15, v116
	v_cvt_f32_i32_e32 v117, v108
	;; [unrolled: 1-line block ×4, first 2 shown]
	v_pk_fma_f32 v[20:21], v[112:113], v[178:179], v[20:21]
	v_add_u32_e32 v13, 4, v13
	v_pk_mul_f32 v[116:117], v[10:11], v[116:117] op_sel_hi:[0,1]
	v_mov_b32_e32 v10, 0
	v_pk_fma_f32 v[14:15], v[8:9], v[14:15], v[116:117] op_sel_hi:[0,1,1] neg_lo:[0,0,1] neg_hi:[0,0,1]
	v_mov_b32_e32 v8, 0
	v_dot4c_i32_i8_e32 v10, v190, v4
	v_dot4c_i32_i8_e32 v8, v189, v4
	;; [unrolled: 1-line block ×5, first 2 shown]
	v_mov_b32_e32 v5, 0
	v_dot4c_i32_i8_e32 v10, v190, v7
	v_dot4c_i32_i8_e32 v5, v172, v0
	;; [unrolled: 1-line block ×9, first 2 shown]
	v_mul_lo_u32 v4, v8, v202
	v_dot4c_i32_i8_e32 v5, v175, v3
	v_dot4c_i32_i8_e32 v10, v207, v3
	v_mad_u64_u32 v[0:1], s[18:19], v213, v202, v[114:115]
	s_nop 0
	v_mad_u64_u32 v[2:3], s[18:19], v5, v208, v[4:5]
	v_cvt_f32_i32_e32 v1, v2
	v_cvt_f32_i32_e32 v3, v10
	;; [unrolled: 1-line block ×4, first 2 shown]
	v_pk_fma_f32 v[18:19], v[112:113], v[14:15], v[18:19]
	v_add_u32_e32 v11, 32, v11
	v_pk_mul_f32 v[2:3], v[106:107], v[2:3] op_sel_hi:[0,1]
	v_pk_fma_f32 v[0:1], v[104:105], v[0:1], v[2:3] op_sel_hi:[0,1,1] neg_lo:[0,0,1] neg_hi:[0,0,1]
	v_pk_fma_f32 v[16:17], v[112:113], v[0:1], v[16:17]
	s_cmp_lt_u32 s17, 14
	s_cbranch_scc1 .LBB167_9
; %bb.10:                               ;   in Loop: Header=BB167_6 Depth=1
	s_or_b32 s15, s0, 1
	s_cmp_ge_i32 s15, s4
	s_barrier
	s_cbranch_scc1 .LBB167_5
; %bb.11:                               ;   in Loop: Header=BB167_6 Depth=1
	v_add_u32_e32 v8, s9, v144
	v_add_u32_e32 v0, v8, v99
	;; [unrolled: 1-line block ×9, first 2 shown]
	v_mad_i64_i32 v[112:113], s[16:17], v8, 36, v[100:101]
	v_add_u32_e32 v8, 8, v9
	v_mad_i64_i32 v[0:1], s[16:17], v0, 36, v[100:101]
	v_mad_i64_i32 v[2:3], s[16:17], v2, 36, v[100:101]
	v_mad_i64_i32 v[4:5], s[16:17], v4, 36, v[100:101]
	v_mad_i64_i32 v[6:7], s[16:17], v6, 36, v[100:101]
	v_mad_u64_u32 v[114:115], s[16:17], v8, 36, s[2:3]
	v_mad_i64_i32 v[10:11], s[16:17], v10, 36, v[100:101]
	v_mad_i64_i32 v[12:13], s[16:17], v12, 36, v[100:101]
	;; [unrolled: 1-line block ×3, first 2 shown]
	global_load_dword v8, v[114:115], off
	s_nop 0
	global_load_dword v0, v[0:1], off offset:4
	s_nop 0
	global_load_dword v1, v[2:3], off offset:4
	;; [unrolled: 2-line block ×3, first 2 shown]
	global_load_dword v3, v[6:7], off offset:4
	s_nop 0
	global_load_dword v4, v[10:11], off offset:4
	global_load_dword v5, v[12:13], off offset:4
	;; [unrolled: 1-line block ×4, first 2 shown]
	s_mov_b32 s15, 16
	s_mov_b32 s17, 14
	v_mov_b32_e32 v11, v160
	v_mov_b32_e32 v13, v159
	s_waitcnt vmcnt(8)
	v_cvt_f32_f16_e32 v8, v8
	s_waitcnt vmcnt(7)
	ds_write_b32 v105, v0
	s_waitcnt vmcnt(6)
	ds_write_b32 v109, v1
	;; [unrolled: 2-line block ×8, first 2 shown]
	ds_write_b32 v97, v8
	s_waitcnt lgkmcnt(0)
	s_barrier
.LBB167_12:                             ;   Parent Loop BB167_6 Depth=1
                                        ; =>  This Inner Loop Header: Depth=2
	s_add_i32 s16, s17, 2
	s_and_b32 s19, s16, 0x3ffffff8
	s_lshl_b32 s19, s19, 2
	v_add_u32_e32 v8, s19, v135
	ds_read2_b32 v[112:113], v13 offset1:32
	ds_read_b128 v[4:7], v11
	ds_read_b128 v[0:3], v11 offset:16
	ds_read2_b32 v[14:15], v8 offset1:1
	s_and_b32 s18, s15, -16
	v_add_u32_e32 v12, s18, v148
	s_add_i32 s18, s17, -14
	s_lshr_b32 s20, s16, 2
	s_waitcnt lgkmcnt(0)
	v_ashrrev_i32_e32 v10, s18, v14
	v_and_b32_e32 v186, 0x3030303, v10
	v_ashrrev_i32_e32 v10, s18, v15
	ds_read2_b32 v[14:15], v8 offset0:2 offset1:3
	v_and_b32_e32 v183, 0x3030303, v10
	s_and_b32 s20, s20, 0x3ffffffc
	v_mov_b32_e32 v203, 0
	v_mov_b32_e32 v205, 0
	s_waitcnt lgkmcnt(0)
	v_ashrrev_i32_e32 v10, s18, v14
	v_and_b32_e32 v184, 0x3030303, v10
	v_ashrrev_i32_e32 v10, s18, v15
	ds_read2_b32 v[14:15], v8 offset0:4 offset1:5
	v_and_b32_e32 v185, 0x3030303, v10
	v_mov_b32_e32 v213, 0
	v_mov_b32_e32 v217, 0
	;; [unrolled: 1-line block ×3, first 2 shown]
	s_waitcnt lgkmcnt(0)
	v_ashrrev_i32_e32 v10, s18, v14
	v_and_b32_e32 v179, 0x3030303, v10
	v_ashrrev_i32_e32 v10, s18, v15
	ds_read2_b32 v[14:15], v8 offset0:6 offset1:7
	v_and_b32_e32 v180, 0x3030303, v10
	v_add_u32_e32 v10, s20, v136
	v_mov_b32_e32 v204, 0
	v_mov_b32_e32 v211, 0
	s_waitcnt lgkmcnt(0)
	v_ashrrev_i32_e32 v8, s18, v14
	v_and_b32_e32 v181, 0x3030303, v8
	v_ashrrev_i32_e32 v8, s18, v15
	v_and_b32_e32 v182, 0x3030303, v8
	v_add3_u32 v8, v153, s17, v12
	ds_read_b32 v10, v10
	ds_read_u16 v114, v8 offset:25074
	v_mov_b32_e32 v216, 0
	v_dot4c_i32_i8_e32 v115, v186, v4
	v_mov_b32_e32 v208, 0
	s_waitcnt lgkmcnt(1)
	v_cvt_f32_f16_e32 v104, v10
	s_waitcnt lgkmcnt(0)
	v_bfe_u32 v8, v114, 4, 4
	v_mul_lo_u32 v192, v8, s1
	v_lshrrev_b32_sdwa v8, v169, v114 dst_sel:DWORD dst_unused:UNUSED_PAD src0_sel:DWORD src1_sel:BYTE_1
	v_mul_lo_u32 v199, v8, s1
	v_add_u32_e32 v8, s19, v137
	ds_read2_b32 v[14:15], v8 offset1:1
	v_cvt_f32_f16_sdwa v106, v10 dst_sel:DWORD dst_unused:UNUSED_PAD src0_sel:WORD_1
	v_dot4c_i32_i8_e32 v203, v192, v4
	v_dot4c_i32_i8_e32 v203, v192, v5
	;; [unrolled: 1-line block ×3, first 2 shown]
	s_waitcnt lgkmcnt(0)
	v_ashrrev_i32_e32 v10, s18, v14
	v_and_b32_e32 v196, 0x3030303, v10
	v_ashrrev_i32_e32 v10, s18, v15
	ds_read2_b32 v[14:15], v8 offset0:2 offset1:3
	v_and_b32_e32 v193, 0x3030303, v10
	v_dot4c_i32_i8_e32 v204, v196, v4
	v_dot4c_i32_i8_e32 v203, v192, v7
	v_mov_b32_e32 v214, 0
	s_waitcnt lgkmcnt(0)
	v_ashrrev_i32_e32 v10, s18, v14
	v_and_b32_e32 v194, 0x3030303, v10
	v_ashrrev_i32_e32 v10, s18, v15
	ds_read2_b32 v[14:15], v8 offset0:4 offset1:5
	v_and_b32_e32 v195, 0x3030303, v10
	v_mov_b32_e32 v215, 0
	v_mov_b32_e32 v218, 0
	v_dot4c_i32_i8_e32 v208, v179, v0
	s_waitcnt lgkmcnt(0)
	v_ashrrev_i32_e32 v10, s18, v14
	v_and_b32_e32 v188, 0x3030303, v10
	v_ashrrev_i32_e32 v10, s18, v15
	ds_read2_b32 v[14:15], v8 offset0:6 offset1:7
	v_and_b32_e32 v189, 0x3030303, v10
	v_add_u32_e32 v10, s20, v138
	v_dot4c_i32_i8_e32 v203, v199, v0
	v_dot4c_i32_i8_e32 v214, v188, v0
	s_waitcnt lgkmcnt(0)
	v_ashrrev_i32_e32 v8, s18, v14
	v_and_b32_e32 v190, 0x3030303, v8
	v_ashrrev_i32_e32 v8, s18, v15
	v_and_b32_e32 v191, 0x3030303, v8
	v_add3_u32 v8, v151, s17, v12
	ds_read_b32 v10, v10
	ds_read_u16 v202, v8 offset:26098
	v_dot4c_i32_i8_e32 v115, v183, v5
	v_dot4c_i32_i8_e32 v208, v180, v1
	;; [unrolled: 1-line block ×3, first 2 shown]
	s_waitcnt lgkmcnt(1)
	v_cvt_f32_f16_e32 v108, v10
	s_waitcnt lgkmcnt(0)
	v_bfe_u32 v8, v202, 4, 4
	v_mul_lo_u32 v198, v8, s1
	v_lshrrev_b32_sdwa v8, v169, v202 dst_sel:DWORD dst_unused:UNUSED_PAD src0_sel:DWORD src1_sel:BYTE_1
	v_mul_lo_u32 v201, v8, s1
	v_add_u32_e32 v8, s19, v139
	ds_read2_b32 v[14:15], v8 offset1:1
	ds_read2_b32 v[116:117], v8 offset0:4 offset1:5
	v_cvt_f32_f16_sdwa v110, v10 dst_sel:DWORD dst_unused:UNUSED_PAD src0_sel:WORD_1
	ds_read2_b32 v[122:123], v8 offset0:6 offset1:7
	v_dot4c_i32_i8_e32 v205, v198, v4
	s_waitcnt lgkmcnt(2)
	v_ashrrev_i32_e32 v10, s18, v14
	v_and_b32_e32 v200, 0x3030303, v10
	v_ashrrev_i32_e32 v10, s18, v15
	ds_read2_b32 v[14:15], v8 offset0:2 offset1:3
	v_and_b32_e32 v119, 0x3030303, v10
	s_waitcnt lgkmcnt(1)
	v_ashrrev_i32_e32 v8, s18, v122
	v_dot4c_i32_i8_e32 v205, v198, v5
	v_dot4c_i32_i8_e32 v205, v198, v6
	s_waitcnt lgkmcnt(0)
	v_ashrrev_i32_e32 v10, s18, v14
	v_and_b32_e32 v120, 0x3030303, v10
	v_ashrrev_i32_e32 v10, s18, v15
	v_and_b32_e32 v121, 0x3030303, v10
	v_ashrrev_i32_e32 v10, s18, v116
	v_and_b32_e32 v15, 0x3030303, v10
	v_ashrrev_i32_e32 v10, s18, v117
	v_and_b32_e32 v116, 0x3030303, v10
	v_and_b32_e32 v117, 0x3030303, v8
	v_ashrrev_i32_e32 v8, s18, v123
	v_add_u32_e32 v10, s20, v140
	v_add_u32_e32 v14, s19, v141
	v_and_b32_e32 v118, 0x3030303, v8
	v_add3_u32 v8, v149, s17, v12
	ds_read_b32 v10, v10
	ds_read_u16 v210, v8 offset:27122
	ds_read2_b32 v[122:123], v14 offset1:1
	ds_read2_b32 v[206:207], v14 offset0:6 offset1:7
	v_add3_u32 v12, v146, s17, v12
	v_dot4c_i32_i8_e32 v211, v200, v4
	s_waitcnt lgkmcnt(2)
	v_bfe_u32 v8, v210, 4, 4
	s_waitcnt lgkmcnt(1)
	v_ashrrev_i32_e32 v122, s18, v122
	v_and_b32_e32 v177, 0x3030303, v122
	v_ashrrev_i32_e32 v122, s18, v123
	v_and_b32_e32 v174, 0x3030303, v122
	ds_read2_b32 v[122:123], v14 offset0:2 offset1:3
	v_mul_lo_u32 v173, v8, s1
	v_dot4c_i32_i8_e32 v213, v173, v4
	v_dot4c_i32_i8_e32 v213, v173, v5
	;; [unrolled: 1-line block ×3, first 2 shown]
	s_waitcnt lgkmcnt(0)
	v_ashrrev_i32_e32 v122, s18, v122
	v_and_b32_e32 v175, 0x3030303, v122
	v_ashrrev_i32_e32 v122, s18, v123
	v_and_b32_e32 v176, 0x3030303, v122
	ds_read2_b32 v[122:123], v14 offset0:4 offset1:5
	v_ashrrev_i32_e32 v14, s18, v206
	v_and_b32_e32 v171, 0x3030303, v14
	v_ashrrev_i32_e32 v14, s18, v207
	v_and_b32_e32 v172, 0x3030303, v14
	v_add_u32_e32 v14, s20, v142
	ds_read_b32 v14, v14
	ds_read_u16 v212, v12 offset:28146
	v_lshrrev_b32_sdwa v8, v169, v210 dst_sel:DWORD dst_unused:UNUSED_PAD src0_sel:DWORD src1_sel:BYTE_1
	s_waitcnt lgkmcnt(2)
	v_ashrrev_i32_e32 v122, s18, v122
	v_dot4c_i32_i8_e32 v216, v177, v4
	v_dot4c_i32_i8_e32 v205, v198, v7
	s_waitcnt lgkmcnt(0)
	v_bfe_u32 v12, v212, 4, 4
	v_mul_lo_u32 v178, v12, s1
	v_dot4c_i32_i8_e32 v217, v178, v4
	v_dot4c_i32_i8_e32 v217, v178, v5
	;; [unrolled: 1-line block ×3, first 2 shown]
	v_lshrrev_b32_sdwa v4, v169, v212 dst_sel:DWORD dst_unused:UNUSED_PAD src0_sel:DWORD src1_sel:BYTE_1
	v_dot4c_i32_i8_e32 v213, v173, v7
	v_mul_lo_u32 v187, v8, s1
	v_and_b32_e32 v122, 0x3030303, v122
	v_ashrrev_i32_e32 v123, s18, v123
	v_dot4c_i32_i8_e32 v217, v178, v7
	v_mul_lo_u32 v197, v4, s1
	v_dot4c_i32_i8_e32 v205, v201, v0
	v_dot4c_i32_i8_e32 v215, v15, v0
	;; [unrolled: 1-line block ×3, first 2 shown]
	v_and_b32_e32 v123, 0x3030303, v123
	v_dot4c_i32_i8_e32 v218, v122, v0
	v_dot4c_i32_i8_e32 v217, v197, v0
	;; [unrolled: 1-line block ×35, first 2 shown]
	ds_read_b128 v[4:7], v11 offset:1024
	ds_read_b128 v[0:3], v11 offset:1040
	v_mov_b32_e32 v219, 0
	v_mov_b32_e32 v209, 0
	;; [unrolled: 1-line block ×3, first 2 shown]
	s_waitcnt lgkmcnt(1)
	v_dot4c_i32_i8_e32 v219, v192, v4
	v_dot4c_i32_i8_e32 v219, v192, v5
	;; [unrolled: 1-line block ×6, first 2 shown]
	s_waitcnt lgkmcnt(0)
	v_dot4c_i32_i8_e32 v220, v179, v0
	v_dot4c_i32_i8_e32 v209, v184, v6
	;; [unrolled: 1-line block ×7, first 2 shown]
	v_and_b32_e32 v207, 15, v114
	v_and_b32_sdwa v206, v114, v170 dst_sel:DWORD dst_unused:UNUSED_PAD src0_sel:BYTE_1 src1_sel:DWORD
	v_dot4c_i32_i8_e32 v219, v199, v2
	v_dot4c_i32_i8_e32 v220, v182, v3
	v_mul_lo_u32 v114, v206, v208
	v_mul_lo_u32 v208, v207, v209
                                        ; kill: def $vgpr209 killed $sgpr0 killed $exec
	v_dot4c_i32_i8_e32 v219, v199, v3
	v_mad_u64_u32 v[208:209], s[18:19], v206, v220, v[208:209]
	v_mad_u64_u32 v[114:115], s[18:19], v207, v115, v[114:115]
	v_cvt_f32_i32_e32 v115, v114
	v_cvt_f32_i32_e32 v114, v208
	;; [unrolled: 1-line block ×4, first 2 shown]
	v_mov_b32_e32 v219, 0
	v_dot4c_i32_i8_e32 v219, v198, v4
	v_dot4c_i32_i8_e32 v219, v198, v5
	v_pk_mul_f32 v[208:209], v[106:107], v[208:209] op_sel_hi:[0,1]
	v_pk_fma_f32 v[208:209], v[104:105], v[114:115], v[208:209] op_sel_hi:[0,1,1] neg_lo:[0,0,1] neg_hi:[0,0,1]
	v_mov_b32_e32 v114, v113
	v_mov_b32_e32 v113, 0
	v_dot4c_i32_i8_e32 v113, v196, v4
	v_dot4c_i32_i8_e32 v219, v198, v6
	v_mov_b32_e32 v203, 0
	v_dot4c_i32_i8_e32 v113, v193, v5
	v_dot4c_i32_i8_e32 v219, v198, v7
	;; [unrolled: 1-line block ×3, first 2 shown]
	v_mov_b32_e32 v115, v112
	v_dot4c_i32_i8_e32 v113, v194, v6
	v_dot4c_i32_i8_e32 v219, v201, v0
	;; [unrolled: 1-line block ×3, first 2 shown]
	v_pk_fma_f32 v[78:79], v[114:115], v[208:209], v[78:79]
	v_dot4c_i32_i8_e32 v113, v195, v7
	v_dot4c_i32_i8_e32 v219, v201, v1
	;; [unrolled: 1-line block ×3, first 2 shown]
	v_and_b32_e32 v209, 15, v202
	v_and_b32_sdwa v208, v202, v170 dst_sel:DWORD dst_unused:UNUSED_PAD src0_sel:BYTE_1 src1_sel:DWORD
	v_dot4c_i32_i8_e32 v219, v201, v2
	v_dot4c_i32_i8_e32 v203, v191, v3
	v_mul_lo_u32 v112, v208, v214
	v_mul_lo_u32 v202, v209, v113
                                        ; kill: def $vgpr113 killed $sgpr0 killed $exec
	v_dot4c_i32_i8_e32 v219, v201, v3
	v_mad_u64_u32 v[202:203], s[18:19], v208, v203, v[202:203]
	v_mad_u64_u32 v[112:113], s[18:19], v209, v204, v[112:113]
	v_cvt_f32_i32_e32 v113, v112
	v_cvt_f32_i32_e32 v112, v202
	;; [unrolled: 1-line block ×4, first 2 shown]
	v_mov_b32_e32 v214, 0
	v_dot4c_i32_i8_e32 v214, v173, v4
	v_dot4c_i32_i8_e32 v214, v173, v5
	v_pk_mul_f32 v[202:203], v[110:111], v[202:203] op_sel_hi:[0,1]
	v_pk_fma_f32 v[112:113], v[108:109], v[112:113], v[202:203] op_sel_hi:[0,1,1] neg_lo:[0,0,1] neg_hi:[0,0,1]
	v_pk_fma_f32 v[86:87], v[114:115], v[112:113], v[86:87]
	v_mov_b32_e32 v113, 0
	v_dot4c_i32_i8_e32 v113, v200, v4
	v_dot4c_i32_i8_e32 v214, v173, v6
	v_mov_b32_e32 v203, 0
	v_dot4c_i32_i8_e32 v113, v119, v5
	v_dot4c_i32_i8_e32 v214, v173, v7
	;; [unrolled: 1-line block ×9, first 2 shown]
	v_and_b32_e32 v205, 15, v210
	v_and_b32_sdwa v204, v210, v170 dst_sel:DWORD dst_unused:UNUSED_PAD src0_sel:BYTE_1 src1_sel:DWORD
	v_dot4c_i32_i8_e32 v214, v187, v2
	v_dot4c_i32_i8_e32 v203, v118, v3
	v_mul_lo_u32 v112, v204, v215
	v_mul_lo_u32 v202, v205, v113
                                        ; kill: def $vgpr113 killed $sgpr0 killed $exec
	v_dot4c_i32_i8_e32 v214, v187, v3
	v_mad_u64_u32 v[202:203], s[18:19], v204, v203, v[202:203]
	v_mad_u64_u32 v[112:113], s[18:19], v205, v211, v[112:113]
	v_cvt_f32_f16_e32 v8, v10
	v_cvt_f32_f16_sdwa v10, v10 dst_sel:DWORD dst_unused:UNUSED_PAD src0_sel:WORD_1
	v_cvt_f32_i32_e32 v113, v112
	v_cvt_f32_i32_e32 v112, v202
	;; [unrolled: 1-line block ×4, first 2 shown]
	v_cvt_f32_f16_e32 v12, v14
	v_cvt_f32_f16_sdwa v14, v14 dst_sel:DWORD dst_unused:UNUSED_PAD src0_sel:WORD_1
	v_mov_b32_e32 v214, 0
	v_pk_mul_f32 v[202:203], v[10:11], v[202:203] op_sel_hi:[0,1]
	v_pk_fma_f32 v[112:113], v[8:9], v[112:113], v[202:203] op_sel_hi:[0,1,1] neg_lo:[0,0,1] neg_hi:[0,0,1]
	v_pk_fma_f32 v[74:75], v[114:115], v[112:113], v[74:75]
	v_mov_b32_e32 v113, 0
	v_dot4c_i32_i8_e32 v113, v178, v4
	v_mov_b32_e32 v112, 0
	v_dot4c_i32_i8_e32 v113, v178, v5
	v_dot4c_i32_i8_e32 v112, v177, v4
	;; [unrolled: 1-line block ×3, first 2 shown]
	v_mov_b32_e32 v4, 0
	v_dot4c_i32_i8_e32 v112, v174, v5
	v_dot4c_i32_i8_e32 v113, v178, v7
	;; [unrolled: 1-line block ×9, first 2 shown]
	v_and_b32_e32 v203, 15, v212
	v_and_b32_sdwa v202, v212, v170 dst_sel:DWORD dst_unused:UNUSED_PAD src0_sel:BYTE_1 src1_sel:DWORD
	v_dot4c_i32_i8_e32 v113, v197, v2
	v_dot4c_i32_i8_e32 v4, v172, v3
	v_mul_lo_u32 v0, v202, v218
	v_mul_lo_u32 v2, v203, v112
                                        ; kill: def $vgpr1 killed $sgpr0 killed $exec
	v_dot4c_i32_i8_e32 v113, v197, v3
	v_mad_u64_u32 v[2:3], s[18:19], v202, v4, v[2:3]
	v_mad_u64_u32 v[0:1], s[18:19], v203, v216, v[0:1]
	v_cvt_f32_i32_e32 v1, v0
	v_cvt_f32_i32_e32 v0, v2
	;; [unrolled: 1-line block ×4, first 2 shown]
	v_mov_b32_e32 v212, 0
	v_mov_b32_e32 v217, 0
	;; [unrolled: 1-line block ×3, first 2 shown]
	v_pk_mul_f32 v[2:3], v[14:15], v[2:3] op_sel_hi:[0,1]
	v_pk_fma_f32 v[0:1], v[12:13], v[0:1], v[2:3] op_sel_hi:[0,1,1] neg_lo:[0,0,1] neg_hi:[0,0,1]
	v_pk_fma_f32 v[56:57], v[114:115], v[0:1], v[56:57]
	ds_read2_b32 v[112:113], v13 offset0:64 offset1:96
	ds_read_b128 v[0:3], v11 offset:2048
	ds_read_b128 v[4:7], v11 offset:2064
	v_mov_b32_e32 v115, 0
	v_mov_b32_e32 v210, 0
	;; [unrolled: 1-line block ×3, first 2 shown]
	s_waitcnt lgkmcnt(1)
	v_dot4c_i32_i8_e32 v212, v192, v0
	v_dot4c_i32_i8_e32 v214, v198, v0
	;; [unrolled: 1-line block ×14, first 2 shown]
	v_mov_b32_e32 v215, 0
	v_mov_b32_e32 v216, 0
	v_dot4c_i32_i8_e32 v217, v173, v3
	v_mov_b32_e32 v218, 0
	v_mov_b32_e32 v219, 0
	v_dot4c_i32_i8_e32 v220, v178, v3
	v_mov_b32_e32 v221, 0
	v_dot4c_i32_i8_e32 v115, v186, v0
	s_waitcnt lgkmcnt(0)
	v_dot4c_i32_i8_e32 v210, v179, v4
	v_dot4c_i32_i8_e32 v212, v199, v4
	;; [unrolled: 1-line block ×47, first 2 shown]
	ds_read_b128 v[4:7], v11 offset:3072
	ds_read_b128 v[0:3], v11 offset:3088
	v_mov_b32_e32 v222, 0
	v_mov_b32_e32 v114, 0
	;; [unrolled: 1-line block ×3, first 2 shown]
	s_waitcnt lgkmcnt(1)
	v_dot4c_i32_i8_e32 v222, v192, v4
	v_dot4c_i32_i8_e32 v222, v192, v5
	;; [unrolled: 1-line block ×6, first 2 shown]
	s_waitcnt lgkmcnt(0)
	v_dot4c_i32_i8_e32 v223, v179, v0
	v_dot4c_i32_i8_e32 v114, v184, v6
	;; [unrolled: 1-line block ×7, first 2 shown]
	v_mul_lo_u32 v210, v210, v206
                                        ; kill: def $vgpr211 killed $sgpr0 killed $exec
	v_dot4c_i32_i8_e32 v222, v199, v2
	v_dot4c_i32_i8_e32 v223, v182, v3
	v_mul_lo_u32 v114, v114, v207
	v_mad_u64_u32 v[210:211], s[18:19], v115, v207, v[210:211]
                                        ; kill: def $vgpr115 killed $sgpr0 killed $exec
	v_dot4c_i32_i8_e32 v222, v199, v3
	v_mad_u64_u32 v[114:115], s[18:19], v223, v206, v[114:115]
	v_cvt_f32_i32_e32 v115, v114
	v_cvt_f32_i32_e32 v114, v210
	v_cvt_f32_i32_e32 v211, v222
	v_cvt_f32_i32_e32 v210, v212
	v_mov_b32_e32 v212, 0
	v_dot4c_i32_i8_e32 v212, v198, v4
	v_dot4c_i32_i8_e32 v212, v198, v5
	v_pk_mul_f32 v[210:211], v[106:107], v[210:211] op_sel_hi:[0,1]
	v_pk_fma_f32 v[114:115], v[104:105], v[114:115], v[210:211] op_sel_hi:[0,1,1] neg_lo:[0,0,1] neg_hi:[0,0,1]
	v_pk_fma_f32 v[38:39], v[112:113], v[114:115], v[38:39]
	v_mov_b32_e32 v114, 0
	v_dot4c_i32_i8_e32 v114, v196, v4
	v_dot4c_i32_i8_e32 v212, v198, v6
	v_mov_b32_e32 v115, 0
	v_dot4c_i32_i8_e32 v114, v193, v5
	v_dot4c_i32_i8_e32 v212, v198, v7
	v_dot4c_i32_i8_e32 v115, v188, v0
	v_dot4c_i32_i8_e32 v114, v194, v6
	v_dot4c_i32_i8_e32 v212, v201, v0
	v_dot4c_i32_i8_e32 v115, v189, v1
	v_dot4c_i32_i8_e32 v114, v195, v7
	v_dot4c_i32_i8_e32 v212, v201, v1
	v_dot4c_i32_i8_e32 v115, v190, v2
	v_dot4c_i32_i8_e32 v212, v201, v2
	v_dot4c_i32_i8_e32 v115, v191, v3
	v_mul_lo_u32 v114, v114, v209
	v_mul_lo_u32 v210, v215, v208
                                        ; kill: def $vgpr211 killed $sgpr0 killed $exec
	v_dot4c_i32_i8_e32 v212, v201, v3
	v_mad_u64_u32 v[210:211], s[18:19], v213, v209, v[210:211]
	v_mad_u64_u32 v[114:115], s[18:19], v115, v208, v[114:115]
	v_cvt_f32_i32_e32 v115, v114
	v_cvt_f32_i32_e32 v114, v210
	;; [unrolled: 1-line block ×4, first 2 shown]
	v_mov_b32_e32 v212, 0
	v_dot4c_i32_i8_e32 v212, v173, v4
	v_dot4c_i32_i8_e32 v212, v173, v5
	v_pk_mul_f32 v[210:211], v[110:111], v[210:211] op_sel_hi:[0,1]
	v_pk_fma_f32 v[114:115], v[108:109], v[114:115], v[210:211] op_sel_hi:[0,1,1] neg_lo:[0,0,1] neg_hi:[0,0,1]
	v_pk_fma_f32 v[36:37], v[112:113], v[114:115], v[36:37]
	v_mov_b32_e32 v114, 0
	v_dot4c_i32_i8_e32 v114, v200, v4
	v_dot4c_i32_i8_e32 v212, v173, v6
	v_mov_b32_e32 v115, 0
	v_dot4c_i32_i8_e32 v114, v119, v5
	v_dot4c_i32_i8_e32 v212, v173, v7
	;; [unrolled: 1-line block ×11, first 2 shown]
	v_mul_lo_u32 v114, v114, v205
	v_mul_lo_u32 v210, v218, v204
                                        ; kill: def $vgpr211 killed $sgpr0 killed $exec
	v_dot4c_i32_i8_e32 v212, v187, v3
	v_mad_u64_u32 v[210:211], s[18:19], v216, v205, v[210:211]
	v_mad_u64_u32 v[114:115], s[18:19], v115, v204, v[114:115]
	v_cvt_f32_i32_e32 v115, v114
	v_cvt_f32_i32_e32 v114, v210
	;; [unrolled: 1-line block ×4, first 2 shown]
	v_mov_b32_e32 v212, 0
	v_mov_b32_e32 v214, 0
	;; [unrolled: 1-line block ×3, first 2 shown]
	v_pk_mul_f32 v[210:211], v[10:11], v[210:211] op_sel_hi:[0,1]
	v_pk_fma_f32 v[114:115], v[8:9], v[114:115], v[210:211] op_sel_hi:[0,1,1] neg_lo:[0,0,1] neg_hi:[0,0,1]
	v_pk_fma_f32 v[34:35], v[112:113], v[114:115], v[34:35]
	v_mov_b32_e32 v115, 0
	v_dot4c_i32_i8_e32 v115, v178, v4
	v_mov_b32_e32 v114, 0
	v_dot4c_i32_i8_e32 v115, v178, v5
	v_dot4c_i32_i8_e32 v114, v177, v4
	;; [unrolled: 1-line block ×3, first 2 shown]
	v_mov_b32_e32 v4, 0
	v_dot4c_i32_i8_e32 v114, v174, v5
	v_dot4c_i32_i8_e32 v115, v178, v7
	;; [unrolled: 1-line block ×11, first 2 shown]
	v_mul_lo_u32 v0, v114, v203
	v_mul_lo_u32 v2, v221, v202
                                        ; kill: def $vgpr1 killed $sgpr0 killed $exec
	v_dot4c_i32_i8_e32 v115, v197, v3
	v_mad_u64_u32 v[2:3], s[18:19], v219, v203, v[2:3]
	v_mad_u64_u32 v[0:1], s[18:19], v4, v202, v[0:1]
	v_cvt_f32_i32_e32 v1, v0
	v_cvt_f32_i32_e32 v0, v2
	;; [unrolled: 1-line block ×4, first 2 shown]
	v_mov_b32_e32 v220, 0
	v_mov_b32_e32 v115, 0
	;; [unrolled: 1-line block ×3, first 2 shown]
	v_pk_mul_f32 v[2:3], v[14:15], v[2:3] op_sel_hi:[0,1]
	v_pk_fma_f32 v[0:1], v[12:13], v[0:1], v[2:3] op_sel_hi:[0,1,1] neg_lo:[0,0,1] neg_hi:[0,0,1]
	v_pk_fma_f32 v[32:33], v[112:113], v[0:1], v[32:33]
	ds_read2_b32 v[112:113], v13 offset0:128 offset1:160
	ds_read_b128 v[0:3], v11 offset:4096
	ds_read_b128 v[4:7], v11 offset:4112
	v_mov_b32_e32 v213, 0
	v_mov_b32_e32 v215, 0
	;; [unrolled: 1-line block ×3, first 2 shown]
	s_waitcnt lgkmcnt(1)
	v_dot4c_i32_i8_e32 v212, v192, v0
	v_dot4c_i32_i8_e32 v214, v198, v0
	;; [unrolled: 1-line block ×15, first 2 shown]
	v_mov_b32_e32 v218, 0
	v_mov_b32_e32 v219, 0
	v_dot4c_i32_i8_e32 v220, v178, v3
	v_mov_b32_e32 v221, 0
	v_dot4c_i32_i8_e32 v115, v186, v0
	s_waitcnt lgkmcnt(0)
	v_dot4c_i32_i8_e32 v210, v179, v4
	v_dot4c_i32_i8_e32 v212, v199, v4
	;; [unrolled: 1-line block ×47, first 2 shown]
	ds_read_b128 v[4:7], v11 offset:5120
	ds_read_b128 v[0:3], v11 offset:5136
	v_mov_b32_e32 v222, 0
	v_mov_b32_e32 v114, 0
	;; [unrolled: 1-line block ×3, first 2 shown]
	s_waitcnt lgkmcnt(1)
	v_dot4c_i32_i8_e32 v222, v192, v4
	v_dot4c_i32_i8_e32 v222, v192, v5
	;; [unrolled: 1-line block ×6, first 2 shown]
	s_waitcnt lgkmcnt(0)
	v_dot4c_i32_i8_e32 v223, v179, v0
	v_dot4c_i32_i8_e32 v114, v184, v6
	;; [unrolled: 1-line block ×7, first 2 shown]
	v_mul_lo_u32 v210, v210, v206
                                        ; kill: def $vgpr211 killed $sgpr0 killed $exec
	v_dot4c_i32_i8_e32 v222, v199, v2
	v_dot4c_i32_i8_e32 v223, v182, v3
	v_mul_lo_u32 v114, v114, v207
	v_mad_u64_u32 v[210:211], s[18:19], v115, v207, v[210:211]
                                        ; kill: def $vgpr115 killed $sgpr0 killed $exec
	v_dot4c_i32_i8_e32 v222, v199, v3
	v_mad_u64_u32 v[114:115], s[18:19], v223, v206, v[114:115]
	v_cvt_f32_i32_e32 v115, v114
	v_cvt_f32_i32_e32 v114, v210
	;; [unrolled: 1-line block ×4, first 2 shown]
	v_mov_b32_e32 v212, 0
	v_dot4c_i32_i8_e32 v212, v198, v4
	v_dot4c_i32_i8_e32 v212, v198, v5
	v_pk_mul_f32 v[210:211], v[106:107], v[210:211] op_sel_hi:[0,1]
	v_pk_fma_f32 v[114:115], v[104:105], v[114:115], v[210:211] op_sel_hi:[0,1,1] neg_lo:[0,0,1] neg_hi:[0,0,1]
	v_pk_fma_f32 v[30:31], v[112:113], v[114:115], v[30:31]
	v_mov_b32_e32 v114, 0
	v_dot4c_i32_i8_e32 v114, v196, v4
	v_dot4c_i32_i8_e32 v212, v198, v6
	v_mov_b32_e32 v115, 0
	v_dot4c_i32_i8_e32 v114, v193, v5
	v_dot4c_i32_i8_e32 v212, v198, v7
	;; [unrolled: 1-line block ×11, first 2 shown]
	v_mul_lo_u32 v114, v114, v209
	v_mul_lo_u32 v210, v215, v208
                                        ; kill: def $vgpr211 killed $sgpr0 killed $exec
	v_dot4c_i32_i8_e32 v212, v201, v3
	v_mad_u64_u32 v[210:211], s[18:19], v213, v209, v[210:211]
	v_mad_u64_u32 v[114:115], s[18:19], v115, v208, v[114:115]
	v_cvt_f32_i32_e32 v115, v114
	v_cvt_f32_i32_e32 v114, v210
	;; [unrolled: 1-line block ×4, first 2 shown]
	v_mov_b32_e32 v212, 0
	v_dot4c_i32_i8_e32 v212, v173, v4
	v_dot4c_i32_i8_e32 v212, v173, v5
	v_pk_mul_f32 v[210:211], v[110:111], v[210:211] op_sel_hi:[0,1]
	v_pk_fma_f32 v[114:115], v[108:109], v[114:115], v[210:211] op_sel_hi:[0,1,1] neg_lo:[0,0,1] neg_hi:[0,0,1]
	v_pk_fma_f32 v[28:29], v[112:113], v[114:115], v[28:29]
	v_mov_b32_e32 v114, 0
	v_dot4c_i32_i8_e32 v114, v200, v4
	v_dot4c_i32_i8_e32 v212, v173, v6
	v_mov_b32_e32 v115, 0
	v_dot4c_i32_i8_e32 v114, v119, v5
	v_dot4c_i32_i8_e32 v212, v173, v7
	;; [unrolled: 1-line block ×11, first 2 shown]
	v_mul_lo_u32 v114, v114, v205
	v_mul_lo_u32 v210, v218, v204
                                        ; kill: def $vgpr211 killed $sgpr0 killed $exec
	v_dot4c_i32_i8_e32 v212, v187, v3
	v_mad_u64_u32 v[210:211], s[18:19], v216, v205, v[210:211]
	v_mad_u64_u32 v[114:115], s[18:19], v115, v204, v[114:115]
	v_cvt_f32_i32_e32 v115, v114
	v_cvt_f32_i32_e32 v114, v210
	;; [unrolled: 1-line block ×4, first 2 shown]
	v_mov_b32_e32 v214, 0
	v_mov_b32_e32 v217, 0
	;; [unrolled: 1-line block ×3, first 2 shown]
	v_pk_mul_f32 v[210:211], v[10:11], v[210:211] op_sel_hi:[0,1]
	v_pk_fma_f32 v[114:115], v[8:9], v[114:115], v[210:211] op_sel_hi:[0,1,1] neg_lo:[0,0,1] neg_hi:[0,0,1]
	v_pk_fma_f32 v[26:27], v[112:113], v[114:115], v[26:27]
	v_mov_b32_e32 v115, 0
	v_dot4c_i32_i8_e32 v115, v178, v4
	v_mov_b32_e32 v114, 0
	v_dot4c_i32_i8_e32 v115, v178, v5
	v_dot4c_i32_i8_e32 v114, v177, v4
	;; [unrolled: 1-line block ×3, first 2 shown]
	v_mov_b32_e32 v4, 0
	v_dot4c_i32_i8_e32 v114, v174, v5
	v_dot4c_i32_i8_e32 v115, v178, v7
	v_dot4c_i32_i8_e32 v4, v122, v0
	v_dot4c_i32_i8_e32 v114, v175, v6
	v_dot4c_i32_i8_e32 v115, v197, v0
	v_dot4c_i32_i8_e32 v4, v123, v1
	v_dot4c_i32_i8_e32 v114, v176, v7
	v_dot4c_i32_i8_e32 v115, v197, v1
	v_dot4c_i32_i8_e32 v4, v171, v2
	v_dot4c_i32_i8_e32 v115, v197, v2
	v_dot4c_i32_i8_e32 v4, v172, v3
	v_mul_lo_u32 v0, v114, v203
	v_mul_lo_u32 v2, v221, v202
                                        ; kill: def $vgpr1 killed $sgpr0 killed $exec
	v_dot4c_i32_i8_e32 v115, v197, v3
	v_mad_u64_u32 v[2:3], s[18:19], v219, v203, v[2:3]
	v_mad_u64_u32 v[0:1], s[18:19], v4, v202, v[0:1]
	v_cvt_f32_i32_e32 v1, v0
	v_cvt_f32_i32_e32 v0, v2
	;; [unrolled: 1-line block ×4, first 2 shown]
	v_mov_b32_e32 v210, 0
	v_mov_b32_e32 v114, 0
	;; [unrolled: 1-line block ×3, first 2 shown]
	v_pk_mul_f32 v[2:3], v[14:15], v[2:3] op_sel_hi:[0,1]
	v_pk_fma_f32 v[0:1], v[12:13], v[0:1], v[2:3] op_sel_hi:[0,1,1] neg_lo:[0,0,1] neg_hi:[0,0,1]
	v_pk_fma_f32 v[24:25], v[112:113], v[0:1], v[24:25]
	ds_read2_b32 v[112:113], v13 offset0:192 offset1:224
	ds_read_b128 v[0:3], v11 offset:6144
	ds_read_b128 v[4:7], v11 offset:6160
	v_mov_b32_e32 v216, 0
	v_mov_b32_e32 v218, 0
	;; [unrolled: 1-line block ×3, first 2 shown]
	s_waitcnt lgkmcnt(1)
	v_dot4c_i32_i8_e32 v214, v192, v0
	v_dot4c_i32_i8_e32 v217, v198, v0
	;; [unrolled: 1-line block ×15, first 2 shown]
	v_mov_b32_e32 v219, 0
	v_mov_b32_e32 v115, 0
	v_dot4c_i32_i8_e32 v114, v178, v3
	v_mov_b32_e32 v211, 0
	v_dot4c_i32_i8_e32 v213, v186, v0
	s_waitcnt lgkmcnt(0)
	v_dot4c_i32_i8_e32 v215, v179, v4
	v_dot4c_i32_i8_e32 v214, v199, v4
	;; [unrolled: 1-line block ×47, first 2 shown]
	ds_read_b128 v[4:7], v11 offset:7168
	ds_read_b128 v[0:3], v11 offset:7184
	v_mov_b32_e32 v220, 0
	s_add_i32 s15, s15, 2
	s_cmp_lt_u32 s16, 22
	s_waitcnt lgkmcnt(1)
	v_dot4c_i32_i8_e32 v220, v186, v4
	v_mov_b32_e32 v186, 0
	v_dot4c_i32_i8_e32 v186, v192, v4
	v_dot4c_i32_i8_e32 v220, v183, v5
	;; [unrolled: 1-line block ×5, first 2 shown]
	v_mov_b32_e32 v184, 0
	v_dot4c_i32_i8_e32 v186, v192, v7
	s_waitcnt lgkmcnt(0)
	v_dot4c_i32_i8_e32 v184, v179, v0
	v_dot4c_i32_i8_e32 v186, v199, v0
	;; [unrolled: 1-line block ×8, first 2 shown]
	v_mul_lo_u32 v180, v220, v207
	v_mul_lo_u32 v182, v215, v206
	v_dot4c_i32_i8_e32 v186, v199, v3
	v_mad_u64_u32 v[182:183], s[18:19], v213, v207, v[182:183]
	v_mad_u64_u32 v[180:181], s[18:19], v184, v206, v[180:181]
	v_cvt_f32_i32_e32 v181, v180
	v_cvt_f32_i32_e32 v180, v182
	;; [unrolled: 1-line block ×4, first 2 shown]
	v_mov_b32_e32 v179, 0
	v_dot4c_i32_i8_e32 v179, v198, v4
	v_dot4c_i32_i8_e32 v179, v198, v5
	v_pk_mul_f32 v[182:183], v[106:107], v[182:183] op_sel_hi:[0,1]
	v_pk_fma_f32 v[180:181], v[104:105], v[180:181], v[182:183] op_sel_hi:[0,1,1] neg_lo:[0,0,1] neg_hi:[0,0,1]
	v_mov_b32_e32 v104, 0
	v_dot4c_i32_i8_e32 v104, v196, v4
	v_dot4c_i32_i8_e32 v179, v198, v6
	v_mov_b32_e32 v182, 0
	v_dot4c_i32_i8_e32 v104, v193, v5
	v_dot4c_i32_i8_e32 v179, v198, v7
	;; [unrolled: 1-line block ×11, first 2 shown]
	v_mul_lo_u32 v104, v104, v209
	v_mul_lo_u32 v106, v218, v208
	v_pk_fma_f32 v[22:23], v[112:113], v[180:181], v[22:23]
	v_dot4c_i32_i8_e32 v179, v201, v3
	v_mad_u64_u32 v[180:181], s[18:19], v216, v209, v[106:107]
	v_mad_u64_u32 v[182:183], s[18:19], v182, v208, v[104:105]
	v_cvt_f32_i32_e32 v181, v182
	v_cvt_f32_i32_e32 v183, v179
	v_cvt_f32_i32_e32 v182, v217
	v_cvt_f32_i32_e32 v180, v180
	v_mov_b32_e32 v104, 0
	v_dot4c_i32_i8_e32 v104, v200, v4
	v_pk_mul_f32 v[182:183], v[110:111], v[182:183] op_sel_hi:[0,1]
	v_pk_fma_f32 v[180:181], v[108:109], v[180:181], v[182:183] op_sel_hi:[0,1,1] neg_lo:[0,0,1] neg_hi:[0,0,1]
	v_mov_b32_e32 v108, 0
	v_dot4c_i32_i8_e32 v108, v173, v4
	v_dot4c_i32_i8_e32 v108, v173, v5
	;; [unrolled: 1-line block ×3, first 2 shown]
	v_mov_b32_e32 v110, 0
	v_dot4c_i32_i8_e32 v104, v119, v5
	v_dot4c_i32_i8_e32 v108, v173, v7
	;; [unrolled: 1-line block ×11, first 2 shown]
	v_mul_lo_u32 v104, v104, v205
	v_mul_lo_u32 v106, v219, v204
	v_dot4c_i32_i8_e32 v108, v187, v3
	v_mad_u64_u32 v[116:117], s[18:19], v212, v205, v[106:107]
	v_mad_u64_u32 v[118:119], s[18:19], v110, v204, v[104:105]
	v_cvt_f32_i32_e32 v117, v118
	v_cvt_f32_i32_e32 v119, v108
	;; [unrolled: 1-line block ×4, first 2 shown]
                                        ; kill: def $vgpr15 killed $sgpr0 killed $exec
	v_pk_fma_f32 v[20:21], v[112:113], v[180:181], v[20:21]
	s_mov_b32 s17, s16
	v_pk_mul_f32 v[118:119], v[10:11], v[118:119] op_sel_hi:[0,1]
	v_mov_b32_e32 v10, 0
	v_dot4c_i32_i8_e32 v10, v178, v4
	v_pk_fma_f32 v[116:117], v[8:9], v[116:117], v[118:119] op_sel_hi:[0,1,1] neg_lo:[0,0,1] neg_hi:[0,0,1]
	v_mov_b32_e32 v8, 0
	v_dot4c_i32_i8_e32 v10, v178, v5
	v_dot4c_i32_i8_e32 v8, v177, v4
	;; [unrolled: 1-line block ×3, first 2 shown]
	v_mov_b32_e32 v4, 0
	v_dot4c_i32_i8_e32 v8, v174, v5
	v_dot4c_i32_i8_e32 v10, v178, v7
	;; [unrolled: 1-line block ×11, first 2 shown]
	v_mul_lo_u32 v0, v8, v203
	v_mul_lo_u32 v2, v211, v202
                                        ; kill: def $vgpr1 killed $sgpr0 killed $exec
	v_dot4c_i32_i8_e32 v10, v197, v3
	v_mad_u64_u32 v[2:3], s[18:19], v115, v203, v[2:3]
	v_mad_u64_u32 v[0:1], s[18:19], v4, v202, v[0:1]
	v_cvt_f32_i32_e32 v1, v0
	v_cvt_f32_i32_e32 v0, v2
	;; [unrolled: 1-line block ×4, first 2 shown]
	v_pk_fma_f32 v[18:19], v[112:113], v[116:117], v[18:19]
	v_add_u32_e32 v11, 32, v11
	v_pk_mul_f32 v[2:3], v[14:15], v[2:3] op_sel_hi:[0,1]
	v_pk_fma_f32 v[0:1], v[12:13], v[0:1], v[2:3] op_sel_hi:[0,1,1] neg_lo:[0,0,1] neg_hi:[0,0,1]
	v_pk_fma_f32 v[16:17], v[112:113], v[0:1], v[16:17]
	v_add_u32_e32 v13, 4, v13
	s_cbranch_scc1 .LBB167_12
; %bb.13:                               ;   in Loop: Header=BB167_6 Depth=1
	v_add_u32_e32 v8, s9, v145
	v_add_u32_e32 v0, v8, v99
	;; [unrolled: 1-line block ×9, first 2 shown]
	v_mad_i64_i32 v[112:113], s[16:17], v8, 36, v[100:101]
	v_add_u32_e32 v8, 12, v9
	v_mad_i64_i32 v[0:1], s[16:17], v0, 36, v[100:101]
	v_mad_i64_i32 v[2:3], s[16:17], v2, 36, v[100:101]
	v_mad_i64_i32 v[4:5], s[16:17], v4, 36, v[100:101]
	v_mad_i64_i32 v[6:7], s[16:17], v6, 36, v[100:101]
	v_mad_u64_u32 v[8:9], s[16:17], v8, 36, s[2:3]
	s_barrier
	v_mad_i64_i32 v[10:11], s[16:17], v10, 36, v[100:101]
	v_mad_i64_i32 v[12:13], s[16:17], v12, 36, v[100:101]
	v_mad_i64_i32 v[14:15], s[16:17], v14, 36, v[100:101]
	global_load_dword v8, v[8:9], off
	s_nop 0
	global_load_dword v0, v[0:1], off offset:4
	s_nop 0
	global_load_dword v1, v[2:3], off offset:4
	;; [unrolled: 2-line block ×3, first 2 shown]
	global_load_dword v3, v[6:7], off offset:4
	s_nop 0
	global_load_dword v4, v[10:11], off offset:4
	global_load_dword v5, v[12:13], off offset:4
	;; [unrolled: 1-line block ×4, first 2 shown]
	s_mov_b32 s9, 24
	s_mov_b32 s16, 22
	v_mov_b32_e32 v113, v160
	v_mov_b32_e32 v115, v159
	s_waitcnt vmcnt(8)
	v_cvt_f32_f16_e32 v8, v8
	s_waitcnt vmcnt(7)
	ds_write_b32 v105, v0
	s_waitcnt vmcnt(6)
	ds_write_b32 v109, v1
	;; [unrolled: 2-line block ×8, first 2 shown]
	ds_write_b32 v97, v8
	s_waitcnt lgkmcnt(0)
	s_barrier
.LBB167_14:                             ;   Parent Loop BB167_6 Depth=1
                                        ; =>  This Inner Loop Header: Depth=2
	s_add_i32 s15, s16, 2
	s_and_b32 s18, s15, 0x3ffffff8
	s_lshl_b32 s18, s18, 2
	v_add_u32_e32 v10, s18, v135
	ds_read2_b32 v[120:121], v115 offset1:32
	ds_read_b128 v[4:7], v113
	ds_read_b128 v[0:3], v113 offset:16
	ds_read2_b32 v[8:9], v10 offset1:1
	s_sub_i32 s17, s16, 22
	s_and_b32 s19, s9, -16
	s_add_i32 s16, s16, s19
	s_lshr_b32 s19, s15, 2
	s_waitcnt lgkmcnt(0)
	v_ashrrev_i32_e32 v8, s17, v8
	v_and_b32_e32 v196, 0x3030303, v8
	v_ashrrev_i32_e32 v8, s17, v9
	v_and_b32_e32 v190, 0x3030303, v8
	ds_read2_b32 v[8:9], v10 offset0:2 offset1:3
	s_and_b32 s19, s19, 0x3ffffffc
	v_add_u32_e32 v122, s16, v164
	v_add_u32_e32 v204, s16, v163
	v_mov_b32_e32 v210, 0
	s_waitcnt lgkmcnt(0)
	v_ashrrev_i32_e32 v8, s17, v8
	v_and_b32_e32 v193, 0x3030303, v8
	v_ashrrev_i32_e32 v8, s17, v9
	v_and_b32_e32 v194, 0x3030303, v8
	ds_read2_b32 v[8:9], v10 offset0:4 offset1:5
	v_mov_b32_e32 v211, 0
	v_mov_b32_e32 v213, 0
	;; [unrolled: 1-line block ×4, first 2 shown]
	s_waitcnt lgkmcnt(0)
	v_ashrrev_i32_e32 v8, s17, v8
	v_and_b32_e32 v183, 0x3030303, v8
	v_ashrrev_i32_e32 v8, s17, v9
	v_and_b32_e32 v184, 0x3030303, v8
	ds_read2_b32 v[8:9], v10 offset0:6 offset1:7
	v_add_u32_e32 v10, s18, v137
	v_dot4c_i32_i8_e32 v210, v183, v0
	v_dot4c_i32_i8_e32 v123, v196, v4
	;; [unrolled: 1-line block ×3, first 2 shown]
	s_waitcnt lgkmcnt(0)
	v_ashrrev_i32_e32 v8, s17, v8
	v_and_b32_e32 v187, 0x3030303, v8
	v_ashrrev_i32_e32 v8, s17, v9
	v_and_b32_e32 v188, 0x3030303, v8
	v_add_u32_e32 v8, s19, v136
	ds_read_b32 v8, v8
	v_mov_b32_e32 v212, 0
	v_dot4c_i32_i8_e32 v123, v190, v5
	v_dot4c_i32_i8_e32 v210, v187, v2
	;; [unrolled: 1-line block ×3, first 2 shown]
	s_waitcnt lgkmcnt(0)
	v_cvt_f32_f16_e32 v112, v8
	v_cvt_f32_f16_sdwa v114, v8 dst_sel:DWORD dst_unused:UNUSED_PAD src0_sel:WORD_1
	ds_read2_b32 v[8:9], v10 offset1:1
	v_dot4c_i32_i8_e32 v210, v188, v3
	v_dot4c_i32_i8_e32 v123, v194, v7
	v_add_u32_e32 v202, s16, v162
	v_add_u32_e32 v201, s16, v161
	s_waitcnt lgkmcnt(0)
	v_ashrrev_i32_e32 v8, s17, v8
	v_and_b32_e32 v195, 0x3030303, v8
	v_ashrrev_i32_e32 v8, s17, v9
	v_and_b32_e32 v189, 0x3030303, v8
	ds_read2_b32 v[8:9], v10 offset0:2 offset1:3
	v_mov_b32_e32 v220, 0
	v_mov_b32_e32 v221, 0
	;; [unrolled: 1-line block ×4, first 2 shown]
	s_waitcnt lgkmcnt(0)
	v_ashrrev_i32_e32 v8, s17, v8
	v_and_b32_e32 v191, 0x3030303, v8
	v_ashrrev_i32_e32 v8, s17, v9
	v_and_b32_e32 v192, 0x3030303, v8
	ds_read2_b32 v[8:9], v10 offset0:4 offset1:5
	v_dot4c_i32_i8_e32 v203, v195, v4
	v_dot4c_i32_i8_e32 v203, v189, v5
	v_dot4c_i32_i8_e32 v203, v191, v6
	v_dot4c_i32_i8_e32 v203, v192, v7
	s_waitcnt lgkmcnt(0)
	v_ashrrev_i32_e32 v8, s17, v8
	v_and_b32_e32 v181, 0x3030303, v8
	v_ashrrev_i32_e32 v8, s17, v9
	v_and_b32_e32 v182, 0x3030303, v8
	ds_read2_b32 v[8:9], v10 offset0:6 offset1:7
	v_add_u32_e32 v10, s18, v139
	v_dot4c_i32_i8_e32 v214, v181, v0
	v_dot4c_i32_i8_e32 v214, v182, v1
	v_mov_b32_e32 v217, 0
	s_waitcnt lgkmcnt(0)
	v_ashrrev_i32_e32 v8, s17, v8
	v_and_b32_e32 v185, 0x3030303, v8
	v_ashrrev_i32_e32 v8, s17, v9
	v_and_b32_e32 v186, 0x3030303, v8
	v_add_u32_e32 v8, s19, v138
	ds_read_b32 v8, v8
	v_dot4c_i32_i8_e32 v214, v185, v2
	v_dot4c_i32_i8_e32 v214, v186, v3
	v_mov_b32_e32 v209, 0
	v_mov_b32_e32 v215, 0
	s_waitcnt lgkmcnt(0)
	v_cvt_f32_f16_e32 v116, v8
	v_cvt_f32_f16_sdwa v118, v8 dst_sel:DWORD dst_unused:UNUSED_PAD src0_sel:WORD_1
	ds_read2_b32 v[8:9], v10 offset1:1
	v_mov_b32_e32 v216, 0
	v_mov_b32_e32 v222, 0
	s_add_i32 s9, s9, 2
	s_cmp_lt_u32 s15, 30
	s_waitcnt lgkmcnt(0)
	v_ashrrev_i32_e32 v8, s17, v8
	v_and_b32_e32 v200, 0x3030303, v8
	v_ashrrev_i32_e32 v8, s17, v9
	v_and_b32_e32 v197, 0x3030303, v8
	ds_read2_b32 v[8:9], v10 offset0:2 offset1:3
	v_dot4c_i32_i8_e32 v209, v200, v4
	v_dot4c_i32_i8_e32 v209, v197, v5
	s_waitcnt lgkmcnt(0)
	v_ashrrev_i32_e32 v8, s17, v8
	v_and_b32_e32 v198, 0x3030303, v8
	v_ashrrev_i32_e32 v8, s17, v9
	v_and_b32_e32 v199, 0x3030303, v8
	ds_read2_b32 v[8:9], v10 offset0:4 offset1:5
	v_dot4c_i32_i8_e32 v209, v198, v6
	v_dot4c_i32_i8_e32 v209, v199, v7
	s_waitcnt lgkmcnt(0)
	v_ashrrev_i32_e32 v8, s17, v8
	v_and_b32_e32 v173, 0x3030303, v8
	v_ashrrev_i32_e32 v8, s17, v9
	v_and_b32_e32 v174, 0x3030303, v8
	ds_read2_b32 v[8:9], v10 offset0:6 offset1:7
	v_add_u32_e32 v10, s18, v141
	v_dot4c_i32_i8_e32 v217, v173, v0
	v_dot4c_i32_i8_e32 v217, v174, v1
	s_waitcnt lgkmcnt(0)
	v_ashrrev_i32_e32 v8, s17, v8
	v_and_b32_e32 v175, 0x3030303, v8
	v_ashrrev_i32_e32 v8, s17, v9
	v_and_b32_e32 v176, 0x3030303, v8
	v_add_u32_e32 v8, s19, v140
	ds_read_b32 v8, v8
	v_dot4c_i32_i8_e32 v217, v175, v2
	v_dot4c_i32_i8_e32 v217, v176, v3
	s_waitcnt lgkmcnt(0)
	v_cvt_f32_f16_e32 v108, v8
	v_cvt_f32_f16_sdwa v110, v8 dst_sel:DWORD dst_unused:UNUSED_PAD src0_sel:WORD_1
	ds_read2_b32 v[8:9], v10 offset1:1
	s_waitcnt lgkmcnt(0)
	v_ashrrev_i32_e32 v8, s17, v8
	v_and_b32_e32 v180, 0x3030303, v8
	v_ashrrev_i32_e32 v8, s17, v9
	v_and_b32_e32 v177, 0x3030303, v8
	ds_read2_b32 v[8:9], v10 offset0:2 offset1:3
	v_dot4c_i32_i8_e32 v215, v180, v4
	v_dot4c_i32_i8_e32 v215, v177, v5
	s_waitcnt lgkmcnt(0)
	v_ashrrev_i32_e32 v8, s17, v8
	v_and_b32_e32 v178, 0x3030303, v8
	v_ashrrev_i32_e32 v8, s17, v9
	v_and_b32_e32 v179, 0x3030303, v8
	ds_read2_b32 v[8:9], v10 offset0:4 offset1:5
	v_dot4c_i32_i8_e32 v215, v178, v6
	v_dot4c_i32_i8_e32 v215, v179, v7
	;; [unrolled: 8-line block ×3, first 2 shown]
	s_waitcnt lgkmcnt(0)
	v_ashrrev_i32_e32 v8, s17, v8
	v_and_b32_e32 v171, 0x3030303, v8
	v_ashrrev_i32_e32 v8, s17, v9
	v_and_b32_e32 v172, 0x3030303, v8
	v_add_u32_e32 v8, s19, v142
	ds_read_b32 v8, v8
	v_dot4c_i32_i8_e32 v216, v171, v2
	v_dot4c_i32_i8_e32 v216, v172, v3
	s_waitcnt lgkmcnt(0)
	v_cvt_f32_f16_e32 v104, v8
	v_cvt_f32_f16_sdwa v106, v8 dst_sel:DWORD dst_unused:UNUSED_PAD src0_sel:WORD_1
	ds_read_b128 v[12:15], v113 offset:1024
	ds_read_b128 v[8:11], v113 offset:1040
	ds_read_u16 v122, v122 offset:25074
	ds_read_u16 v204, v204 offset:26098
	s_waitcnt lgkmcnt(3)
	v_dot4c_i32_i8_e32 v211, v196, v12
	v_dot4c_i32_i8_e32 v211, v190, v13
	s_waitcnt lgkmcnt(1)
	v_bfe_u32 v205, v122, 4, 4
	v_mul_lo_u32 v208, v205, s1
	v_dot4c_i32_i8_e32 v213, v208, v4
	v_dot4c_i32_i8_e32 v218, v208, v12
	;; [unrolled: 1-line block ×7, first 2 shown]
	v_lshrrev_b32_sdwa v205, v169, v122 dst_sel:DWORD dst_unused:UNUSED_PAD src0_sel:DWORD src1_sel:BYTE_1
	v_dot4c_i32_i8_e32 v218, v208, v14
	v_dot4c_i32_i8_e32 v211, v194, v15
	;; [unrolled: 1-line block ×4, first 2 shown]
	v_mul_lo_u32 v207, v205, s1
	v_and_b32_sdwa v205, v122, v170 dst_sel:DWORD dst_unused:UNUSED_PAD src0_sel:BYTE_1 src1_sel:DWORD
	v_and_b32_e32 v206, 15, v122
	v_dot4c_i32_i8_e32 v218, v208, v15
	v_dot4c_i32_i8_e32 v212, v187, v10
	;; [unrolled: 1-line block ×3, first 2 shown]
	v_mul_lo_u32 v122, v206, v211
	v_mul_lo_u32 v210, v205, v210
	v_dot4c_i32_i8_e32 v218, v207, v8
                                        ; kill: def $vgpr211 killed $sgpr0 killed $exec
	v_dot4c_i32_i8_e32 v212, v188, v11
	v_dot4c_i32_i8_e32 v213, v207, v1
	;; [unrolled: 1-line block ×3, first 2 shown]
	v_mad_u64_u32 v[210:211], s[16:17], v206, v123, v[210:211]
                                        ; kill: def $vgpr123 killed $sgpr0 killed $exec
	v_dot4c_i32_i8_e32 v213, v207, v2
	v_dot4c_i32_i8_e32 v218, v207, v10
	v_mad_u64_u32 v[122:123], s[16:17], v205, v212, v[122:123]
	v_dot4c_i32_i8_e32 v213, v207, v3
	v_dot4c_i32_i8_e32 v218, v207, v11
	v_cvt_f32_i32_e32 v123, v122
	v_cvt_f32_i32_e32 v122, v210
	;; [unrolled: 1-line block ×4, first 2 shown]
	v_pk_mul_f32 v[122:123], v[112:113], v[122:123] op_sel_hi:[0,1]
	v_pk_fma_f32 v[210:211], v[114:115], v[210:211], v[122:123] op_sel:[0,0,1] op_sel_hi:[0,1,0] neg_lo:[1,0,0] neg_hi:[1,0,0]
	v_mov_b32_e32 v122, v121
	v_mov_b32_e32 v123, v120
	v_pk_fma_f32 v[78:79], v[122:123], v[210:211], v[78:79]
	s_waitcnt lgkmcnt(0)
	v_bfe_u32 v210, v204, 4, 4
	v_mul_lo_u32 v213, v210, s1
	v_mov_b32_e32 v120, 0
	v_dot4c_i32_i8_e32 v220, v213, v4
	v_dot4c_i32_i8_e32 v221, v213, v12
	;; [unrolled: 1-line block ×3, first 2 shown]
	v_mov_b32_e32 v121, 0
	v_dot4c_i32_i8_e32 v220, v213, v5
	v_dot4c_i32_i8_e32 v221, v213, v13
	;; [unrolled: 1-line block ×5, first 2 shown]
	v_lshrrev_b32_sdwa v210, v169, v204 dst_sel:DWORD dst_unused:UNUSED_PAD src0_sel:DWORD src1_sel:BYTE_1
	v_dot4c_i32_i8_e32 v221, v213, v14
	v_dot4c_i32_i8_e32 v120, v191, v14
	;; [unrolled: 1-line block ×4, first 2 shown]
	v_mul_lo_u32 v212, v210, s1
	v_dot4c_i32_i8_e32 v221, v213, v15
	v_dot4c_i32_i8_e32 v120, v192, v15
	v_dot4c_i32_i8_e32 v121, v185, v10
	v_dot4c_i32_i8_e32 v220, v212, v0
	v_and_b32_sdwa v210, v204, v170 dst_sel:DWORD dst_unused:UNUSED_PAD src0_sel:BYTE_1 src1_sel:DWORD
	v_and_b32_e32 v211, 15, v204
	v_dot4c_i32_i8_e32 v221, v212, v8
	v_dot4c_i32_i8_e32 v121, v186, v11
	;; [unrolled: 1-line block ×3, first 2 shown]
	v_mul_lo_u32 v120, v211, v120
	v_mul_lo_u32 v204, v210, v214
	v_dot4c_i32_i8_e32 v221, v212, v9
	v_dot4c_i32_i8_e32 v220, v212, v2
	;; [unrolled: 1-line block ×3, first 2 shown]
	v_mad_u64_u32 v[218:219], s[16:17], v211, v203, v[204:205]
	v_mad_u64_u32 v[120:121], s[16:17], v210, v121, v[120:121]
	ds_read_u16 v203, v202 offset:27122
	v_dot4c_i32_i8_e32 v220, v212, v3
	v_dot4c_i32_i8_e32 v221, v212, v11
	v_cvt_f32_i32_e32 v121, v120
	v_cvt_f32_i32_e32 v120, v218
	;; [unrolled: 1-line block ×4, first 2 shown]
	s_waitcnt lgkmcnt(0)
	v_bfe_u32 v202, v203, 4, 4
	v_pk_mul_f32 v[120:121], v[116:117], v[120:121] op_sel_hi:[0,1]
	v_mul_lo_u32 v214, v202, s1
	v_pk_fma_f32 v[120:121], v[118:119], v[218:219], v[120:121] op_sel:[0,0,1] op_sel_hi:[0,1,0] neg_lo:[1,0,0] neg_hi:[1,0,0]
	v_mov_b32_e32 v220, 0
	v_mov_b32_e32 v221, 0
	v_pk_fma_f32 v[86:87], v[122:123], v[120:121], v[86:87]
	v_mov_b32_e32 v120, 0
	v_dot4c_i32_i8_e32 v220, v214, v4
	v_dot4c_i32_i8_e32 v221, v214, v12
	;; [unrolled: 1-line block ×3, first 2 shown]
	v_mov_b32_e32 v121, 0
	v_dot4c_i32_i8_e32 v220, v214, v5
	v_dot4c_i32_i8_e32 v221, v214, v13
	;; [unrolled: 1-line block ×5, first 2 shown]
	v_lshrrev_b32_sdwa v202, v169, v203 dst_sel:DWORD dst_unused:UNUSED_PAD src0_sel:DWORD src1_sel:BYTE_1
	v_dot4c_i32_i8_e32 v221, v214, v14
	v_dot4c_i32_i8_e32 v120, v198, v14
	;; [unrolled: 1-line block ×4, first 2 shown]
	v_mul_lo_u32 v204, v202, s1
	v_dot4c_i32_i8_e32 v221, v214, v15
	v_dot4c_i32_i8_e32 v120, v199, v15
	;; [unrolled: 1-line block ×4, first 2 shown]
	v_and_b32_sdwa v202, v203, v170 dst_sel:DWORD dst_unused:UNUSED_PAD src0_sel:BYTE_1 src1_sel:DWORD
	v_and_b32_e32 v203, 15, v203
	v_dot4c_i32_i8_e32 v221, v204, v8
	v_dot4c_i32_i8_e32 v121, v176, v11
	;; [unrolled: 1-line block ×3, first 2 shown]
	v_mul_lo_u32 v120, v203, v120
	v_mul_lo_u32 v218, v202, v217
	v_dot4c_i32_i8_e32 v221, v204, v9
	v_dot4c_i32_i8_e32 v220, v204, v2
	;; [unrolled: 1-line block ×3, first 2 shown]
	v_mad_u64_u32 v[218:219], s[16:17], v203, v209, v[218:219]
	v_mad_u64_u32 v[120:121], s[16:17], v202, v121, v[120:121]
	v_dot4c_i32_i8_e32 v220, v204, v3
	v_dot4c_i32_i8_e32 v221, v204, v11
	v_cvt_f32_i32_e32 v121, v120
	v_cvt_f32_i32_e32 v120, v218
	;; [unrolled: 1-line block ×4, first 2 shown]
	v_mov_b32_e32 v217, 0
	v_pk_mul_f32 v[120:121], v[108:109], v[120:121] op_sel_hi:[0,1]
	v_dot4c_i32_i8_e32 v217, v180, v12
	v_pk_fma_f32 v[120:121], v[110:111], v[218:219], v[120:121] op_sel:[0,0,1] op_sel_hi:[0,1,0] neg_lo:[1,0,0] neg_hi:[1,0,0]
	v_pk_fma_f32 v[74:75], v[122:123], v[120:121], v[74:75]
	ds_read_u16 v121, v201 offset:28146
	v_mov_b32_e32 v219, 0
	v_mov_b32_e32 v218, 0
	v_dot4c_i32_i8_e32 v217, v177, v13
	v_dot4c_i32_i8_e32 v218, v117, v8
	s_waitcnt lgkmcnt(0)
	v_bfe_u32 v120, v121, 4, 4
	v_mul_lo_u32 v209, v120, s1
	v_dot4c_i32_i8_e32 v219, v209, v4
	v_lshrrev_b32_sdwa v4, v169, v121 dst_sel:DWORD dst_unused:UNUSED_PAD src0_sel:DWORD src1_sel:BYTE_1
	v_mul_lo_u32 v201, v4, s1
	v_mov_b32_e32 v4, 0
	v_dot4c_i32_i8_e32 v219, v209, v5
	v_dot4c_i32_i8_e32 v4, v209, v12
	;; [unrolled: 1-line block ×13, first 2 shown]
	v_and_b32_sdwa v120, v121, v170 dst_sel:DWORD dst_unused:UNUSED_PAD src0_sel:BYTE_1 src1_sel:DWORD
	v_and_b32_e32 v121, 15, v121
	v_dot4c_i32_i8_e32 v4, v201, v8
	v_dot4c_i32_i8_e32 v218, v172, v11
	;; [unrolled: 1-line block ×3, first 2 shown]
	v_mul_lo_u32 v0, v121, v217
	v_mul_lo_u32 v2, v120, v216
	v_dot4c_i32_i8_e32 v4, v201, v9
                                        ; kill: def $vgpr1 killed $sgpr0 killed $exec
	v_dot4c_i32_i8_e32 v219, v201, v3
	v_dot4c_i32_i8_e32 v4, v201, v10
	v_mad_u64_u32 v[2:3], s[16:17], v121, v215, v[2:3]
	v_mad_u64_u32 v[0:1], s[16:17], v120, v218, v[0:1]
	v_dot4c_i32_i8_e32 v4, v201, v11
	v_cvt_f32_i32_e32 v1, v0
	v_cvt_f32_i32_e32 v0, v2
	;; [unrolled: 1-line block ×4, first 2 shown]
	v_mov_b32_e32 v14, 0
	v_pk_mul_f32 v[0:1], v[104:105], v[0:1] op_sel_hi:[0,1]
	v_mov_b32_e32 v216, 0
	v_pk_fma_f32 v[0:1], v[106:107], v[2:3], v[0:1] op_sel:[0,0,1] op_sel_hi:[0,1,0] neg_lo:[1,0,0] neg_hi:[1,0,0]
	v_pk_fma_f32 v[56:57], v[122:123], v[0:1], v[56:57]
	ds_read2_b32 v[8:9], v115 offset0:64 offset1:96
	ds_read_b128 v[0:3], v113 offset:2048
	ds_read_b128 v[4:7], v113 offset:2064
	v_mov_b32_e32 v122, 0
	v_mov_b32_e32 v219, 0
	;; [unrolled: 1-line block ×3, first 2 shown]
	s_waitcnt lgkmcnt(1)
	v_dot4c_i32_i8_e32 v14, v208, v0
	v_dot4c_i32_i8_e32 v122, v213, v0
	;; [unrolled: 1-line block ×13, first 2 shown]
	v_mov_b32_e32 v12, 0
	v_mov_b32_e32 v15, 0
	v_dot4c_i32_i8_e32 v122, v213, v3
	v_mov_b32_e32 v123, 0
	v_mov_b32_e32 v215, 0
	v_dot4c_i32_i8_e32 v216, v214, v3
	;; [unrolled: 3-line block ×3, first 2 shown]
	v_mov_b32_e32 v220, 0
	v_dot4c_i32_i8_e32 v11, v196, v0
	s_waitcnt lgkmcnt(0)
	v_dot4c_i32_i8_e32 v12, v183, v4
	v_dot4c_i32_i8_e32 v14, v207, v4
	;; [unrolled: 1-line block ×47, first 2 shown]
	ds_read_b128 v[4:7], v113 offset:3072
	ds_read_b128 v[0:3], v113 offset:3088
	v_mov_b32_e32 v221, 0
	v_mov_b32_e32 v10, 0
	v_mul_lo_u32 v12, v12, v205
	s_waitcnt lgkmcnt(1)
	v_dot4c_i32_i8_e32 v221, v208, v4
	v_dot4c_i32_i8_e32 v221, v208, v5
	;; [unrolled: 1-line block ×6, first 2 shown]
	s_waitcnt lgkmcnt(0)
	v_dot4c_i32_i8_e32 v222, v183, v0
	v_dot4c_i32_i8_e32 v10, v193, v6
	;; [unrolled: 1-line block ×7, first 2 shown]
                                        ; kill: def $vgpr13 killed $sgpr0 killed $exec
	v_dot4c_i32_i8_e32 v221, v207, v2
	v_dot4c_i32_i8_e32 v222, v188, v3
	v_mul_lo_u32 v10, v10, v206
	v_mad_u64_u32 v[12:13], s[16:17], v11, v206, v[12:13]
                                        ; kill: def $vgpr11 killed $sgpr0 killed $exec
	v_dot4c_i32_i8_e32 v221, v207, v3
	v_mad_u64_u32 v[10:11], s[16:17], v222, v205, v[10:11]
	v_cvt_f32_i32_e32 v11, v10
	v_cvt_f32_i32_e32 v10, v12
	;; [unrolled: 1-line block ×4, first 2 shown]
	v_mov_b32_e32 v14, 0
	v_dot4c_i32_i8_e32 v14, v213, v4
	v_dot4c_i32_i8_e32 v14, v213, v5
	v_pk_mul_f32 v[12:13], v[114:115], v[12:13] op_sel_hi:[0,1]
	v_pk_fma_f32 v[10:11], v[112:113], v[10:11], v[12:13] op_sel_hi:[0,1,1] neg_lo:[0,0,1] neg_hi:[0,0,1]
	v_pk_fma_f32 v[38:39], v[8:9], v[10:11], v[38:39]
	v_mov_b32_e32 v10, 0
	v_dot4c_i32_i8_e32 v10, v195, v4
	v_dot4c_i32_i8_e32 v14, v213, v6
	v_mov_b32_e32 v11, 0
	v_dot4c_i32_i8_e32 v10, v189, v5
	v_dot4c_i32_i8_e32 v14, v213, v7
	;; [unrolled: 1-line block ×11, first 2 shown]
	v_mul_lo_u32 v10, v10, v211
	v_mul_lo_u32 v12, v123, v210
                                        ; kill: def $vgpr13 killed $sgpr0 killed $exec
	v_dot4c_i32_i8_e32 v14, v212, v3
	v_mad_u64_u32 v[12:13], s[16:17], v15, v211, v[12:13]
	v_mad_u64_u32 v[10:11], s[16:17], v11, v210, v[10:11]
	v_cvt_f32_i32_e32 v11, v10
	v_cvt_f32_i32_e32 v10, v12
	;; [unrolled: 1-line block ×4, first 2 shown]
	v_mov_b32_e32 v14, 0
	v_dot4c_i32_i8_e32 v14, v214, v4
	v_dot4c_i32_i8_e32 v14, v214, v5
	v_pk_mul_f32 v[12:13], v[118:119], v[12:13] op_sel_hi:[0,1]
	v_pk_fma_f32 v[10:11], v[116:117], v[10:11], v[12:13] op_sel_hi:[0,1,1] neg_lo:[0,0,1] neg_hi:[0,0,1]
	v_pk_fma_f32 v[36:37], v[8:9], v[10:11], v[36:37]
	v_mov_b32_e32 v10, 0
	v_dot4c_i32_i8_e32 v10, v200, v4
	v_dot4c_i32_i8_e32 v14, v214, v6
	v_mov_b32_e32 v11, 0
	v_dot4c_i32_i8_e32 v10, v197, v5
	v_dot4c_i32_i8_e32 v14, v214, v7
	;; [unrolled: 1-line block ×11, first 2 shown]
	v_mul_lo_u32 v10, v10, v203
	v_mul_lo_u32 v12, v217, v202
                                        ; kill: def $vgpr13 killed $sgpr0 killed $exec
	v_dot4c_i32_i8_e32 v14, v204, v3
	v_mad_u64_u32 v[12:13], s[16:17], v215, v203, v[12:13]
	v_mad_u64_u32 v[10:11], s[16:17], v11, v202, v[10:11]
	v_cvt_f32_i32_e32 v11, v10
	v_cvt_f32_i32_e32 v10, v12
	;; [unrolled: 1-line block ×4, first 2 shown]
	v_mov_b32_e32 v14, 0
	v_mov_b32_e32 v122, 0
	;; [unrolled: 1-line block ×3, first 2 shown]
	v_pk_mul_f32 v[12:13], v[110:111], v[12:13] op_sel_hi:[0,1]
	v_pk_fma_f32 v[10:11], v[108:109], v[10:11], v[12:13] op_sel_hi:[0,1,1] neg_lo:[0,0,1] neg_hi:[0,0,1]
	v_pk_fma_f32 v[34:35], v[8:9], v[10:11], v[34:35]
	v_mov_b32_e32 v11, 0
	v_dot4c_i32_i8_e32 v11, v209, v4
	v_mov_b32_e32 v10, 0
	v_dot4c_i32_i8_e32 v11, v209, v5
	v_dot4c_i32_i8_e32 v10, v180, v4
	;; [unrolled: 1-line block ×3, first 2 shown]
	v_mov_b32_e32 v4, 0
	v_dot4c_i32_i8_e32 v10, v177, v5
	v_dot4c_i32_i8_e32 v11, v209, v7
	;; [unrolled: 1-line block ×11, first 2 shown]
	v_mul_lo_u32 v0, v10, v121
	v_mul_lo_u32 v2, v220, v120
                                        ; kill: def $vgpr1 killed $sgpr0 killed $exec
	v_dot4c_i32_i8_e32 v11, v201, v3
	v_mad_u64_u32 v[2:3], s[16:17], v218, v121, v[2:3]
	v_mad_u64_u32 v[0:1], s[16:17], v4, v120, v[0:1]
	v_cvt_f32_i32_e32 v1, v0
	v_cvt_f32_i32_e32 v0, v2
	;; [unrolled: 1-line block ×4, first 2 shown]
	v_mov_b32_e32 v219, 0
	v_mov_b32_e32 v11, 0
	;; [unrolled: 1-line block ×3, first 2 shown]
	v_pk_mul_f32 v[2:3], v[106:107], v[2:3] op_sel_hi:[0,1]
	v_pk_fma_f32 v[0:1], v[104:105], v[0:1], v[2:3] op_sel_hi:[0,1,1] neg_lo:[0,0,1] neg_hi:[0,0,1]
	v_pk_fma_f32 v[32:33], v[8:9], v[0:1], v[32:33]
	ds_read2_b32 v[8:9], v115 offset0:128 offset1:160
	ds_read_b128 v[0:3], v113 offset:4096
	ds_read_b128 v[4:7], v113 offset:4112
	v_mov_b32_e32 v15, 0
	v_mov_b32_e32 v123, 0
	;; [unrolled: 1-line block ×3, first 2 shown]
	s_waitcnt lgkmcnt(1)
	v_dot4c_i32_i8_e32 v14, v208, v0
	v_dot4c_i32_i8_e32 v122, v213, v0
	v_dot4c_i32_i8_e32 v216, v214, v0
	v_dot4c_i32_i8_e32 v219, v209, v0
	v_dot4c_i32_i8_e32 v14, v208, v1
	v_dot4c_i32_i8_e32 v122, v213, v1
	v_dot4c_i32_i8_e32 v216, v214, v1
	v_dot4c_i32_i8_e32 v219, v209, v1
	v_dot4c_i32_i8_e32 v14, v208, v2
	v_dot4c_i32_i8_e32 v122, v213, v2
	v_dot4c_i32_i8_e32 v216, v214, v2
	v_dot4c_i32_i8_e32 v219, v209, v2
	v_dot4c_i32_i8_e32 v14, v208, v3
	v_dot4c_i32_i8_e32 v122, v213, v3
	v_dot4c_i32_i8_e32 v216, v214, v3
	v_mov_b32_e32 v217, 0
	v_mov_b32_e32 v218, 0
	v_dot4c_i32_i8_e32 v219, v209, v3
	v_mov_b32_e32 v220, 0
	v_dot4c_i32_i8_e32 v11, v196, v0
	s_waitcnt lgkmcnt(0)
	v_dot4c_i32_i8_e32 v12, v183, v4
	v_dot4c_i32_i8_e32 v14, v207, v4
	;; [unrolled: 1-line block ×47, first 2 shown]
	ds_read_b128 v[4:7], v113 offset:5120
	ds_read_b128 v[0:3], v113 offset:5136
	v_mov_b32_e32 v221, 0
	v_mov_b32_e32 v10, 0
	;; [unrolled: 1-line block ×3, first 2 shown]
	s_waitcnt lgkmcnt(1)
	v_dot4c_i32_i8_e32 v221, v208, v4
	v_dot4c_i32_i8_e32 v221, v208, v5
	;; [unrolled: 1-line block ×6, first 2 shown]
	s_waitcnt lgkmcnt(0)
	v_dot4c_i32_i8_e32 v222, v183, v0
	v_dot4c_i32_i8_e32 v10, v193, v6
	v_dot4c_i32_i8_e32 v221, v207, v0
	v_dot4c_i32_i8_e32 v222, v184, v1
	v_dot4c_i32_i8_e32 v10, v194, v7
	v_dot4c_i32_i8_e32 v221, v207, v1
	v_dot4c_i32_i8_e32 v222, v187, v2
	v_mul_lo_u32 v12, v12, v205
                                        ; kill: def $vgpr13 killed $sgpr0 killed $exec
	v_dot4c_i32_i8_e32 v221, v207, v2
	v_dot4c_i32_i8_e32 v222, v188, v3
	v_mul_lo_u32 v10, v10, v206
	v_mad_u64_u32 v[12:13], s[16:17], v11, v206, v[12:13]
                                        ; kill: def $vgpr11 killed $sgpr0 killed $exec
	v_dot4c_i32_i8_e32 v221, v207, v3
	v_mad_u64_u32 v[10:11], s[16:17], v222, v205, v[10:11]
	v_cvt_f32_i32_e32 v11, v10
	v_cvt_f32_i32_e32 v10, v12
	v_cvt_f32_i32_e32 v13, v221
	v_cvt_f32_i32_e32 v12, v14
	v_mov_b32_e32 v14, 0
	v_dot4c_i32_i8_e32 v14, v213, v4
	v_dot4c_i32_i8_e32 v14, v213, v5
	v_pk_mul_f32 v[12:13], v[114:115], v[12:13] op_sel_hi:[0,1]
	v_pk_fma_f32 v[10:11], v[112:113], v[10:11], v[12:13] op_sel_hi:[0,1,1] neg_lo:[0,0,1] neg_hi:[0,0,1]
	v_pk_fma_f32 v[30:31], v[8:9], v[10:11], v[30:31]
	v_mov_b32_e32 v10, 0
	v_dot4c_i32_i8_e32 v10, v195, v4
	v_dot4c_i32_i8_e32 v14, v213, v6
	v_mov_b32_e32 v11, 0
	v_dot4c_i32_i8_e32 v10, v189, v5
	v_dot4c_i32_i8_e32 v14, v213, v7
	;; [unrolled: 1-line block ×11, first 2 shown]
	v_mul_lo_u32 v10, v10, v211
	v_mul_lo_u32 v12, v123, v210
                                        ; kill: def $vgpr13 killed $sgpr0 killed $exec
	v_dot4c_i32_i8_e32 v14, v212, v3
	v_mad_u64_u32 v[12:13], s[16:17], v15, v211, v[12:13]
	v_mad_u64_u32 v[10:11], s[16:17], v11, v210, v[10:11]
	v_cvt_f32_i32_e32 v11, v10
	v_cvt_f32_i32_e32 v10, v12
	;; [unrolled: 1-line block ×4, first 2 shown]
	v_mov_b32_e32 v14, 0
	v_dot4c_i32_i8_e32 v14, v214, v4
	v_dot4c_i32_i8_e32 v14, v214, v5
	v_pk_mul_f32 v[12:13], v[118:119], v[12:13] op_sel_hi:[0,1]
	v_pk_fma_f32 v[10:11], v[116:117], v[10:11], v[12:13] op_sel_hi:[0,1,1] neg_lo:[0,0,1] neg_hi:[0,0,1]
	v_pk_fma_f32 v[28:29], v[8:9], v[10:11], v[28:29]
	v_mov_b32_e32 v10, 0
	v_dot4c_i32_i8_e32 v10, v200, v4
	v_dot4c_i32_i8_e32 v14, v214, v6
	v_mov_b32_e32 v11, 0
	v_dot4c_i32_i8_e32 v10, v197, v5
	v_dot4c_i32_i8_e32 v14, v214, v7
	;; [unrolled: 1-line block ×11, first 2 shown]
	v_mul_lo_u32 v10, v10, v203
	v_mul_lo_u32 v12, v217, v202
                                        ; kill: def $vgpr13 killed $sgpr0 killed $exec
	v_dot4c_i32_i8_e32 v14, v204, v3
	v_mad_u64_u32 v[12:13], s[16:17], v215, v203, v[12:13]
	v_mad_u64_u32 v[10:11], s[16:17], v11, v202, v[10:11]
	v_cvt_f32_i32_e32 v11, v10
	v_cvt_f32_i32_e32 v10, v12
	;; [unrolled: 1-line block ×4, first 2 shown]
	v_mov_b32_e32 v215, 0
	v_mov_b32_e32 v217, 0
	;; [unrolled: 1-line block ×3, first 2 shown]
	v_pk_mul_f32 v[12:13], v[110:111], v[12:13] op_sel_hi:[0,1]
	v_pk_fma_f32 v[10:11], v[108:109], v[10:11], v[12:13] op_sel_hi:[0,1,1] neg_lo:[0,0,1] neg_hi:[0,0,1]
	v_pk_fma_f32 v[26:27], v[8:9], v[10:11], v[26:27]
	v_mov_b32_e32 v11, 0
	v_dot4c_i32_i8_e32 v11, v209, v4
	v_mov_b32_e32 v10, 0
	v_dot4c_i32_i8_e32 v11, v209, v5
	v_dot4c_i32_i8_e32 v10, v180, v4
	;; [unrolled: 1-line block ×3, first 2 shown]
	v_mov_b32_e32 v4, 0
	v_dot4c_i32_i8_e32 v10, v177, v5
	v_dot4c_i32_i8_e32 v11, v209, v7
	;; [unrolled: 1-line block ×11, first 2 shown]
	v_mul_lo_u32 v0, v10, v121
	v_mul_lo_u32 v2, v220, v120
                                        ; kill: def $vgpr1 killed $sgpr0 killed $exec
	v_dot4c_i32_i8_e32 v11, v201, v3
	v_mad_u64_u32 v[2:3], s[16:17], v218, v121, v[2:3]
	v_mad_u64_u32 v[0:1], s[16:17], v4, v120, v[0:1]
	v_cvt_f32_i32_e32 v1, v0
	v_cvt_f32_i32_e32 v0, v2
	;; [unrolled: 1-line block ×4, first 2 shown]
	v_mov_b32_e32 v13, 0
	v_mov_b32_e32 v10, 0
	;; [unrolled: 1-line block ×3, first 2 shown]
	v_pk_mul_f32 v[2:3], v[106:107], v[2:3] op_sel_hi:[0,1]
	v_pk_fma_f32 v[0:1], v[104:105], v[0:1], v[2:3] op_sel_hi:[0,1,1] neg_lo:[0,0,1] neg_hi:[0,0,1]
	v_pk_fma_f32 v[24:25], v[8:9], v[0:1], v[24:25]
	ds_read2_b32 v[8:9], v115 offset0:192 offset1:224
	ds_read_b128 v[0:3], v113 offset:6144
	ds_read_b128 v[4:7], v113 offset:6160
	v_mov_b32_e32 v216, 0
	v_mov_b32_e32 v218, 0
	;; [unrolled: 1-line block ×3, first 2 shown]
	s_waitcnt lgkmcnt(1)
	v_dot4c_i32_i8_e32 v215, v208, v0
	v_dot4c_i32_i8_e32 v217, v213, v0
	;; [unrolled: 1-line block ×15, first 2 shown]
	v_mov_b32_e32 v219, 0
	v_mov_b32_e32 v11, 0
	v_dot4c_i32_i8_e32 v10, v209, v3
	v_mov_b32_e32 v12, 0
	v_dot4c_i32_i8_e32 v15, v196, v0
	s_waitcnt lgkmcnt(0)
	v_dot4c_i32_i8_e32 v123, v183, v4
	v_dot4c_i32_i8_e32 v215, v207, v4
	;; [unrolled: 1-line block ×47, first 2 shown]
	ds_read_b128 v[4:7], v113 offset:7168
	ds_read_b128 v[0:3], v113 offset:7184
	v_mov_b32_e32 v122, 0
	s_waitcnt lgkmcnt(1)
	v_dot4c_i32_i8_e32 v122, v196, v4
	v_mov_b32_e32 v196, 0
	v_dot4c_i32_i8_e32 v196, v208, v4
	v_dot4c_i32_i8_e32 v196, v208, v5
	;; [unrolled: 1-line block ×5, first 2 shown]
	v_mov_b32_e32 v190, 0
	s_waitcnt lgkmcnt(0)
	v_dot4c_i32_i8_e32 v190, v183, v0
	v_dot4c_i32_i8_e32 v196, v207, v0
	;; [unrolled: 1-line block ×8, first 2 shown]
	v_mul_lo_u32 v184, v123, v205
	v_dot4c_i32_i8_e32 v190, v188, v3
	v_dot4c_i32_i8_e32 v196, v207, v3
	v_mul_lo_u32 v122, v122, v206
                                        ; kill: def $vgpr123 killed $sgpr0 killed $exec
	v_mad_u64_u32 v[206:207], s[16:17], v15, v206, v[184:185]
	v_mov_b32_e32 v184, 0
	v_mad_u64_u32 v[122:123], s[16:17], v190, v205, v[122:123]
	v_dot4c_i32_i8_e32 v184, v213, v4
	v_cvt_f32_i32_e32 v123, v122
	v_cvt_f32_i32_e32 v122, v206
	;; [unrolled: 1-line block ×4, first 2 shown]
	v_mov_b32_e32 v15, 0
	v_dot4c_i32_i8_e32 v184, v213, v5
	v_dot4c_i32_i8_e32 v15, v195, v4
	v_dot4c_i32_i8_e32 v184, v213, v6
	v_mov_b32_e32 v183, 0
	v_dot4c_i32_i8_e32 v15, v189, v5
	v_dot4c_i32_i8_e32 v184, v213, v7
	;; [unrolled: 1-line block ×6, first 2 shown]
	v_pk_mul_f32 v[206:207], v[114:115], v[206:207] op_sel_hi:[0,1]
	v_dot4c_i32_i8_e32 v15, v192, v7
	v_dot4c_i32_i8_e32 v184, v212, v1
	;; [unrolled: 1-line block ×3, first 2 shown]
	v_pk_fma_f32 v[122:123], v[112:113], v[122:123], v[206:207] op_sel_hi:[0,1,1] neg_lo:[0,0,1] neg_hi:[0,0,1]
	v_dot4c_i32_i8_e32 v184, v212, v2
	v_dot4c_i32_i8_e32 v183, v186, v3
	v_mul_lo_u32 v112, v15, v211
	v_mul_lo_u32 v114, v218, v210
	v_pk_fma_f32 v[22:23], v[8:9], v[122:123], v[22:23]
	v_dot4c_i32_i8_e32 v184, v212, v3
	v_mad_u64_u32 v[122:123], s[16:17], v216, v211, v[114:115]
	v_mad_u64_u32 v[182:183], s[16:17], v183, v210, v[112:113]
	v_cvt_f32_i32_e32 v123, v182
	v_cvt_f32_i32_e32 v183, v184
	v_cvt_f32_i32_e32 v182, v217
	v_cvt_f32_i32_e32 v122, v122
	v_mov_b32_e32 v15, 0
	v_dot4c_i32_i8_e32 v15, v200, v4
	v_pk_mul_f32 v[182:183], v[118:119], v[182:183] op_sel_hi:[0,1]
	v_pk_fma_f32 v[122:123], v[116:117], v[122:123], v[182:183] op_sel_hi:[0,1,1] neg_lo:[0,0,1] neg_hi:[0,0,1]
	v_mov_b32_e32 v116, 0
	v_dot4c_i32_i8_e32 v116, v214, v4
	v_dot4c_i32_i8_e32 v116, v214, v5
	;; [unrolled: 1-line block ×3, first 2 shown]
	v_mov_b32_e32 v118, 0
	v_dot4c_i32_i8_e32 v15, v197, v5
	v_dot4c_i32_i8_e32 v116, v214, v7
	;; [unrolled: 1-line block ×11, first 2 shown]
	v_mul_lo_u32 v112, v15, v203
	v_mul_lo_u32 v114, v219, v202
	v_pk_fma_f32 v[20:21], v[8:9], v[122:123], v[20:21]
	v_dot4c_i32_i8_e32 v116, v204, v3
	v_mad_u64_u32 v[14:15], s[16:17], v14, v203, v[114:115]
	v_mad_u64_u32 v[122:123], s[16:17], v118, v202, v[112:113]
	v_cvt_f32_i32_e32 v15, v122
	v_cvt_f32_i32_e32 v123, v116
	;; [unrolled: 1-line block ×4, first 2 shown]
	v_mov_b32_e32 v13, 0
	v_dot4c_i32_i8_e32 v13, v180, v4
	v_pk_mul_f32 v[122:123], v[110:111], v[122:123] op_sel_hi:[0,1]
	v_pk_fma_f32 v[14:15], v[108:109], v[14:15], v[122:123] op_sel_hi:[0,1,1] neg_lo:[0,0,1] neg_hi:[0,0,1]
	v_pk_fma_f32 v[18:19], v[8:9], v[14:15], v[18:19]
	v_mov_b32_e32 v14, 0
	v_dot4c_i32_i8_e32 v14, v209, v4
	v_dot4c_i32_i8_e32 v14, v209, v5
	;; [unrolled: 1-line block ×3, first 2 shown]
	v_mov_b32_e32 v4, 0
	v_dot4c_i32_i8_e32 v13, v177, v5
	v_dot4c_i32_i8_e32 v14, v209, v7
	;; [unrolled: 1-line block ×11, first 2 shown]
	v_mul_lo_u32 v0, v13, v121
	v_mul_lo_u32 v2, v12, v120
                                        ; kill: def $vgpr1 killed $sgpr0 killed $exec
	v_dot4c_i32_i8_e32 v14, v201, v3
	v_mad_u64_u32 v[2:3], s[16:17], v11, v121, v[2:3]
	v_mad_u64_u32 v[0:1], s[16:17], v4, v120, v[0:1]
	v_cvt_f32_i32_e32 v1, v0
	v_cvt_f32_i32_e32 v0, v2
	;; [unrolled: 1-line block ×4, first 2 shown]
	v_add_u32_e32 v115, 4, v115
	v_add_u32_e32 v113, 32, v113
	s_mov_b32 s16, s15
	v_pk_mul_f32 v[2:3], v[106:107], v[2:3] op_sel_hi:[0,1]
	v_pk_fma_f32 v[0:1], v[104:105], v[0:1], v[2:3] op_sel_hi:[0,1,1] neg_lo:[0,0,1] neg_hi:[0,0,1]
	v_pk_fma_f32 v[16:17], v[8:9], v[0:1], v[16:17]
	s_cbranch_scc1 .LBB167_14
; %bb.15:                               ;   in Loop: Header=BB167_6 Depth=1
	s_barrier
	s_branch .LBB167_5
.LBB167_16:
	v_mov_b32_e32 v1, v45
.LBB167_17:
	v_cmp_gt_u32_e32 vcc, s8, v49
	s_and_saveexec_b64 s[0:1], vcc
	s_cbranch_execz .LBB167_68
; %bb.18:
	v_add_u32_e32 v0, s14, v41
	v_mul_lo_u32 v5, v49, s10
	v_cmp_gt_u32_e32 vcc, s10, v0
	s_and_saveexec_b64 s[2:3], vcc
	s_cbranch_execz .LBB167_20
; %bb.19:
	v_bfe_u32 v2, v79, 16, 1
	s_movk_i32 s0, 0x7fff
	v_add3_u32 v2, v79, v2, s0
	v_lshrrev_b32_e32 v2, 16, v2
	v_mov_b32_e32 v3, 0x7fc0
	v_cmp_o_f32_e64 s[0:1], v79, v79
	s_nop 1
	v_cndmask_b32_e64 v4, v3, v2, s[0:1]
	v_add_u32_e32 v2, v0, v5
	v_mov_b32_e32 v3, 0
	s_waitcnt lgkmcnt(0)
	v_lshl_add_u64 v[2:3], v[2:3], 1, s[12:13]
	global_store_short v[2:3], v4, off
.LBB167_20:
	s_or_b64 exec, exec, s[2:3]
	v_add_u32_e32 v2, 32, v0
	v_cmp_gt_u32_e64 s[0:1], s10, v2
	s_and_saveexec_b64 s[4:5], s[0:1]
	s_cbranch_execz .LBB167_22
; %bb.21:
	v_bfe_u32 v3, v87, 16, 1
	s_movk_i32 s2, 0x7fff
	v_add3_u32 v3, v87, v3, s2
	v_lshrrev_b32_e32 v3, 16, v3
	v_mov_b32_e32 v4, 0x7fc0
	v_cmp_o_f32_e64 s[2:3], v87, v87
	v_add_u32_e32 v6, v2, v5
	v_mov_b32_e32 v7, 0
	v_cndmask_b32_e64 v3, v4, v3, s[2:3]
	s_waitcnt lgkmcnt(0)
	v_lshl_add_u64 v[6:7], v[6:7], 1, s[12:13]
	global_store_short v[6:7], v3, off
.LBB167_22:
	s_or_b64 exec, exec, s[4:5]
	v_add_u32_e32 v3, 64, v0
	v_cmp_gt_u32_e64 s[2:3], s10, v3
	s_and_saveexec_b64 s[6:7], s[2:3]
	s_cbranch_execz .LBB167_24
; %bb.23:
	v_bfe_u32 v4, v75, 16, 1
	s_movk_i32 s4, 0x7fff
	v_add3_u32 v4, v75, v4, s4
	v_lshrrev_b32_e32 v4, 16, v4
	v_mov_b32_e32 v6, 0x7fc0
	v_cmp_o_f32_e64 s[4:5], v75, v75
	v_mov_b32_e32 v7, 0
	s_nop 0
	v_cndmask_b32_e64 v4, v6, v4, s[4:5]
	v_add_u32_e32 v6, v3, v5
	s_waitcnt lgkmcnt(0)
	v_lshl_add_u64 v[6:7], v[6:7], 1, s[12:13]
	global_store_short v[6:7], v4, off
.LBB167_24:
	s_or_b64 exec, exec, s[6:7]
	v_add_u32_e32 v4, 0x60, v0
	v_cmp_gt_u32_e64 s[4:5], s10, v4
	s_and_saveexec_b64 s[14:15], s[4:5]
	s_cbranch_execz .LBB167_26
; %bb.25:
	v_bfe_u32 v6, v57, 16, 1
	s_movk_i32 s6, 0x7fff
	v_add3_u32 v6, v57, v6, s6
	v_lshrrev_b32_e32 v6, 16, v6
	v_mov_b32_e32 v7, 0x7fc0
	v_cmp_o_f32_e64 s[6:7], v57, v57
	s_nop 1
	v_cndmask_b32_e64 v8, v7, v6, s[6:7]
	v_add_u32_e32 v6, v4, v5
	v_mov_b32_e32 v7, 0
	s_waitcnt lgkmcnt(0)
	v_lshl_add_u64 v[6:7], v[6:7], 1, s[12:13]
	global_store_short v[6:7], v8, off
.LBB167_26:
	s_or_b64 exec, exec, s[14:15]
	v_add3_u32 v5, v1, s11, 8
	v_cmp_gt_u32_e64 s[6:7], s8, v5
	s_and_b64 exec, exec, s[6:7]
	s_cbranch_execz .LBB167_68
; %bb.27:
	v_mul_lo_u32 v5, v5, s10
	s_and_saveexec_b64 s[14:15], vcc
	s_cbranch_execnz .LBB167_69
; %bb.28:
	s_or_b64 exec, exec, s[14:15]
	s_and_saveexec_b64 s[14:15], s[0:1]
	s_cbranch_execnz .LBB167_70
.LBB167_29:
	s_or_b64 exec, exec, s[14:15]
	s_and_saveexec_b64 s[14:15], s[2:3]
	s_cbranch_execnz .LBB167_71
.LBB167_30:
	s_or_b64 exec, exec, s[14:15]
	s_and_saveexec_b64 s[14:15], s[4:5]
	s_cbranch_execz .LBB167_32
.LBB167_31:
	v_bfe_u32 v6, v56, 16, 1
	s_movk_i32 s6, 0x7fff
	v_add3_u32 v6, v56, v6, s6
	v_lshrrev_b32_e32 v6, 16, v6
	v_mov_b32_e32 v7, 0x7fc0
	v_cmp_o_f32_e64 s[6:7], v56, v56
	s_nop 1
	v_cndmask_b32_e64 v8, v7, v6, s[6:7]
	v_add_u32_e32 v6, v5, v4
	v_mov_b32_e32 v7, 0
	s_waitcnt lgkmcnt(0)
	v_lshl_add_u64 v[6:7], v[6:7], 1, s[12:13]
	global_store_short v[6:7], v8, off
.LBB167_32:
	s_or_b64 exec, exec, s[14:15]
	v_add3_u32 v5, v1, s11, 16
	v_cmp_gt_u32_e64 s[6:7], s8, v5
	s_and_b64 exec, exec, s[6:7]
	s_cbranch_execz .LBB167_68
; %bb.33:
	v_mul_lo_u32 v5, v5, s10
	s_and_saveexec_b64 s[14:15], vcc
	s_cbranch_execnz .LBB167_72
; %bb.34:
	s_or_b64 exec, exec, s[14:15]
	s_and_saveexec_b64 s[14:15], s[0:1]
	s_cbranch_execnz .LBB167_73
.LBB167_35:
	s_or_b64 exec, exec, s[14:15]
	s_and_saveexec_b64 s[14:15], s[2:3]
	s_cbranch_execnz .LBB167_74
.LBB167_36:
	s_or_b64 exec, exec, s[14:15]
	s_and_saveexec_b64 s[14:15], s[4:5]
	s_cbranch_execz .LBB167_38
.LBB167_37:
	v_bfe_u32 v6, v32, 16, 1
	s_movk_i32 s6, 0x7fff
	v_add3_u32 v6, v32, v6, s6
	v_lshrrev_b32_e32 v6, 16, v6
	v_mov_b32_e32 v7, 0x7fc0
	v_cmp_o_f32_e64 s[6:7], v32, v32
	s_nop 1
	v_cndmask_b32_e64 v8, v7, v6, s[6:7]
	v_add_u32_e32 v6, v5, v4
	v_mov_b32_e32 v7, 0
	s_waitcnt lgkmcnt(0)
	v_lshl_add_u64 v[6:7], v[6:7], 1, s[12:13]
	global_store_short v[6:7], v8, off
.LBB167_38:
	s_or_b64 exec, exec, s[14:15]
	v_add3_u32 v5, v1, s11, 24
	v_cmp_gt_u32_e64 s[6:7], s8, v5
	s_and_b64 exec, exec, s[6:7]
	s_cbranch_execz .LBB167_68
; %bb.39:
	v_mul_lo_u32 v5, v5, s10
	s_and_saveexec_b64 s[14:15], vcc
	s_cbranch_execnz .LBB167_75
; %bb.40:
	s_or_b64 exec, exec, s[14:15]
	s_and_saveexec_b64 s[14:15], s[0:1]
	s_cbranch_execnz .LBB167_76
.LBB167_41:
	s_or_b64 exec, exec, s[14:15]
	s_and_saveexec_b64 s[14:15], s[2:3]
	s_cbranch_execnz .LBB167_77
.LBB167_42:
	s_or_b64 exec, exec, s[14:15]
	s_and_saveexec_b64 s[14:15], s[4:5]
	s_cbranch_execz .LBB167_44
.LBB167_43:
	v_bfe_u32 v6, v33, 16, 1
	s_movk_i32 s6, 0x7fff
	v_add3_u32 v6, v33, v6, s6
	v_lshrrev_b32_e32 v6, 16, v6
	v_mov_b32_e32 v7, 0x7fc0
	v_cmp_o_f32_e64 s[6:7], v33, v33
	s_nop 1
	v_cndmask_b32_e64 v8, v7, v6, s[6:7]
	v_add_u32_e32 v6, v5, v4
	v_mov_b32_e32 v7, 0
	s_waitcnt lgkmcnt(0)
	v_lshl_add_u64 v[6:7], v[6:7], 1, s[12:13]
	global_store_short v[6:7], v8, off
.LBB167_44:
	s_or_b64 exec, exec, s[14:15]
	v_add3_u32 v5, v1, s11, 32
	v_cmp_gt_u32_e64 s[6:7], s8, v5
	s_and_b64 exec, exec, s[6:7]
	s_cbranch_execz .LBB167_68
; %bb.45:
	v_mul_lo_u32 v5, v5, s10
	s_and_saveexec_b64 s[14:15], vcc
	s_cbranch_execnz .LBB167_78
; %bb.46:
	s_or_b64 exec, exec, s[14:15]
	s_and_saveexec_b64 s[14:15], s[0:1]
	s_cbranch_execnz .LBB167_79
.LBB167_47:
	s_or_b64 exec, exec, s[14:15]
	s_and_saveexec_b64 s[14:15], s[2:3]
	s_cbranch_execnz .LBB167_80
.LBB167_48:
	s_or_b64 exec, exec, s[14:15]
	s_and_saveexec_b64 s[14:15], s[4:5]
	s_cbranch_execz .LBB167_50
.LBB167_49:
	v_bfe_u32 v6, v24, 16, 1
	s_movk_i32 s6, 0x7fff
	v_add3_u32 v6, v24, v6, s6
	v_lshrrev_b32_e32 v6, 16, v6
	v_mov_b32_e32 v7, 0x7fc0
	v_cmp_o_f32_e64 s[6:7], v24, v24
	s_nop 1
	v_cndmask_b32_e64 v8, v7, v6, s[6:7]
	v_add_u32_e32 v6, v5, v4
	v_mov_b32_e32 v7, 0
	s_waitcnt lgkmcnt(0)
	v_lshl_add_u64 v[6:7], v[6:7], 1, s[12:13]
	global_store_short v[6:7], v8, off
.LBB167_50:
	s_or_b64 exec, exec, s[14:15]
	v_add3_u32 v5, v1, s11, 40
	v_cmp_gt_u32_e64 s[6:7], s8, v5
	s_and_b64 exec, exec, s[6:7]
	s_cbranch_execz .LBB167_68
; %bb.51:
	v_mul_lo_u32 v5, v5, s10
	s_and_saveexec_b64 s[14:15], vcc
	s_cbranch_execnz .LBB167_81
; %bb.52:
	s_or_b64 exec, exec, s[14:15]
	s_and_saveexec_b64 s[14:15], s[0:1]
	s_cbranch_execnz .LBB167_82
.LBB167_53:
	s_or_b64 exec, exec, s[14:15]
	s_and_saveexec_b64 s[14:15], s[2:3]
	s_cbranch_execnz .LBB167_83
.LBB167_54:
	s_or_b64 exec, exec, s[14:15]
	s_and_saveexec_b64 s[14:15], s[4:5]
	s_cbranch_execz .LBB167_56
.LBB167_55:
	v_bfe_u32 v6, v25, 16, 1
	s_movk_i32 s6, 0x7fff
	v_add3_u32 v6, v25, v6, s6
	v_lshrrev_b32_e32 v6, 16, v6
	v_mov_b32_e32 v7, 0x7fc0
	v_cmp_o_f32_e64 s[6:7], v25, v25
	s_nop 1
	v_cndmask_b32_e64 v8, v7, v6, s[6:7]
	v_add_u32_e32 v6, v5, v4
	v_mov_b32_e32 v7, 0
	s_waitcnt lgkmcnt(0)
	v_lshl_add_u64 v[6:7], v[6:7], 1, s[12:13]
	global_store_short v[6:7], v8, off
.LBB167_56:
	s_or_b64 exec, exec, s[14:15]
	v_add3_u32 v5, v1, s11, 48
	v_cmp_gt_u32_e64 s[6:7], s8, v5
	s_and_b64 exec, exec, s[6:7]
	s_cbranch_execz .LBB167_68
; %bb.57:
	v_mul_lo_u32 v5, v5, s10
	s_and_saveexec_b64 s[14:15], vcc
	s_cbranch_execnz .LBB167_84
; %bb.58:
	s_or_b64 exec, exec, s[14:15]
	s_and_saveexec_b64 s[14:15], s[0:1]
	s_cbranch_execnz .LBB167_85
.LBB167_59:
	s_or_b64 exec, exec, s[14:15]
	s_and_saveexec_b64 s[14:15], s[2:3]
	s_cbranch_execnz .LBB167_86
.LBB167_60:
	s_or_b64 exec, exec, s[14:15]
	s_and_saveexec_b64 s[14:15], s[4:5]
	s_cbranch_execz .LBB167_62
.LBB167_61:
	v_bfe_u32 v6, v16, 16, 1
	s_movk_i32 s6, 0x7fff
	v_add3_u32 v6, v16, v6, s6
	v_lshrrev_b32_e32 v6, 16, v6
	v_mov_b32_e32 v7, 0x7fc0
	v_cmp_o_f32_e64 s[6:7], v16, v16
	s_nop 1
	v_cndmask_b32_e64 v8, v7, v6, s[6:7]
	v_add_u32_e32 v6, v5, v4
	v_mov_b32_e32 v7, 0
	s_waitcnt lgkmcnt(0)
	v_lshl_add_u64 v[6:7], v[6:7], 1, s[12:13]
	global_store_short v[6:7], v8, off
.LBB167_62:
	s_or_b64 exec, exec, s[14:15]
	v_add3_u32 v1, v1, s11, 56
	v_cmp_gt_u32_e64 s[6:7], s8, v1
	s_and_b64 exec, exec, s[6:7]
	s_cbranch_execz .LBB167_68
; %bb.63:
	v_mul_lo_u32 v1, v1, s10
	s_and_saveexec_b64 s[6:7], vcc
	s_cbranch_execnz .LBB167_87
; %bb.64:
	s_or_b64 exec, exec, s[6:7]
	s_and_saveexec_b64 s[6:7], s[0:1]
	s_cbranch_execnz .LBB167_88
.LBB167_65:
	s_or_b64 exec, exec, s[6:7]
	s_and_saveexec_b64 s[0:1], s[2:3]
	s_cbranch_execnz .LBB167_89
.LBB167_66:
	s_or_b64 exec, exec, s[0:1]
	s_and_b64 exec, exec, s[4:5]
	s_cbranch_execz .LBB167_68
.LBB167_67:
	v_bfe_u32 v0, v17, 16, 1
	s_movk_i32 s0, 0x7fff
	v_add3_u32 v0, v17, v0, s0
	v_lshrrev_b32_e32 v0, 16, v0
	v_mov_b32_e32 v2, 0x7fc0
	v_cmp_o_f32_e32 vcc, v17, v17
	s_nop 1
	v_cndmask_b32_e32 v2, v2, v0, vcc
	v_add_u32_e32 v0, v1, v4
	v_mov_b32_e32 v1, 0
	s_waitcnt lgkmcnt(0)
	v_lshl_add_u64 v[0:1], v[0:1], 1, s[12:13]
	global_store_short v[0:1], v2, off
.LBB167_68:
	s_endpgm
.LBB167_69:
	v_bfe_u32 v6, v78, 16, 1
	s_movk_i32 s6, 0x7fff
	v_add3_u32 v6, v78, v6, s6
	v_lshrrev_b32_e32 v6, 16, v6
	v_mov_b32_e32 v7, 0x7fc0
	v_cmp_o_f32_e64 s[6:7], v78, v78
	s_nop 1
	v_cndmask_b32_e64 v8, v7, v6, s[6:7]
	v_add_u32_e32 v6, v5, v0
	v_mov_b32_e32 v7, 0
	s_waitcnt lgkmcnt(0)
	v_lshl_add_u64 v[6:7], v[6:7], 1, s[12:13]
	global_store_short v[6:7], v8, off
	s_or_b64 exec, exec, s[14:15]
	s_and_saveexec_b64 s[14:15], s[0:1]
	s_cbranch_execz .LBB167_29
.LBB167_70:
	v_bfe_u32 v6, v86, 16, 1
	s_movk_i32 s6, 0x7fff
	v_add3_u32 v6, v86, v6, s6
	v_lshrrev_b32_e32 v6, 16, v6
	v_mov_b32_e32 v7, 0x7fc0
	v_cmp_o_f32_e64 s[6:7], v86, v86
	s_nop 1
	v_cndmask_b32_e64 v8, v7, v6, s[6:7]
	v_add_u32_e32 v6, v5, v2
	v_mov_b32_e32 v7, 0
	s_waitcnt lgkmcnt(0)
	v_lshl_add_u64 v[6:7], v[6:7], 1, s[12:13]
	global_store_short v[6:7], v8, off
	s_or_b64 exec, exec, s[14:15]
	s_and_saveexec_b64 s[14:15], s[2:3]
	s_cbranch_execz .LBB167_30
.LBB167_71:
	v_bfe_u32 v6, v74, 16, 1
	s_movk_i32 s6, 0x7fff
	v_add3_u32 v6, v74, v6, s6
	v_lshrrev_b32_e32 v6, 16, v6
	v_mov_b32_e32 v7, 0x7fc0
	v_cmp_o_f32_e64 s[6:7], v74, v74
	s_nop 1
	v_cndmask_b32_e64 v8, v7, v6, s[6:7]
	v_add_u32_e32 v6, v5, v3
	v_mov_b32_e32 v7, 0
	s_waitcnt lgkmcnt(0)
	v_lshl_add_u64 v[6:7], v[6:7], 1, s[12:13]
	global_store_short v[6:7], v8, off
	s_or_b64 exec, exec, s[14:15]
	s_and_saveexec_b64 s[14:15], s[4:5]
	s_cbranch_execnz .LBB167_31
	s_branch .LBB167_32
.LBB167_72:
	v_bfe_u32 v6, v38, 16, 1
	s_movk_i32 s6, 0x7fff
	v_add3_u32 v6, v38, v6, s6
	v_lshrrev_b32_e32 v6, 16, v6
	v_mov_b32_e32 v7, 0x7fc0
	v_cmp_o_f32_e64 s[6:7], v38, v38
	s_nop 1
	v_cndmask_b32_e64 v8, v7, v6, s[6:7]
	v_add_u32_e32 v6, v5, v0
	v_mov_b32_e32 v7, 0
	s_waitcnt lgkmcnt(0)
	v_lshl_add_u64 v[6:7], v[6:7], 1, s[12:13]
	global_store_short v[6:7], v8, off
	s_or_b64 exec, exec, s[14:15]
	s_and_saveexec_b64 s[14:15], s[0:1]
	s_cbranch_execz .LBB167_35
.LBB167_73:
	v_bfe_u32 v6, v36, 16, 1
	s_movk_i32 s6, 0x7fff
	v_add3_u32 v6, v36, v6, s6
	v_lshrrev_b32_e32 v6, 16, v6
	v_mov_b32_e32 v7, 0x7fc0
	v_cmp_o_f32_e64 s[6:7], v36, v36
	s_nop 1
	v_cndmask_b32_e64 v8, v7, v6, s[6:7]
	v_add_u32_e32 v6, v5, v2
	v_mov_b32_e32 v7, 0
	s_waitcnt lgkmcnt(0)
	v_lshl_add_u64 v[6:7], v[6:7], 1, s[12:13]
	global_store_short v[6:7], v8, off
	s_or_b64 exec, exec, s[14:15]
	s_and_saveexec_b64 s[14:15], s[2:3]
	s_cbranch_execz .LBB167_36
.LBB167_74:
	v_bfe_u32 v6, v34, 16, 1
	s_movk_i32 s6, 0x7fff
	v_add3_u32 v6, v34, v6, s6
	v_lshrrev_b32_e32 v6, 16, v6
	v_mov_b32_e32 v7, 0x7fc0
	v_cmp_o_f32_e64 s[6:7], v34, v34
	s_nop 1
	v_cndmask_b32_e64 v8, v7, v6, s[6:7]
	v_add_u32_e32 v6, v5, v3
	v_mov_b32_e32 v7, 0
	s_waitcnt lgkmcnt(0)
	v_lshl_add_u64 v[6:7], v[6:7], 1, s[12:13]
	global_store_short v[6:7], v8, off
	s_or_b64 exec, exec, s[14:15]
	s_and_saveexec_b64 s[14:15], s[4:5]
	s_cbranch_execnz .LBB167_37
	s_branch .LBB167_38
.LBB167_75:
	v_bfe_u32 v6, v39, 16, 1
	s_movk_i32 s6, 0x7fff
	v_add3_u32 v6, v39, v6, s6
	v_lshrrev_b32_e32 v6, 16, v6
	v_mov_b32_e32 v7, 0x7fc0
	v_cmp_o_f32_e64 s[6:7], v39, v39
	s_nop 1
	v_cndmask_b32_e64 v8, v7, v6, s[6:7]
	v_add_u32_e32 v6, v5, v0
	v_mov_b32_e32 v7, 0
	s_waitcnt lgkmcnt(0)
	v_lshl_add_u64 v[6:7], v[6:7], 1, s[12:13]
	global_store_short v[6:7], v8, off
	s_or_b64 exec, exec, s[14:15]
	s_and_saveexec_b64 s[14:15], s[0:1]
	s_cbranch_execz .LBB167_41
.LBB167_76:
	v_bfe_u32 v6, v37, 16, 1
	s_movk_i32 s6, 0x7fff
	v_add3_u32 v6, v37, v6, s6
	v_lshrrev_b32_e32 v6, 16, v6
	v_mov_b32_e32 v7, 0x7fc0
	v_cmp_o_f32_e64 s[6:7], v37, v37
	s_nop 1
	v_cndmask_b32_e64 v8, v7, v6, s[6:7]
	v_add_u32_e32 v6, v5, v2
	v_mov_b32_e32 v7, 0
	s_waitcnt lgkmcnt(0)
	v_lshl_add_u64 v[6:7], v[6:7], 1, s[12:13]
	global_store_short v[6:7], v8, off
	s_or_b64 exec, exec, s[14:15]
	s_and_saveexec_b64 s[14:15], s[2:3]
	s_cbranch_execz .LBB167_42
.LBB167_77:
	v_bfe_u32 v6, v35, 16, 1
	s_movk_i32 s6, 0x7fff
	v_add3_u32 v6, v35, v6, s6
	v_lshrrev_b32_e32 v6, 16, v6
	v_mov_b32_e32 v7, 0x7fc0
	v_cmp_o_f32_e64 s[6:7], v35, v35
	s_nop 1
	v_cndmask_b32_e64 v8, v7, v6, s[6:7]
	v_add_u32_e32 v6, v5, v3
	v_mov_b32_e32 v7, 0
	s_waitcnt lgkmcnt(0)
	v_lshl_add_u64 v[6:7], v[6:7], 1, s[12:13]
	global_store_short v[6:7], v8, off
	s_or_b64 exec, exec, s[14:15]
	s_and_saveexec_b64 s[14:15], s[4:5]
	s_cbranch_execnz .LBB167_43
	s_branch .LBB167_44
.LBB167_78:
	v_bfe_u32 v6, v30, 16, 1
	s_movk_i32 s6, 0x7fff
	v_add3_u32 v6, v30, v6, s6
	v_lshrrev_b32_e32 v6, 16, v6
	v_mov_b32_e32 v7, 0x7fc0
	v_cmp_o_f32_e64 s[6:7], v30, v30
	s_nop 1
	v_cndmask_b32_e64 v8, v7, v6, s[6:7]
	v_add_u32_e32 v6, v5, v0
	v_mov_b32_e32 v7, 0
	s_waitcnt lgkmcnt(0)
	v_lshl_add_u64 v[6:7], v[6:7], 1, s[12:13]
	global_store_short v[6:7], v8, off
	s_or_b64 exec, exec, s[14:15]
	s_and_saveexec_b64 s[14:15], s[0:1]
	s_cbranch_execz .LBB167_47
.LBB167_79:
	v_bfe_u32 v6, v28, 16, 1
	s_movk_i32 s6, 0x7fff
	v_add3_u32 v6, v28, v6, s6
	v_lshrrev_b32_e32 v6, 16, v6
	v_mov_b32_e32 v7, 0x7fc0
	v_cmp_o_f32_e64 s[6:7], v28, v28
	s_nop 1
	v_cndmask_b32_e64 v8, v7, v6, s[6:7]
	v_add_u32_e32 v6, v5, v2
	v_mov_b32_e32 v7, 0
	s_waitcnt lgkmcnt(0)
	v_lshl_add_u64 v[6:7], v[6:7], 1, s[12:13]
	global_store_short v[6:7], v8, off
	s_or_b64 exec, exec, s[14:15]
	s_and_saveexec_b64 s[14:15], s[2:3]
	s_cbranch_execz .LBB167_48
.LBB167_80:
	v_bfe_u32 v6, v26, 16, 1
	s_movk_i32 s6, 0x7fff
	v_add3_u32 v6, v26, v6, s6
	v_lshrrev_b32_e32 v6, 16, v6
	v_mov_b32_e32 v7, 0x7fc0
	v_cmp_o_f32_e64 s[6:7], v26, v26
	s_nop 1
	v_cndmask_b32_e64 v8, v7, v6, s[6:7]
	v_add_u32_e32 v6, v5, v3
	v_mov_b32_e32 v7, 0
	s_waitcnt lgkmcnt(0)
	v_lshl_add_u64 v[6:7], v[6:7], 1, s[12:13]
	global_store_short v[6:7], v8, off
	s_or_b64 exec, exec, s[14:15]
	s_and_saveexec_b64 s[14:15], s[4:5]
	s_cbranch_execnz .LBB167_49
	s_branch .LBB167_50
.LBB167_81:
	v_bfe_u32 v6, v31, 16, 1
	s_movk_i32 s6, 0x7fff
	v_add3_u32 v6, v31, v6, s6
	v_lshrrev_b32_e32 v6, 16, v6
	v_mov_b32_e32 v7, 0x7fc0
	v_cmp_o_f32_e64 s[6:7], v31, v31
	s_nop 1
	v_cndmask_b32_e64 v8, v7, v6, s[6:7]
	v_add_u32_e32 v6, v5, v0
	v_mov_b32_e32 v7, 0
	s_waitcnt lgkmcnt(0)
	v_lshl_add_u64 v[6:7], v[6:7], 1, s[12:13]
	global_store_short v[6:7], v8, off
	s_or_b64 exec, exec, s[14:15]
	s_and_saveexec_b64 s[14:15], s[0:1]
	s_cbranch_execz .LBB167_53
.LBB167_82:
	v_bfe_u32 v6, v29, 16, 1
	s_movk_i32 s6, 0x7fff
	v_add3_u32 v6, v29, v6, s6
	v_lshrrev_b32_e32 v6, 16, v6
	v_mov_b32_e32 v7, 0x7fc0
	v_cmp_o_f32_e64 s[6:7], v29, v29
	s_nop 1
	v_cndmask_b32_e64 v8, v7, v6, s[6:7]
	v_add_u32_e32 v6, v5, v2
	v_mov_b32_e32 v7, 0
	s_waitcnt lgkmcnt(0)
	v_lshl_add_u64 v[6:7], v[6:7], 1, s[12:13]
	global_store_short v[6:7], v8, off
	s_or_b64 exec, exec, s[14:15]
	s_and_saveexec_b64 s[14:15], s[2:3]
	s_cbranch_execz .LBB167_54
.LBB167_83:
	v_bfe_u32 v6, v27, 16, 1
	s_movk_i32 s6, 0x7fff
	v_add3_u32 v6, v27, v6, s6
	v_lshrrev_b32_e32 v6, 16, v6
	v_mov_b32_e32 v7, 0x7fc0
	v_cmp_o_f32_e64 s[6:7], v27, v27
	s_nop 1
	v_cndmask_b32_e64 v8, v7, v6, s[6:7]
	v_add_u32_e32 v6, v5, v3
	v_mov_b32_e32 v7, 0
	s_waitcnt lgkmcnt(0)
	v_lshl_add_u64 v[6:7], v[6:7], 1, s[12:13]
	global_store_short v[6:7], v8, off
	s_or_b64 exec, exec, s[14:15]
	s_and_saveexec_b64 s[14:15], s[4:5]
	s_cbranch_execnz .LBB167_55
	s_branch .LBB167_56
.LBB167_84:
	v_bfe_u32 v6, v22, 16, 1
	s_movk_i32 s6, 0x7fff
	v_add3_u32 v6, v22, v6, s6
	v_lshrrev_b32_e32 v6, 16, v6
	v_mov_b32_e32 v7, 0x7fc0
	v_cmp_o_f32_e64 s[6:7], v22, v22
	s_nop 1
	v_cndmask_b32_e64 v8, v7, v6, s[6:7]
	v_add_u32_e32 v6, v5, v0
	v_mov_b32_e32 v7, 0
	s_waitcnt lgkmcnt(0)
	v_lshl_add_u64 v[6:7], v[6:7], 1, s[12:13]
	global_store_short v[6:7], v8, off
	s_or_b64 exec, exec, s[14:15]
	s_and_saveexec_b64 s[14:15], s[0:1]
	s_cbranch_execz .LBB167_59
.LBB167_85:
	v_bfe_u32 v6, v20, 16, 1
	s_movk_i32 s6, 0x7fff
	v_add3_u32 v6, v20, v6, s6
	v_lshrrev_b32_e32 v6, 16, v6
	v_mov_b32_e32 v7, 0x7fc0
	v_cmp_o_f32_e64 s[6:7], v20, v20
	s_nop 1
	v_cndmask_b32_e64 v8, v7, v6, s[6:7]
	v_add_u32_e32 v6, v5, v2
	v_mov_b32_e32 v7, 0
	s_waitcnt lgkmcnt(0)
	v_lshl_add_u64 v[6:7], v[6:7], 1, s[12:13]
	global_store_short v[6:7], v8, off
	s_or_b64 exec, exec, s[14:15]
	s_and_saveexec_b64 s[14:15], s[2:3]
	s_cbranch_execz .LBB167_60
.LBB167_86:
	v_bfe_u32 v6, v18, 16, 1
	s_movk_i32 s6, 0x7fff
	v_add3_u32 v6, v18, v6, s6
	v_lshrrev_b32_e32 v6, 16, v6
	v_mov_b32_e32 v7, 0x7fc0
	v_cmp_o_f32_e64 s[6:7], v18, v18
	s_nop 1
	v_cndmask_b32_e64 v8, v7, v6, s[6:7]
	v_add_u32_e32 v6, v5, v3
	v_mov_b32_e32 v7, 0
	s_waitcnt lgkmcnt(0)
	v_lshl_add_u64 v[6:7], v[6:7], 1, s[12:13]
	global_store_short v[6:7], v8, off
	s_or_b64 exec, exec, s[14:15]
	s_and_saveexec_b64 s[14:15], s[4:5]
	s_cbranch_execnz .LBB167_61
	s_branch .LBB167_62
.LBB167_87:
	v_bfe_u32 v5, v23, 16, 1
	s_movk_i32 s8, 0x7fff
	v_add3_u32 v5, v23, v5, s8
	v_lshrrev_b32_e32 v5, 16, v5
	v_mov_b32_e32 v6, 0x7fc0
	v_cmp_o_f32_e32 vcc, v23, v23
	v_mov_b32_e32 v7, 0
	s_nop 0
	v_cndmask_b32_e32 v5, v6, v5, vcc
	v_add_u32_e32 v6, v1, v0
	s_waitcnt lgkmcnt(0)
	v_lshl_add_u64 v[6:7], v[6:7], 1, s[12:13]
	global_store_short v[6:7], v5, off
	s_or_b64 exec, exec, s[6:7]
	s_and_saveexec_b64 s[6:7], s[0:1]
	s_cbranch_execz .LBB167_65
.LBB167_88:
	v_bfe_u32 v0, v21, 16, 1
	s_movk_i32 s0, 0x7fff
	v_add3_u32 v0, v21, v0, s0
	v_lshrrev_b32_e32 v0, 16, v0
	v_mov_b32_e32 v5, 0x7fc0
	v_cmp_o_f32_e32 vcc, v21, v21
	v_add_u32_e32 v6, v1, v2
	v_mov_b32_e32 v7, 0
	v_cndmask_b32_e32 v0, v5, v0, vcc
	s_waitcnt lgkmcnt(0)
	v_lshl_add_u64 v[6:7], v[6:7], 1, s[12:13]
	global_store_short v[6:7], v0, off
	s_or_b64 exec, exec, s[6:7]
	s_and_saveexec_b64 s[0:1], s[2:3]
	s_cbranch_execz .LBB167_66
.LBB167_89:
	v_bfe_u32 v0, v19, 16, 1
	s_movk_i32 s2, 0x7fff
	v_add3_u32 v0, v19, v0, s2
	v_lshrrev_b32_e32 v0, 16, v0
	v_mov_b32_e32 v2, 0x7fc0
	v_cmp_o_f32_e32 vcc, v19, v19
	s_nop 1
	v_cndmask_b32_e32 v0, v2, v0, vcc
	v_add_u32_e32 v2, v1, v3
	v_mov_b32_e32 v3, 0
	s_waitcnt lgkmcnt(0)
	v_lshl_add_u64 v[2:3], v[2:3], 1, s[12:13]
	global_store_short v[2:3], v0, off
	s_or_b64 exec, exec, s[0:1]
	s_and_b64 exec, exec, s[4:5]
	s_cbranch_execnz .LBB167_67
	s_branch .LBB167_68
	.section	.rodata,"a",@progbits
	.p2align	6, 0x0
	.amdhsa_kernel _ZL12mul_mat_q2_KIN3c108BFloat16ELb0EEvPKvS3_PT_iiiii
		.amdhsa_group_segment_fixed_size 31392
		.amdhsa_private_segment_fixed_size 0
		.amdhsa_kernarg_size 44
		.amdhsa_user_sgpr_count 2
		.amdhsa_user_sgpr_dispatch_ptr 0
		.amdhsa_user_sgpr_queue_ptr 0
		.amdhsa_user_sgpr_kernarg_segment_ptr 1
		.amdhsa_user_sgpr_dispatch_id 0
		.amdhsa_user_sgpr_kernarg_preload_length 0
		.amdhsa_user_sgpr_kernarg_preload_offset 0
		.amdhsa_user_sgpr_private_segment_size 0
		.amdhsa_uses_dynamic_stack 0
		.amdhsa_enable_private_segment 0
		.amdhsa_system_sgpr_workgroup_id_x 1
		.amdhsa_system_sgpr_workgroup_id_y 1
		.amdhsa_system_sgpr_workgroup_id_z 0
		.amdhsa_system_sgpr_workgroup_info 0
		.amdhsa_system_vgpr_workitem_id 1
		.amdhsa_next_free_vgpr 225
		.amdhsa_next_free_sgpr 22
		.amdhsa_accum_offset 228
		.amdhsa_reserve_vcc 1
		.amdhsa_float_round_mode_32 0
		.amdhsa_float_round_mode_16_64 0
		.amdhsa_float_denorm_mode_32 3
		.amdhsa_float_denorm_mode_16_64 3
		.amdhsa_dx10_clamp 1
		.amdhsa_ieee_mode 1
		.amdhsa_fp16_overflow 0
		.amdhsa_tg_split 0
		.amdhsa_exception_fp_ieee_invalid_op 0
		.amdhsa_exception_fp_denorm_src 0
		.amdhsa_exception_fp_ieee_div_zero 0
		.amdhsa_exception_fp_ieee_overflow 0
		.amdhsa_exception_fp_ieee_underflow 0
		.amdhsa_exception_fp_ieee_inexact 0
		.amdhsa_exception_int_div_zero 0
	.end_amdhsa_kernel
	.section	.text._ZL12mul_mat_q2_KIN3c108BFloat16ELb0EEvPKvS3_PT_iiiii,"axG",@progbits,_ZL12mul_mat_q2_KIN3c108BFloat16ELb0EEvPKvS3_PT_iiiii,comdat
.Lfunc_end167:
	.size	_ZL12mul_mat_q2_KIN3c108BFloat16ELb0EEvPKvS3_PT_iiiii, .Lfunc_end167-_ZL12mul_mat_q2_KIN3c108BFloat16ELb0EEvPKvS3_PT_iiiii
                                        ; -- End function
	.section	.AMDGPU.csdata,"",@progbits
; Kernel info:
; codeLenInByte = 26364
; NumSgprs: 28
; NumVgprs: 225
; NumAgprs: 0
; TotalNumVgprs: 225
; ScratchSize: 0
; MemoryBound: 0
; FloatMode: 240
; IeeeMode: 1
; LDSByteSize: 31392 bytes/workgroup (compile time only)
; SGPRBlocks: 3
; VGPRBlocks: 28
; NumSGPRsForWavesPerEU: 28
; NumVGPRsForWavesPerEU: 225
; AccumOffset: 228
; Occupancy: 2
; WaveLimiterHint : 0
; COMPUTE_PGM_RSRC2:SCRATCH_EN: 0
; COMPUTE_PGM_RSRC2:USER_SGPR: 2
; COMPUTE_PGM_RSRC2:TRAP_HANDLER: 0
; COMPUTE_PGM_RSRC2:TGID_X_EN: 1
; COMPUTE_PGM_RSRC2:TGID_Y_EN: 1
; COMPUTE_PGM_RSRC2:TGID_Z_EN: 0
; COMPUTE_PGM_RSRC2:TIDIG_COMP_CNT: 1
; COMPUTE_PGM_RSRC3_GFX90A:ACCUM_OFFSET: 56
; COMPUTE_PGM_RSRC3_GFX90A:TG_SPLIT: 0
	.section	.text._ZL12mul_mat_q2_KIN3c108BFloat16ELb1EEvPKvS3_PT_iiiii,"axG",@progbits,_ZL12mul_mat_q2_KIN3c108BFloat16ELb1EEvPKvS3_PT_iiiii,comdat
	.globl	_ZL12mul_mat_q2_KIN3c108BFloat16ELb1EEvPKvS3_PT_iiiii ; -- Begin function _ZL12mul_mat_q2_KIN3c108BFloat16ELb1EEvPKvS3_PT_iiiii
	.p2align	8
	.type	_ZL12mul_mat_q2_KIN3c108BFloat16ELb1EEvPKvS3_PT_iiiii,@function
_ZL12mul_mat_q2_KIN3c108BFloat16ELb1EEvPKvS3_PT_iiiii: ; @_ZL12mul_mat_q2_KIN3c108BFloat16ELb1EEvPKvS3_PT_iiiii
; %bb.0:
	s_load_dwordx4 s[8:11], s[0:1], 0x18
	s_load_dword s14, s[0:1], 0x28
	s_lshl_b32 s15, s3, 6
	v_bfe_u32 v45, v0, 10, 10
	s_waitcnt lgkmcnt(0)
	s_cmpk_gt_i32 s8, 0xff
	s_cbranch_scc1 .LBB168_2
; %bb.1:
	v_bfe_u32 v1, v0, 10, 10
	s_mov_b32 s4, 0
	v_and_b32_e32 v41, 0x3ff, v0
	v_add_u32_e32 v47, s15, v1
	s_mov_b32 s5, s4
	s_mov_b64 s[6:7], 0
	s_branch .LBB168_3
.LBB168_2:
	s_mov_b64 s[6:7], -1
                                        ; implicit-def: $sgpr4_sgpr5
                                        ; implicit-def: $vgpr1
                                        ; implicit-def: $vgpr41
                                        ; implicit-def: $vgpr47
.LBB168_3:
	s_load_dwordx2 s[12:13], s[0:1], 0x10
	s_lshl_b32 s16, s2, 7
	s_andn2_b64 vcc, exec, s[6:7]
	v_mov_b64_e32 v[16:17], s[4:5]
	v_mov_b64_e32 v[24:25], s[4:5]
	;; [unrolled: 1-line block ×16, first 2 shown]
	s_cbranch_vccnz .LBB168_17
; %bb.4:
	s_ashr_i32 s4, s8, 31
	s_load_dwordx4 s[0:3], s[0:1], 0x0
	s_lshr_b32 s4, s4, 24
	s_add_i32 s4, s8, s4
	s_ashr_i32 s5, s11, 31
	s_ashr_i32 s4, s4, 8
	s_lshr_b32 s5, s5, 27
	s_add_i32 s5, s11, s5
	s_mul_i32 s6, s4, s16
	s_ashr_i32 s8, s5, 5
	s_mul_hi_i32 s7, s6, 0x54
	s_mulk_i32 s6, 0x54
	s_waitcnt lgkmcnt(0)
	s_add_u32 s6, s0, s6
	s_addc_u32 s7, s1, s7
	s_not_b32 s0, s16
	s_add_i32 s9, s0, s9
	v_and_b32_e32 v41, 0x3ff, v0
	v_lshlrev_b32_e32 v0, 2, v41
	v_min_i32_e32 v1, s9, v45
	s_movk_i32 s1, 0x84
	v_add_u32_e32 v4, 8, v45
	v_mul_lo_u32 v44, v1, s4
	v_mad_u64_u32 v[46:47], s[18:19], v1, s1, v[0:1]
	v_min_i32_e32 v1, s9, v4
	v_add_u32_e32 v5, 16, v45
	v_mul_lo_u32 v48, v1, s4
	v_mad_u64_u32 v[50:51], s[18:19], v1, s1, v[0:1]
	v_min_i32_e32 v1, s9, v5
	;; [unrolled: 4-line block ×7, first 2 shown]
	v_mul_lo_u32 v72, v1, s4
	v_mad_u64_u32 v[74:75], s[18:19], v1, s1, v[0:1]
	v_add_u32_e32 v1, 64, v45
	v_min_i32_e32 v1, s9, v1
	v_mul_lo_u32 v76, v1, s4
	v_mad_u64_u32 v[78:79], s[18:19], v1, s1, v[0:1]
	v_add_u32_e32 v1, 0x48, v45
	v_min_i32_e32 v1, s9, v1
	;; [unrolled: 4-line block ×8, first 2 shown]
	v_mul_lo_u32 v108, v1, s4
	v_mad_u64_u32 v[110:111], s[18:19], v1, s1, v[0:1]
	v_lshlrev_b32_e32 v49, 4, v45
	v_lshrrev_b32_e32 v1, 1, v41
	v_add_u32_e32 v1, v1, v49
	v_and_b32_e32 v1, 0x7f, v1
	v_min_i32_e32 v1, s9, v1
	v_ashrrev_i32_e32 v2, 31, v1
	v_lshrrev_b32_e32 v2, 28, v2
	v_add_u32_e32 v2, v1, v2
	v_and_b32_e32 v112, 1, v41
	v_ashrrev_i32_e32 v2, 4, v2
	v_lshrrev_b32_e32 v51, 3, v41
	v_mul_lo_u32 v114, v1, s4
	v_lshlrev_b32_e32 v2, 2, v2
	v_lshlrev_b32_e32 v3, 2, v112
	s_movk_i32 s11, 0x7280
	v_lshlrev_b32_e32 v12, 3, v1
	v_lshl_add_u32 v1, v45, 2, v51
	v_add3_u32 v11, v2, v3, s11
	v_min_i32_e32 v3, s9, v1
	v_ashrrev_i32_e32 v13, 31, v3
	v_lshrrev_b32_e32 v13, 30, v13
	v_mul_lo_u32 v124, v3, s4
	v_add_u32_e32 v13, v3, v13
	v_lshlrev_b32_e32 v14, 5, v3
	v_add_u32_e32 v3, 32, v1
	v_min_i32_e32 v3, s9, v3
	v_ashrrev_i32_e32 v15, 31, v3
	v_lshrrev_b32_e32 v15, 30, v15
	v_mul_lo_u32 v126, v3, s4
	v_add_u32_e32 v15, v3, v15
	v_lshlrev_b32_e32 v16, 5, v3
	v_add_u32_e32 v3, 64, v1
	v_min_i32_e32 v3, s9, v3
	v_ashrrev_i32_e32 v17, 31, v3
	v_add_u32_e32 v1, 0x60, v1
	v_lshrrev_b32_e32 v17, 30, v17
	v_min_i32_e32 v1, s9, v1
	v_mul_lo_u32 v128, v3, s4
	v_add_u32_e32 v17, v3, v17
	v_lshlrev_b32_e32 v18, 5, v3
	v_ashrrev_i32_e32 v3, 31, v1
	v_mov_b32_e32 v43, 0
	v_lshrrev_b32_e32 v3, 30, v3
	v_and_b32_e32 v42, 60, v0
	v_and_b32_e32 v122, 12, v0
	v_mul_lo_u32 v130, v1, s4
	v_add_u32_e32 v3, v1, v3
	v_lshlrev_b32_e32 v20, 5, v1
	v_and_b32_e32 v0, 28, v0
	v_mov_b32_e32 v1, v43
	v_lshl_add_u64 v[132:133], s[2:3], 0, v[0:1]
	v_lshrrev_b32_e32 v0, 2, v41
	v_lshl_add_u32 v0, v45, 3, v0
	v_and_b32_e32 v1, 63, v0
	s_add_i32 s9, s10, -1
	v_or_b32_e32 v22, s15, v1
	v_and_b32_e32 v0, 3, v41
	v_min_i32_e32 v22, s9, v22
	v_and_b32_e32 v2, 7, v41
	v_mad_u64_u32 v[134:135], s[18:19], v22, s8, v[0:1]
	v_lshlrev_b32_e32 v0, 2, v0
	v_cmp_lt_u32_e32 vcc, 3, v2
	v_and_b32_e32 v13, -4, v13
	v_lshlrev_b32_e32 v2, 2, v2
	s_movk_i32 s17, 0x6200
	v_and_b32_e32 v15, -4, v15
	v_and_b32_e32 v17, -4, v17
	;; [unrolled: 1-line block ×3, first 2 shown]
	v_add_u32_e32 v47, s15, v45
	v_lshl_or_b32 v0, v1, 4, v0
	v_add3_u32 v13, v13, v2, s17
	v_add3_u32 v15, v15, v2, s17
	;; [unrolled: 1-line block ×4, first 2 shown]
	v_cvt_f64_i32_e32 v[2:3], s9
	v_add_u32_e32 v53, 0x76a0, v0
	v_cvt_f64_u32_e32 v[0:1], v47
	v_and_b32_e32 v21, 31, v41
	v_min_f64 v[0:1], v[0:1], v[2:3]
	v_cvt_i32_f64_e32 v0, v[0:1]
	v_lshlrev_b32_e32 v21, 2, v21
	v_lshlrev_b32_e32 v57, 7, v45
	v_mul_lo_u32 v55, s8, v0
	v_or_b32_e32 v0, v57, v21
	v_add_u32_e32 v59, 0x4200, v0
	v_add_u32_e32 v0, 8, v47
	v_cvt_f64_u32_e32 v[0:1], v0
	v_min_f64 v[0:1], v[0:1], v[2:3]
	v_cvt_i32_f64_e32 v0, v[0:1]
	v_mul_lo_u32 v61, s8, v0
	v_lshl_or_b32 v0, v4, 7, v21
	v_add_u32_e32 v63, 0x4200, v0
	v_add_u32_e32 v0, 16, v47
	v_cvt_f64_u32_e32 v[0:1], v0
	v_min_f64 v[0:1], v[0:1], v[2:3]
	v_cvt_i32_f64_e32 v0, v[0:1]
	v_mul_lo_u32 v65, s8, v0
	v_lshl_or_b32 v0, v5, 7, v21
	;; [unrolled: 7-line block ×6, first 2 shown]
	v_add_u32_e32 v83, 0x4200, v0
	v_add_u32_e32 v0, 56, v47
	v_cvt_f64_u32_e32 v[0:1], v0
	v_min_f64 v[0:1], v[0:1], v[2:3]
	v_cvt_i32_f64_e32 v0, v[0:1]
	v_lshrrev_b32_e32 v40, 4, v41
	v_mul_lo_u32 v87, s8, v0
	v_lshl_or_b32 v0, v10, 7, v21
	v_add_u32_e32 v89, 0x4200, v0
	v_lshlrev_b32_e32 v0, 3, v41
	v_lshlrev_b32_e32 v7, 2, v40
	v_add_u32_e32 v1, 32, v41
	v_add3_u32 v93, v7, v0, s11
	v_mov_b32_e32 v0, 0x1080
	v_mad_u32_u24 v95, v41, s1, v0
	v_lshrrev_b32_e32 v0, 2, v1
	v_lshlrev_b32_e32 v2, 3, v1
	v_and_b32_e32 v0, 0x7c, v0
	v_add_u32_e32 v3, 64, v41
	v_add3_u32 v97, v2, v0, s11
	v_mov_b32_e32 v0, 0x2100
	v_mad_u32_u24 v99, v41, s1, v0
	v_lshrrev_b32_e32 v0, 2, v3
	v_lshlrev_b32_e32 v4, 3, v3
	v_and_b32_e32 v0, 0x7c, v0
	s_mov_b32 s0, 0
	v_add_u32_e32 v5, 0x60, v41
	v_add3_u32 v101, v4, v0, s11
	v_mov_b32_e32 v0, 0x3180
	v_mad_u32_u24 v103, v41, s1, v0
	v_lshrrev_b32_e32 v0, 2, v5
	s_mov_b32 s1, s0
	v_lshlrev_b32_e32 v6, 3, v5
	v_and_b32_e32 v0, 0x7c, v0
	v_and_b32_e32 v115, 0x1fc, v5
	v_lshlrev_b32_e32 v125, 5, v41
	v_and_b32_e32 v127, 0x1fc, v3
	v_and_b32_e32 v131, 0x1fc, v1
	;; [unrolled: 1-line block ×3, first 2 shown]
	v_mov_b64_e32 v[118:119], s[0:1]
	s_movk_i32 s5, 0x54
	v_cndmask_b32_e64 v120, 0, 1, vcc
	v_mov_b32_e32 v123, v43
	v_mul_u32_u24_e32 v91, 0x84, v41
	v_add3_u32 v107, v6, v0, s11
	v_lshrrev_b32_e32 v109, 3, v1
	v_lshrrev_b32_e32 v111, 3, v3
	;; [unrolled: 1-line block ×3, first 2 shown]
	v_or_b32_e32 v121, 0x4200, v115
	v_or_b32_e32 v129, 0x4200, v127
	;; [unrolled: 1-line block ×4, first 2 shown]
	v_add_u32_e32 v141, 0x6e08, v115
	v_add_u32_e32 v143, 0x6a08, v127
	;; [unrolled: 1-line block ×15, first 2 shown]
	s_mov_b32 s1, 0x1010101
	v_mov_b32_e32 v169, 4
	v_mov_b32_e32 v170, 15
	v_mov_b64_e32 v[38:39], v[118:119]
	v_mov_b64_e32 v[30:31], v[118:119]
	v_mov_b64_e32 v[22:23], v[118:119]
	v_mov_b64_e32 v[116:117], v[118:119]
	v_mov_b64_e32 v[36:37], v[118:119]
	v_mov_b64_e32 v[28:29], v[118:119]
	v_mov_b64_e32 v[20:21], v[118:119]
	v_mov_b64_e32 v[104:105], v[118:119]
	v_mov_b64_e32 v[34:35], v[118:119]
	v_mov_b64_e32 v[26:27], v[118:119]
	v_mov_b64_e32 v[18:19], v[118:119]
	v_mov_b64_e32 v[84:85], v[118:119]
	v_mov_b64_e32 v[32:33], v[118:119]
	v_mov_b64_e32 v[24:25], v[118:119]
	v_mov_b64_e32 v[16:17], v[118:119]
	s_branch .LBB168_6
.LBB168_5:                              ;   in Loop: Header=BB168_6 Depth=1
	s_add_i32 s0, s0, 2
	s_cmp_ge_i32 s0, s4
	s_cbranch_scc1 .LBB168_16
.LBB168_6:                              ; =>This Loop Header: Depth=1
                                        ;     Child Loop BB168_7 Depth 2
                                        ;     Child Loop BB168_9 Depth 2
	;; [unrolled: 1-line block ×4, first 2 shown]
	s_mul_i32 s8, s0, 0x54
	s_mul_hi_u32 s9, s0, 0x54
	s_add_u32 s8, s6, s8
	s_addc_u32 s9, s7, s9
	v_mov_b64_e32 v[0:1], s[8:9]
	v_mad_u64_u32 v[2:3], s[8:9], v40, s5, v[0:1]
	v_lshl_add_u64 v[2:3], v[2:3], 0, v[42:43]
	v_lshl_add_u64 v[2:3], v[2:3], 0, 16
	v_mad_i64_i32 v[4:5], s[8:9], v44, s5, v[2:3]
	v_mad_i64_i32 v[6:7], s[8:9], v48, s5, v[2:3]
	;; [unrolled: 1-line block ×8, first 2 shown]
	global_load_dword v136, v[4:5], off
	global_load_dword v138, v[6:7], off
	;; [unrolled: 1-line block ×8, first 2 shown]
	v_mad_i64_i32 v[4:5], s[8:9], v76, s5, v[2:3]
	v_mad_i64_i32 v[6:7], s[8:9], v80, s5, v[2:3]
	;; [unrolled: 1-line block ×8, first 2 shown]
	global_load_dword v152, v[4:5], off
	global_load_dword v153, v[6:7], off
	;; [unrolled: 1-line block ×8, first 2 shown]
	v_mad_i64_i32 v[2:3], s[8:9], v114, s5, v[0:1]
	v_mad_u64_u32 v[0:1], s[8:9], v120, s5, v[0:1]
	v_lshl_add_u64 v[0:1], v[0:1], 0, v[122:123]
	v_mad_u64_u32 v[2:3], s[8:9], v112, s5, v[2:3]
	v_mad_i64_i32 v[4:5], s[8:9], v124, s5, v[0:1]
	v_mad_i64_i32 v[6:7], s[8:9], v126, s5, v[0:1]
	;; [unrolled: 1-line block ×4, first 2 shown]
	s_lshl_b32 s8, s0, 3
	s_nop 0
	v_add_u32_e32 v144, s8, v51
	global_load_dword v175, v[2:3], off offset:80
	global_load_dword v176, v[4:5], off
	global_load_dword v177, v[6:7], off
	s_nop 0
	global_load_dword v8, v[8:9], off
	s_nop 0
	global_load_dword v178, v[0:1], off
	v_add_u32_e32 v0, v144, v55
	v_add_u32_e32 v2, v144, v61
	;; [unrolled: 1-line block ×6, first 2 shown]
	v_mad_i64_i32 v[0:1], s[18:19], v0, 36, v[132:133]
	v_mad_i64_i32 v[2:3], s[18:19], v2, 36, v[132:133]
	;; [unrolled: 1-line block ×5, first 2 shown]
	v_add_u32_e32 v12, v144, v77
	v_add_u32_e32 v14, v144, v81
	;; [unrolled: 1-line block ×3, first 2 shown]
	v_mad_i64_i32 v[12:13], s[18:19], v12, 36, v[132:133]
	v_mad_i64_i32 v[14:15], s[18:19], v14, 36, v[132:133]
	;; [unrolled: 1-line block ×3, first 2 shown]
	v_mad_u64_u32 v[146:147], s[18:19], v9, 36, s[2:3]
	global_load_dword v0, v[0:1], off offset:4
	s_nop 0
	global_load_dword v1, v[2:3], off offset:4
	s_nop 0
	global_load_dword v2, v[4:5], off offset:4
	global_load_dword v3, v[6:7], off offset:4
	s_nop 0
	global_load_dword v4, v[10:11], off offset:4
	global_load_dword v5, v[146:147], off
	global_load_dword v6, v[12:13], off offset:4
	global_load_dword v7, v[14:15], off offset:4
	s_nop 0
	global_load_dword v10, v[144:145], off offset:4
	s_mov_b32 s17, -2
	v_mov_b32_e32 v11, v57
	v_mov_b32_e32 v13, v49
	s_waitcnt vmcnt(29)
	ds_write_b32 v46, v136
	s_waitcnt vmcnt(28)
	ds_write_b32 v50, v138
	;; [unrolled: 2-line block ×26, first 2 shown]
	s_waitcnt vmcnt(3)
	v_cvt_f32_f16_e32 v0, v5
	s_mov_b32 s9, 0
	s_waitcnt vmcnt(2)
	ds_write_b32 v79, v6
	s_waitcnt vmcnt(1)
	ds_write_b32 v83, v7
	;; [unrolled: 2-line block ×3, first 2 shown]
	ds_write_b32 v53, v0
	s_waitcnt lgkmcnt(0)
	s_barrier
.LBB168_7:                              ;   Parent Loop BB168_6 Depth=1
                                        ; =>  This Inner Loop Header: Depth=2
	s_and_b32 s11, s9, -16
	v_add_u32_e32 v136, s11, v125
	s_add_i32 s11, s17, 2
	s_and_b32 s18, s11, 0x3ffffff8
	s_lshl_b32 s18, s18, 2
	v_add_u32_e32 v0, 0x7400, v13
	v_add_u32_e32 v8, s18, v91
	ds_read2_b32 v[144:145], v0 offset0:168 offset1:200
	ds_read_b128 v[4:7], v11 offset:16896
	ds_read_b128 v[0:3], v11 offset:16912
	ds_read2_b32 v[14:15], v8 offset1:1
	ds_read2_b32 v[146:147], v8 offset0:4 offset1:5
	s_lshr_b32 s19, s11, 2
	s_and_b32 s19, s19, 0x3ffffffc
	v_mov_b32_e32 v148, 0
	s_waitcnt lgkmcnt(1)
	v_ashrrev_i32_e32 v10, s11, v14
	v_and_b32_e32 v175, 0x3030303, v10
	v_ashrrev_i32_e32 v10, s11, v15
	ds_read2_b32 v[14:15], v8 offset0:2 offset1:3
	v_and_b32_e32 v172, 0x3030303, v10
	v_mov_b32_e32 v218, 0
	v_mov_b32_e32 v219, 0
	;; [unrolled: 1-line block ×3, first 2 shown]
	s_waitcnt lgkmcnt(0)
	v_ashrrev_i32_e32 v10, s11, v14
	v_and_b32_e32 v173, 0x3030303, v10
	v_ashrrev_i32_e32 v10, s11, v15
	v_and_b32_e32 v174, 0x3030303, v10
	;; [unrolled: 2-line block ×3, first 2 shown]
	v_ashrrev_i32_e32 v10, s11, v147
	ds_read2_b32 v[146:147], v8 offset0:6 offset1:7
	v_and_b32_e32 v154, 0x3030303, v10
	v_add_u32_e32 v10, s19, v93
	v_mov_b32_e32 v220, 0
	v_mov_b32_e32 v221, 0
	s_waitcnt lgkmcnt(0)
	v_ashrrev_i32_e32 v8, s11, v146
	v_and_b32_e32 v155, 0x3030303, v8
	v_ashrrev_i32_e32 v8, s11, v147
	v_and_b32_e32 v171, 0x3030303, v8
	v_add3_u32 v8, v139, s17, v136
	ds_read_b32 v10, v10
	ds_read_u16 v12, v8 offset:8194
	s_add_i32 s9, s9, 2
	s_cmp_lt_u32 s11, 6
	s_waitcnt lgkmcnt(0)
	v_bfe_u32 v8, v12, 4, 4
	v_mul_lo_u32 v176, v8, s1
	v_mov_b32_e32 v8, 0
	v_and_b32_e32 v192, 15, v12
	v_lshrrev_b32_sdwa v14, v169, v12 dst_sel:DWORD dst_unused:UNUSED_PAD src0_sel:DWORD src1_sel:BYTE_1
	v_and_b32_sdwa v191, v12, v170 dst_sel:DWORD dst_unused:UNUSED_PAD src0_sel:BYTE_1 src1_sel:DWORD
	v_add_u32_e32 v12, s18, v95
	v_dot4c_i32_i8_e32 v8, v175, v4
	v_mul_lo_u32 v189, v14, s1
	v_mov_b32_e32 v14, 0
	ds_read2_b32 v[150:151], v12 offset1:1
	v_dot4c_i32_i8_e32 v8, v172, v5
	v_dot4c_i32_i8_e32 v14, v15, v0
	;; [unrolled: 1-line block ×8, first 2 shown]
	v_mul_lo_u32 v8, v192, v8
	v_dot4c_i32_i8_e32 v148, v176, v5
	v_mad_u64_u32 v[146:147], s[20:21], v191, v14, v[8:9]
	s_waitcnt lgkmcnt(0)
	v_ashrrev_i32_e32 v14, s11, v150
	v_and_b32_e32 v188, 0x3030303, v14
	v_ashrrev_i32_e32 v14, s11, v151
	ds_read2_b32 v[150:151], v12 offset0:2 offset1:3
	v_and_b32_e32 v185, 0x3030303, v14
	v_cvt_f32_i32_e32 v147, v146
	v_dot4c_i32_i8_e32 v148, v176, v6
	v_dot4c_i32_i8_e32 v148, v176, v7
	s_waitcnt lgkmcnt(0)
	v_ashrrev_i32_e32 v14, s11, v150
	v_and_b32_e32 v186, 0x3030303, v14
	v_ashrrev_i32_e32 v14, s11, v151
	ds_read2_b32 v[150:151], v12 offset0:4 offset1:5
	v_and_b32_e32 v187, 0x3030303, v14
	v_dot4c_i32_i8_e32 v148, v189, v0
	v_dot4c_i32_i8_e32 v148, v189, v1
	;; [unrolled: 1-line block ×3, first 2 shown]
	s_waitcnt lgkmcnt(0)
	v_ashrrev_i32_e32 v14, s11, v150
	v_and_b32_e32 v177, 0x3030303, v14
	v_ashrrev_i32_e32 v14, s11, v151
	ds_read2_b32 v[150:151], v12 offset0:6 offset1:7
	v_and_b32_e32 v178, 0x3030303, v14
	v_add_u32_e32 v14, s19, v97
	v_dot4c_i32_i8_e32 v148, v189, v3
	v_cvt_f32_f16_e32 v8, v10
	s_waitcnt lgkmcnt(0)
	v_ashrrev_i32_e32 v12, s11, v150
	v_and_b32_e32 v179, 0x3030303, v12
	v_ashrrev_i32_e32 v12, s11, v151
	v_and_b32_e32 v180, 0x3030303, v12
	v_add3_u32 v12, v135, s17, v136
	ds_read_b32 v14, v14
	ds_read_u16 v138, v12 offset:9218
	v_mov_b32_e32 v150, 0
	v_cvt_f32_f16_sdwa v10, v10 dst_sel:DWORD dst_unused:UNUSED_PAD src0_sel:WORD_1
	s_waitcnt lgkmcnt(0)
	v_bfe_u32 v12, v138, 4, 4
	v_mul_lo_u32 v190, v12, s1
	v_mov_b32_e32 v12, 0
	v_lshrrev_b32_sdwa v140, v169, v138 dst_sel:DWORD dst_unused:UNUSED_PAD src0_sel:DWORD src1_sel:BYTE_1
	v_dot4c_i32_i8_e32 v12, v188, v4
	v_mul_lo_u32 v201, v140, s1
	v_mov_b32_e32 v140, 0
	v_dot4c_i32_i8_e32 v12, v185, v5
	v_dot4c_i32_i8_e32 v140, v177, v0
	;; [unrolled: 1-line block ×5, first 2 shown]
	v_and_b32_e32 v206, 15, v138
	v_dot4c_i32_i8_e32 v140, v179, v2
	v_dot4c_i32_i8_e32 v140, v180, v3
	v_mul_lo_u32 v12, v206, v12
	v_and_b32_sdwa v204, v138, v170 dst_sel:DWORD dst_unused:UNUSED_PAD src0_sel:BYTE_1 src1_sel:DWORD
	v_add_u32_e32 v138, s18, v99
	v_mad_u64_u32 v[152:153], s[20:21], v204, v140, v[12:13]
	v_cvt_f32_i32_e32 v149, v152
	ds_read2_b32 v[152:153], v138 offset1:1
	v_dot4c_i32_i8_e32 v150, v190, v4
	v_dot4c_i32_i8_e32 v150, v190, v5
	;; [unrolled: 1-line block ×4, first 2 shown]
	s_waitcnt lgkmcnt(0)
	v_ashrrev_i32_e32 v140, s11, v152
	v_and_b32_e32 v200, 0x3030303, v140
	v_ashrrev_i32_e32 v140, s11, v153
	ds_read2_b32 v[152:153], v138 offset0:2 offset1:3
	v_and_b32_e32 v197, 0x3030303, v140
	v_dot4c_i32_i8_e32 v150, v201, v0
	v_dot4c_i32_i8_e32 v150, v201, v1
	v_dot4c_i32_i8_e32 v150, v201, v2
	s_waitcnt lgkmcnt(0)
	v_ashrrev_i32_e32 v140, s11, v152
	v_and_b32_e32 v198, 0x3030303, v140
	v_ashrrev_i32_e32 v140, s11, v153
	ds_read2_b32 v[152:153], v138 offset0:4 offset1:5
	v_and_b32_e32 v199, 0x3030303, v140
	v_dot4c_i32_i8_e32 v150, v201, v3
	v_cvt_f32_f16_e32 v12, v14
	v_cvt_f32_f16_sdwa v14, v14 dst_sel:DWORD dst_unused:UNUSED_PAD src0_sel:WORD_1
	s_waitcnt lgkmcnt(0)
	v_ashrrev_i32_e32 v140, s11, v152
	v_and_b32_e32 v193, 0x3030303, v140
	v_ashrrev_i32_e32 v140, s11, v153
	ds_read2_b32 v[152:153], v138 offset0:6 offset1:7
	v_and_b32_e32 v194, 0x3030303, v140
	v_add_u32_e32 v140, s19, v101
	s_waitcnt lgkmcnt(0)
	v_ashrrev_i32_e32 v138, s11, v152
	v_and_b32_e32 v195, 0x3030303, v138
	v_ashrrev_i32_e32 v138, s11, v153
	v_and_b32_e32 v196, 0x3030303, v138
	v_add3_u32 v138, v129, s17, v136
	ds_read_b32 v142, v140
	ds_read_u16 v140, v138 offset:10242
	v_add3_u32 v136, v121, s17, v136
	s_mov_b32 s17, s11
	s_waitcnt lgkmcnt(0)
	v_bfe_u32 v138, v140, 4, 4
	v_mul_lo_u32 v203, v138, s1
	v_mov_b32_e32 v138, 0
	v_lshrrev_b32_sdwa v146, v169, v140 dst_sel:DWORD dst_unused:UNUSED_PAD src0_sel:DWORD src1_sel:BYTE_1
	v_dot4c_i32_i8_e32 v138, v200, v4
	v_mul_lo_u32 v211, v146, s1
	v_mov_b32_e32 v146, 0
	v_dot4c_i32_i8_e32 v138, v197, v5
	v_dot4c_i32_i8_e32 v146, v193, v0
	;; [unrolled: 1-line block ×5, first 2 shown]
	v_and_b32_e32 v214, 15, v140
	v_dot4c_i32_i8_e32 v146, v195, v2
	v_dot4c_i32_i8_e32 v146, v196, v3
	v_mul_lo_u32 v138, v214, v138
	v_and_b32_sdwa v213, v140, v170 dst_sel:DWORD dst_unused:UNUSED_PAD src0_sel:BYTE_1 src1_sel:DWORD
	v_dot4c_i32_i8_e32 v218, v203, v4
	v_mad_u64_u32 v[152:153], s[20:21], v213, v146, v[138:139]
	v_add_u32_e32 v138, s18, v103
	v_cvt_f32_i32_e32 v151, v152
	ds_read2_b32 v[152:153], v138 offset1:1
	v_dot4c_i32_i8_e32 v218, v203, v5
	v_dot4c_i32_i8_e32 v218, v203, v6
	;; [unrolled: 1-line block ×4, first 2 shown]
	s_waitcnt lgkmcnt(0)
	v_ashrrev_i32_e32 v146, s11, v152
	v_and_b32_e32 v210, 0x3030303, v146
	v_ashrrev_i32_e32 v146, s11, v153
	ds_read2_b32 v[152:153], v138 offset0:2 offset1:3
	v_and_b32_e32 v207, 0x3030303, v146
	v_dot4c_i32_i8_e32 v218, v211, v1
	v_dot4c_i32_i8_e32 v218, v211, v2
	;; [unrolled: 1-line block ×3, first 2 shown]
	s_waitcnt lgkmcnt(0)
	v_ashrrev_i32_e32 v146, s11, v152
	v_and_b32_e32 v208, 0x3030303, v146
	v_ashrrev_i32_e32 v146, s11, v153
	ds_read2_b32 v[152:153], v138 offset0:4 offset1:5
	v_and_b32_e32 v209, 0x3030303, v146
	v_cvt_f32_f16_e32 v140, v142
	v_cvt_f32_f16_sdwa v142, v142 dst_sel:DWORD dst_unused:UNUSED_PAD src0_sel:WORD_1
	s_waitcnt lgkmcnt(0)
	v_ashrrev_i32_e32 v146, s11, v152
	v_and_b32_e32 v181, 0x3030303, v146
	v_ashrrev_i32_e32 v146, s11, v153
	ds_read2_b32 v[152:153], v138 offset0:6 offset1:7
	v_and_b32_e32 v182, 0x3030303, v146
	s_waitcnt lgkmcnt(0)
	v_ashrrev_i32_e32 v138, s11, v152
	v_and_b32_e32 v183, 0x3030303, v138
	v_ashrrev_i32_e32 v138, s11, v153
	v_and_b32_e32 v184, 0x3030303, v138
	v_add_u32_e32 v138, s19, v107
	ds_read_b32 v138, v138
	ds_read_u16 v136, v136 offset:11266
	v_mov_b32_e32 v152, 0
	s_waitcnt lgkmcnt(0)
	v_bfe_u32 v146, v136, 4, 4
	v_mul_lo_u32 v212, v146, s1
	v_mov_b32_e32 v146, 0
	v_dot4c_i32_i8_e32 v146, v210, v4
	v_dot4c_i32_i8_e32 v219, v212, v4
	;; [unrolled: 1-line block ×4, first 2 shown]
	v_lshrrev_b32_sdwa v5, v169, v136 dst_sel:DWORD dst_unused:UNUSED_PAD src0_sel:DWORD src1_sel:BYTE_1
	v_mul_lo_u32 v202, v5, s1
	v_mov_b32_e32 v5, 0
	v_dot4c_i32_i8_e32 v219, v212, v6
	v_dot4c_i32_i8_e32 v5, v181, v0
	;; [unrolled: 1-line block ×6, first 2 shown]
	v_and_b32_e32 v215, 15, v136
	v_dot4c_i32_i8_e32 v219, v202, v0
	v_dot4c_i32_i8_e32 v5, v183, v2
	v_mul_lo_u32 v4, v215, v146
	v_dot4c_i32_i8_e32 v219, v202, v1
	v_dot4c_i32_i8_e32 v5, v184, v3
	v_and_b32_sdwa v205, v136, v170 dst_sel:DWORD dst_unused:UNUSED_PAD src0_sel:BYTE_1 src1_sel:DWORD
	v_dot4c_i32_i8_e32 v219, v202, v2
	v_dot4c_i32_i8_e32 v219, v202, v3
	v_mad_u64_u32 v[0:1], s[18:19], v205, v5, v[4:5]
	v_cvt_f32_i32_e32 v153, v0
	ds_read_b128 v[4:7], v11 offset:17920
	ds_read_b128 v[0:3], v11 offset:17936
	v_mov_b32_e32 v146, 0
	v_cvt_f32_f16_e32 v136, v138
	v_cvt_f32_f16_sdwa v138, v138 dst_sel:DWORD dst_unused:UNUSED_PAD src0_sel:WORD_1
	s_waitcnt lgkmcnt(1)
	v_dot4c_i32_i8_e32 v152, v176, v4
	v_dot4c_i32_i8_e32 v152, v176, v5
	;; [unrolled: 1-line block ×6, first 2 shown]
	s_waitcnt lgkmcnt(0)
	v_dot4c_i32_i8_e32 v216, v15, v0
	v_dot4c_i32_i8_e32 v146, v173, v6
	;; [unrolled: 1-line block ×8, first 2 shown]
	v_mul_lo_u32 v146, v146, v192
	v_dot4c_i32_i8_e32 v216, v171, v3
	v_dot4c_i32_i8_e32 v152, v189, v3
	s_nop 1
	v_mad_u64_u32 v[216:217], s[18:19], v216, v191, v[146:147]
	v_cvt_f32_i32_e32 v146, v216
	v_cvt_f32_i32_e32 v217, v148
	;; [unrolled: 1-line block ×3, first 2 shown]
	v_mov_b32_e32 v152, 0
	v_dot4c_i32_i8_e32 v152, v190, v4
	v_dot4c_i32_i8_e32 v152, v190, v5
	v_pk_mul_f32 v[216:217], v[10:11], v[216:217] op_sel_hi:[0,1]
	v_pk_fma_f32 v[216:217], v[8:9], v[146:147], v[216:217] op_sel_hi:[0,1,1] neg_lo:[0,0,1] neg_hi:[0,0,1]
	v_mov_b32_e32 v147, v144
	v_mov_b32_e32 v144, 0
	;; [unrolled: 1-line block ×3, first 2 shown]
	v_dot4c_i32_i8_e32 v144, v188, v4
	v_dot4c_i32_i8_e32 v152, v190, v6
	v_mov_b32_e32 v145, 0
	v_dot4c_i32_i8_e32 v144, v185, v5
	v_dot4c_i32_i8_e32 v152, v190, v7
	;; [unrolled: 1-line block ×10, first 2 shown]
	v_mul_lo_u32 v144, v144, v206
	v_dot4c_i32_i8_e32 v145, v180, v3
	v_dot4c_i32_i8_e32 v152, v201, v3
	v_pk_fma_f32 v[118:119], v[146:147], v[216:217], v[118:119]
	s_nop 0
	v_mad_u64_u32 v[144:145], s[18:19], v145, v204, v[144:145]
	v_cvt_f32_i32_e32 v148, v144
	v_cvt_f32_i32_e32 v145, v150
	;; [unrolled: 1-line block ×3, first 2 shown]
	v_pk_mul_f32 v[144:145], v[14:15], v[144:145] op_sel_hi:[0,1]
	v_pk_fma_f32 v[144:145], v[12:13], v[148:149], v[144:145] op_sel_hi:[0,1,1] neg_lo:[0,0,1] neg_hi:[0,0,1]
	v_mov_b32_e32 v148, 0
	v_dot4c_i32_i8_e32 v148, v203, v4
	v_pk_fma_f32 v[116:117], v[146:147], v[144:145], v[116:117]
	v_mov_b32_e32 v144, 0
	v_dot4c_i32_i8_e32 v148, v203, v5
	v_dot4c_i32_i8_e32 v144, v200, v4
	;; [unrolled: 1-line block ×3, first 2 shown]
	v_mov_b32_e32 v145, 0
	v_dot4c_i32_i8_e32 v144, v197, v5
	v_dot4c_i32_i8_e32 v148, v203, v7
	;; [unrolled: 1-line block ×10, first 2 shown]
	v_mul_lo_u32 v144, v144, v214
	v_dot4c_i32_i8_e32 v145, v196, v3
	v_dot4c_i32_i8_e32 v148, v211, v3
	v_mov_b32_e32 v149, 0
	s_nop 0
	v_mad_u64_u32 v[144:145], s[18:19], v145, v213, v[144:145]
	v_cvt_f32_i32_e32 v150, v144
	v_cvt_f32_i32_e32 v145, v218
	;; [unrolled: 1-line block ×3, first 2 shown]
	v_mov_b32_e32 v218, 0
	v_pk_mul_f32 v[144:145], v[142:143], v[144:145] op_sel_hi:[0,1]
	v_pk_fma_f32 v[144:145], v[140:141], v[150:151], v[144:145] op_sel_hi:[0,1,1] neg_lo:[0,0,1] neg_hi:[0,0,1]
	v_pk_fma_f32 v[104:105], v[146:147], v[144:145], v[104:105]
	v_mov_b32_e32 v145, 0
	v_mov_b32_e32 v144, 0
	v_dot4c_i32_i8_e32 v145, v212, v4
	v_dot4c_i32_i8_e32 v144, v210, v4
	;; [unrolled: 1-line block ×5, first 2 shown]
	v_mov_b32_e32 v5, 0
	v_dot4c_i32_i8_e32 v145, v212, v7
	v_dot4c_i32_i8_e32 v5, v181, v0
	;; [unrolled: 1-line block ×9, first 2 shown]
	v_mul_lo_u32 v4, v144, v215
	v_dot4c_i32_i8_e32 v5, v184, v3
	v_dot4c_i32_i8_e32 v145, v202, v3
	v_mov_b32_e32 v151, 0
	s_nop 0
	v_mad_u64_u32 v[0:1], s[18:19], v5, v205, v[4:5]
	v_cvt_f32_i32_e32 v152, v0
	v_cvt_f32_i32_e32 v1, v219
	v_cvt_f32_i32_e32 v0, v145
	v_mov_b32_e32 v219, 0
	v_pk_mul_f32 v[0:1], v[138:139], v[0:1] op_sel_hi:[0,1]
	v_pk_fma_f32 v[0:1], v[136:137], v[152:153], v[0:1] op_sel_hi:[0,1,1] neg_lo:[0,0,1] neg_hi:[0,0,1]
	v_pk_fma_f32 v[84:85], v[146:147], v[0:1], v[84:85]
	v_add_u32_e32 v0, 0x7600, v13
	ds_read2_b32 v[144:145], v0 offset0:104 offset1:136
	ds_read_b128 v[4:7], v11 offset:18944
	ds_read_b128 v[0:3], v11 offset:18960
	v_mov_b32_e32 v146, 0
	v_mov_b32_e32 v147, 0
	s_waitcnt lgkmcnt(1)
	v_dot4c_i32_i8_e32 v146, v175, v4
	v_dot4c_i32_i8_e32 v146, v172, v5
	s_waitcnt lgkmcnt(0)
	v_dot4c_i32_i8_e32 v147, v15, v0
	v_dot4c_i32_i8_e32 v146, v173, v6
	;; [unrolled: 1-line block ×7, first 2 shown]
	v_mul_lo_u32 v146, v146, v192
	v_dot4c_i32_i8_e32 v218, v190, v4
	v_mad_u64_u32 v[146:147], s[18:19], v147, v191, v[146:147]
	v_cvt_f32_i32_e32 v152, v146
	v_mov_b32_e32 v146, 0
	v_dot4c_i32_i8_e32 v146, v188, v4
	v_mov_b32_e32 v147, 0
	v_dot4c_i32_i8_e32 v146, v185, v5
	v_dot4c_i32_i8_e32 v147, v177, v0
	;; [unrolled: 1-line block ×8, first 2 shown]
	v_mul_lo_u32 v146, v146, v206
	v_dot4c_i32_i8_e32 v220, v212, v4
	v_mad_u64_u32 v[146:147], s[18:19], v147, v204, v[146:147]
	v_cvt_f32_i32_e32 v150, v146
	v_mov_b32_e32 v146, 0
	v_dot4c_i32_i8_e32 v146, v200, v4
	v_mov_b32_e32 v147, 0
	v_dot4c_i32_i8_e32 v146, v197, v5
	v_dot4c_i32_i8_e32 v147, v193, v0
	;; [unrolled: 1-line block ×8, first 2 shown]
	v_mul_lo_u32 v146, v146, v214
	v_dot4c_i32_i8_e32 v218, v190, v5
	v_mad_u64_u32 v[146:147], s[18:19], v147, v213, v[146:147]
	v_cvt_f32_i32_e32 v148, v146
	v_mov_b32_e32 v146, 0
	v_dot4c_i32_i8_e32 v146, v210, v4
	v_dot4c_i32_i8_e32 v219, v203, v5
	v_dot4c_i32_i8_e32 v146, v207, v5
	v_dot4c_i32_i8_e32 v220, v212, v5
	v_mov_b32_e32 v5, 0
	v_dot4c_i32_i8_e32 v149, v176, v6
	v_dot4c_i32_i8_e32 v218, v190, v6
	;; [unrolled: 1-line block ×20, first 2 shown]
	v_mul_lo_u32 v4, v146, v215
	v_dot4c_i32_i8_e32 v220, v202, v1
	v_dot4c_i32_i8_e32 v5, v184, v3
	;; [unrolled: 1-line block ×6, first 2 shown]
	v_mad_u64_u32 v[0:1], s[18:19], v5, v205, v[4:5]
	v_dot4c_i32_i8_e32 v149, v189, v3
	v_dot4c_i32_i8_e32 v218, v201, v3
	;; [unrolled: 1-line block ×4, first 2 shown]
	v_cvt_f32_i32_e32 v146, v0
	ds_read_b128 v[4:7], v11 offset:19968
	ds_read_b128 v[0:3], v11 offset:19984
	v_mov_b32_e32 v147, 0
	s_waitcnt lgkmcnt(1)
	v_dot4c_i32_i8_e32 v147, v175, v4
	v_dot4c_i32_i8_e32 v147, v172, v5
	;; [unrolled: 1-line block ×8, first 2 shown]
	s_waitcnt lgkmcnt(0)
	v_dot4c_i32_i8_e32 v151, v189, v0
	v_mul_lo_u32 v216, v147, v192
	v_mov_b32_e32 v147, 0
	v_dot4c_i32_i8_e32 v147, v15, v0
	v_dot4c_i32_i8_e32 v147, v154, v1
	;; [unrolled: 1-line block ×7, first 2 shown]
	s_nop 1
	v_mad_u64_u32 v[216:217], s[18:19], v147, v191, v[216:217]
	v_cvt_f32_i32_e32 v153, v216
	v_cvt_f32_i32_e32 v217, v151
	;; [unrolled: 1-line block ×3, first 2 shown]
	v_mov_b32_e32 v147, 0
	v_dot4c_i32_i8_e32 v147, v188, v4
	v_mov_b32_e32 v149, 0
	v_dot4c_i32_i8_e32 v147, v185, v5
	v_pk_mul_f32 v[216:217], v[10:11], v[216:217] op_sel_hi:[0,1]
	v_dot4c_i32_i8_e32 v149, v190, v4
	v_dot4c_i32_i8_e32 v147, v186, v6
	v_pk_fma_f32 v[152:153], v[8:9], v[152:153], v[216:217] op_sel_hi:[0,1,1] neg_lo:[0,0,1] neg_hi:[0,0,1]
	v_dot4c_i32_i8_e32 v149, v190, v5
	v_dot4c_i32_i8_e32 v147, v187, v7
	v_pk_fma_f32 v[38:39], v[144:145], v[152:153], v[38:39]
	v_dot4c_i32_i8_e32 v149, v190, v6
	v_dot4c_i32_i8_e32 v149, v190, v7
	v_mul_lo_u32 v152, v147, v206
	v_mov_b32_e32 v147, 0
	v_dot4c_i32_i8_e32 v147, v177, v0
	v_dot4c_i32_i8_e32 v149, v201, v0
	;; [unrolled: 1-line block ×8, first 2 shown]
	v_add_u32_e32 v216, 0x7800, v13
	v_mov_b32_e32 v217, 0
	v_mad_u64_u32 v[152:153], s[18:19], v147, v204, v[152:153]
	v_cvt_f32_i32_e32 v151, v152
	v_cvt_f32_i32_e32 v153, v149
	;; [unrolled: 1-line block ×3, first 2 shown]
	v_mov_b32_e32 v147, 0
	v_dot4c_i32_i8_e32 v147, v200, v4
	v_dot4c_i32_i8_e32 v147, v197, v5
	v_pk_mul_f32 v[152:153], v[14:15], v[152:153] op_sel_hi:[0,1]
	v_pk_fma_f32 v[150:151], v[12:13], v[150:151], v[152:153] op_sel_hi:[0,1,1] neg_lo:[0,0,1] neg_hi:[0,0,1]
	v_mov_b32_e32 v152, 0
	v_dot4c_i32_i8_e32 v152, v203, v4
	v_dot4c_i32_i8_e32 v147, v198, v6
	;; [unrolled: 1-line block ×4, first 2 shown]
	v_pk_fma_f32 v[36:37], v[144:145], v[150:151], v[36:37]
	v_dot4c_i32_i8_e32 v152, v203, v6
	v_dot4c_i32_i8_e32 v152, v203, v7
	v_mul_lo_u32 v150, v147, v214
	v_mov_b32_e32 v147, 0
	v_dot4c_i32_i8_e32 v147, v193, v0
	v_dot4c_i32_i8_e32 v152, v211, v0
	;; [unrolled: 1-line block ×8, first 2 shown]
	s_nop 1
	v_mad_u64_u32 v[150:151], s[18:19], v147, v213, v[150:151]
	v_cvt_f32_i32_e32 v149, v150
	v_cvt_f32_i32_e32 v151, v152
	;; [unrolled: 1-line block ×3, first 2 shown]
	v_mov_b32_e32 v147, 0
	v_dot4c_i32_i8_e32 v147, v210, v4
	v_dot4c_i32_i8_e32 v147, v207, v5
	v_pk_mul_f32 v[150:151], v[142:143], v[150:151] op_sel_hi:[0,1]
	v_pk_fma_f32 v[148:149], v[140:141], v[148:149], v[150:151] op_sel_hi:[0,1,1] neg_lo:[0,0,1] neg_hi:[0,0,1]
	v_pk_fma_f32 v[34:35], v[144:145], v[148:149], v[34:35]
	v_mov_b32_e32 v148, 0
	v_dot4c_i32_i8_e32 v148, v212, v4
	v_dot4c_i32_i8_e32 v148, v212, v5
	;; [unrolled: 1-line block ×3, first 2 shown]
	v_mov_b32_e32 v5, 0
	v_dot4c_i32_i8_e32 v148, v212, v7
	v_dot4c_i32_i8_e32 v5, v181, v0
	;; [unrolled: 1-line block ×9, first 2 shown]
	v_mul_lo_u32 v4, v147, v215
	v_dot4c_i32_i8_e32 v5, v184, v3
	v_dot4c_i32_i8_e32 v148, v202, v3
	v_mov_b32_e32 v149, 0
	v_mov_b32_e32 v151, 0
	v_mad_u64_u32 v[0:1], s[18:19], v5, v205, v[4:5]
	v_cvt_f32_i32_e32 v147, v0
	v_cvt_f32_i32_e32 v1, v148
	;; [unrolled: 1-line block ×3, first 2 shown]
	v_mov_b32_e32 v220, 0
	v_pk_mul_f32 v[0:1], v[138:139], v[0:1] op_sel_hi:[0,1]
	v_pk_fma_f32 v[0:1], v[136:137], v[146:147], v[0:1] op_sel_hi:[0,1,1] neg_lo:[0,0,1] neg_hi:[0,0,1]
	v_pk_fma_f32 v[32:33], v[144:145], v[0:1], v[32:33]
	ds_read2_b32 v[144:145], v216 offset0:40 offset1:72
	ds_read_b128 v[4:7], v11 offset:20992
	ds_read_b128 v[0:3], v11 offset:21008
	v_mov_b32_e32 v146, 0
	v_mov_b32_e32 v147, 0
	s_waitcnt lgkmcnt(1)
	v_dot4c_i32_i8_e32 v146, v175, v4
	v_dot4c_i32_i8_e32 v146, v172, v5
	s_waitcnt lgkmcnt(0)
	v_dot4c_i32_i8_e32 v147, v15, v0
	v_dot4c_i32_i8_e32 v146, v173, v6
	;; [unrolled: 1-line block ×7, first 2 shown]
	v_mul_lo_u32 v146, v146, v192
	v_dot4c_i32_i8_e32 v217, v190, v4
	v_mad_u64_u32 v[146:147], s[18:19], v147, v191, v[146:147]
	v_cvt_f32_i32_e32 v152, v146
	v_mov_b32_e32 v146, 0
	v_dot4c_i32_i8_e32 v146, v188, v4
	v_mov_b32_e32 v147, 0
	v_dot4c_i32_i8_e32 v146, v185, v5
	v_dot4c_i32_i8_e32 v147, v177, v0
	;; [unrolled: 1-line block ×8, first 2 shown]
	v_mul_lo_u32 v146, v146, v206
	v_dot4c_i32_i8_e32 v221, v212, v4
	v_mad_u64_u32 v[146:147], s[18:19], v147, v204, v[146:147]
	v_cvt_f32_i32_e32 v150, v146
	v_mov_b32_e32 v146, 0
	v_dot4c_i32_i8_e32 v146, v200, v4
	v_mov_b32_e32 v147, 0
	v_dot4c_i32_i8_e32 v146, v197, v5
	v_dot4c_i32_i8_e32 v147, v193, v0
	;; [unrolled: 1-line block ×8, first 2 shown]
	v_mul_lo_u32 v146, v146, v214
	v_dot4c_i32_i8_e32 v217, v190, v5
	v_mad_u64_u32 v[146:147], s[18:19], v147, v213, v[146:147]
	v_cvt_f32_i32_e32 v148, v146
	v_mov_b32_e32 v146, 0
	v_dot4c_i32_i8_e32 v146, v210, v4
	v_dot4c_i32_i8_e32 v220, v203, v5
	;; [unrolled: 1-line block ×4, first 2 shown]
	v_mov_b32_e32 v5, 0
	v_dot4c_i32_i8_e32 v149, v176, v6
	v_dot4c_i32_i8_e32 v217, v190, v6
	;; [unrolled: 1-line block ×20, first 2 shown]
	v_mul_lo_u32 v4, v146, v215
	v_dot4c_i32_i8_e32 v221, v202, v1
	v_dot4c_i32_i8_e32 v5, v184, v3
	;; [unrolled: 1-line block ×6, first 2 shown]
	v_mad_u64_u32 v[0:1], s[18:19], v5, v205, v[4:5]
	v_dot4c_i32_i8_e32 v149, v189, v3
	v_dot4c_i32_i8_e32 v217, v201, v3
	;; [unrolled: 1-line block ×4, first 2 shown]
	v_cvt_f32_i32_e32 v146, v0
	ds_read_b128 v[4:7], v11 offset:22016
	ds_read_b128 v[0:3], v11 offset:22032
	v_mov_b32_e32 v147, 0
	s_waitcnt lgkmcnt(1)
	v_dot4c_i32_i8_e32 v147, v175, v4
	v_dot4c_i32_i8_e32 v147, v172, v5
	;; [unrolled: 1-line block ×8, first 2 shown]
	s_waitcnt lgkmcnt(0)
	v_dot4c_i32_i8_e32 v151, v189, v0
	v_mul_lo_u32 v218, v147, v192
	v_mov_b32_e32 v147, 0
	v_dot4c_i32_i8_e32 v147, v15, v0
	v_dot4c_i32_i8_e32 v147, v154, v1
	;; [unrolled: 1-line block ×7, first 2 shown]
	s_nop 1
	v_mad_u64_u32 v[218:219], s[18:19], v147, v191, v[218:219]
	v_cvt_f32_i32_e32 v153, v218
	v_cvt_f32_i32_e32 v219, v151
	;; [unrolled: 1-line block ×3, first 2 shown]
	v_mov_b32_e32 v147, 0
	v_dot4c_i32_i8_e32 v147, v188, v4
	v_mov_b32_e32 v149, 0
	v_dot4c_i32_i8_e32 v147, v185, v5
	v_pk_mul_f32 v[218:219], v[10:11], v[218:219] op_sel_hi:[0,1]
	v_dot4c_i32_i8_e32 v149, v190, v4
	v_dot4c_i32_i8_e32 v147, v186, v6
	v_pk_fma_f32 v[152:153], v[8:9], v[152:153], v[218:219] op_sel_hi:[0,1,1] neg_lo:[0,0,1] neg_hi:[0,0,1]
	v_dot4c_i32_i8_e32 v149, v190, v5
	v_dot4c_i32_i8_e32 v147, v187, v7
	v_pk_fma_f32 v[30:31], v[144:145], v[152:153], v[30:31]
	v_dot4c_i32_i8_e32 v149, v190, v6
	v_dot4c_i32_i8_e32 v149, v190, v7
	v_mul_lo_u32 v152, v147, v206
	v_mov_b32_e32 v147, 0
	v_dot4c_i32_i8_e32 v147, v177, v0
	v_dot4c_i32_i8_e32 v149, v201, v0
	;; [unrolled: 1-line block ×8, first 2 shown]
	v_mov_b32_e32 v218, 0
	s_nop 0
	v_mad_u64_u32 v[152:153], s[18:19], v147, v204, v[152:153]
	v_cvt_f32_i32_e32 v151, v152
	v_cvt_f32_i32_e32 v153, v149
	;; [unrolled: 1-line block ×3, first 2 shown]
	v_mov_b32_e32 v147, 0
	v_dot4c_i32_i8_e32 v147, v200, v4
	v_dot4c_i32_i8_e32 v147, v197, v5
	v_pk_mul_f32 v[152:153], v[14:15], v[152:153] op_sel_hi:[0,1]
	v_pk_fma_f32 v[150:151], v[12:13], v[150:151], v[152:153] op_sel_hi:[0,1,1] neg_lo:[0,0,1] neg_hi:[0,0,1]
	v_mov_b32_e32 v152, 0
	v_dot4c_i32_i8_e32 v152, v203, v4
	v_dot4c_i32_i8_e32 v147, v198, v6
	;; [unrolled: 1-line block ×4, first 2 shown]
	v_pk_fma_f32 v[28:29], v[144:145], v[150:151], v[28:29]
	v_dot4c_i32_i8_e32 v152, v203, v6
	v_dot4c_i32_i8_e32 v152, v203, v7
	v_mul_lo_u32 v150, v147, v214
	v_mov_b32_e32 v147, 0
	v_dot4c_i32_i8_e32 v147, v193, v0
	v_dot4c_i32_i8_e32 v152, v211, v0
	;; [unrolled: 1-line block ×8, first 2 shown]
	v_mov_b32_e32 v217, 0
	s_nop 0
	v_mad_u64_u32 v[150:151], s[18:19], v147, v213, v[150:151]
	v_cvt_f32_i32_e32 v149, v150
	v_cvt_f32_i32_e32 v151, v152
	;; [unrolled: 1-line block ×3, first 2 shown]
	v_mov_b32_e32 v147, 0
	v_dot4c_i32_i8_e32 v147, v210, v4
	v_dot4c_i32_i8_e32 v147, v207, v5
	v_pk_mul_f32 v[150:151], v[142:143], v[150:151] op_sel_hi:[0,1]
	v_pk_fma_f32 v[148:149], v[140:141], v[148:149], v[150:151] op_sel_hi:[0,1,1] neg_lo:[0,0,1] neg_hi:[0,0,1]
	v_pk_fma_f32 v[26:27], v[144:145], v[148:149], v[26:27]
	v_mov_b32_e32 v148, 0
	v_dot4c_i32_i8_e32 v148, v212, v4
	v_dot4c_i32_i8_e32 v148, v212, v5
	;; [unrolled: 1-line block ×3, first 2 shown]
	v_mov_b32_e32 v5, 0
	v_dot4c_i32_i8_e32 v148, v212, v7
	v_dot4c_i32_i8_e32 v5, v181, v0
	;; [unrolled: 1-line block ×9, first 2 shown]
	v_mul_lo_u32 v4, v147, v215
	v_dot4c_i32_i8_e32 v5, v184, v3
	v_dot4c_i32_i8_e32 v148, v202, v3
	v_mov_b32_e32 v149, 0
	v_mov_b32_e32 v151, 0
	v_mad_u64_u32 v[0:1], s[18:19], v5, v205, v[4:5]
	v_cvt_f32_i32_e32 v147, v0
	v_cvt_f32_i32_e32 v1, v148
	;; [unrolled: 1-line block ×3, first 2 shown]
	v_pk_mul_f32 v[0:1], v[138:139], v[0:1] op_sel_hi:[0,1]
	v_pk_fma_f32 v[0:1], v[136:137], v[146:147], v[0:1] op_sel_hi:[0,1,1] neg_lo:[0,0,1] neg_hi:[0,0,1]
	v_pk_fma_f32 v[24:25], v[144:145], v[0:1], v[24:25]
	ds_read2_b32 v[144:145], v216 offset0:104 offset1:136
	ds_read_b128 v[4:7], v11 offset:23040
	ds_read_b128 v[0:3], v11 offset:23056
	v_mov_b32_e32 v146, 0
	v_mov_b32_e32 v147, 0
	;; [unrolled: 1-line block ×3, first 2 shown]
	s_waitcnt lgkmcnt(1)
	v_dot4c_i32_i8_e32 v146, v175, v4
	v_dot4c_i32_i8_e32 v146, v172, v5
	s_waitcnt lgkmcnt(0)
	v_dot4c_i32_i8_e32 v147, v15, v0
	v_dot4c_i32_i8_e32 v146, v173, v6
	;; [unrolled: 1-line block ×7, first 2 shown]
	v_mul_lo_u32 v146, v146, v192
	v_dot4c_i32_i8_e32 v217, v190, v4
	v_mad_u64_u32 v[146:147], s[18:19], v147, v191, v[146:147]
	v_cvt_f32_i32_e32 v152, v146
	v_mov_b32_e32 v146, 0
	v_dot4c_i32_i8_e32 v146, v188, v4
	v_mov_b32_e32 v147, 0
	v_dot4c_i32_i8_e32 v146, v185, v5
	v_dot4c_i32_i8_e32 v147, v177, v0
	;; [unrolled: 1-line block ×8, first 2 shown]
	v_mul_lo_u32 v146, v146, v206
	v_dot4c_i32_i8_e32 v216, v212, v4
	v_mad_u64_u32 v[146:147], s[18:19], v147, v204, v[146:147]
	v_cvt_f32_i32_e32 v150, v146
	v_mov_b32_e32 v146, 0
	v_dot4c_i32_i8_e32 v146, v200, v4
	v_mov_b32_e32 v147, 0
	v_dot4c_i32_i8_e32 v146, v197, v5
	v_dot4c_i32_i8_e32 v147, v193, v0
	;; [unrolled: 1-line block ×8, first 2 shown]
	v_mul_lo_u32 v146, v146, v214
	v_dot4c_i32_i8_e32 v217, v190, v5
	v_mad_u64_u32 v[146:147], s[18:19], v147, v213, v[146:147]
	v_cvt_f32_i32_e32 v148, v146
	v_mov_b32_e32 v146, 0
	v_dot4c_i32_i8_e32 v146, v210, v4
	v_dot4c_i32_i8_e32 v218, v203, v5
	;; [unrolled: 1-line block ×4, first 2 shown]
	v_mov_b32_e32 v5, 0
	v_dot4c_i32_i8_e32 v149, v176, v6
	v_dot4c_i32_i8_e32 v217, v190, v6
	v_dot4c_i32_i8_e32 v218, v203, v6
	v_dot4c_i32_i8_e32 v216, v212, v6
	v_dot4c_i32_i8_e32 v5, v181, v0
	v_dot4c_i32_i8_e32 v149, v176, v7
	v_dot4c_i32_i8_e32 v217, v190, v7
	v_dot4c_i32_i8_e32 v218, v203, v7
	v_dot4c_i32_i8_e32 v146, v208, v6
	v_dot4c_i32_i8_e32 v216, v212, v7
	v_dot4c_i32_i8_e32 v5, v182, v1
	v_dot4c_i32_i8_e32 v149, v189, v0
	v_dot4c_i32_i8_e32 v217, v201, v0
	v_dot4c_i32_i8_e32 v218, v211, v0
	v_dot4c_i32_i8_e32 v146, v209, v7
	v_dot4c_i32_i8_e32 v216, v202, v0
	v_dot4c_i32_i8_e32 v5, v183, v2
	v_dot4c_i32_i8_e32 v149, v189, v1
	v_dot4c_i32_i8_e32 v217, v201, v1
	v_dot4c_i32_i8_e32 v218, v211, v1
	v_mul_lo_u32 v4, v146, v215
	v_dot4c_i32_i8_e32 v216, v202, v1
	v_dot4c_i32_i8_e32 v5, v184, v3
	;; [unrolled: 1-line block ×6, first 2 shown]
	v_mad_u64_u32 v[0:1], s[18:19], v5, v205, v[4:5]
	v_dot4c_i32_i8_e32 v149, v189, v3
	v_dot4c_i32_i8_e32 v217, v201, v3
	;; [unrolled: 1-line block ×4, first 2 shown]
	v_cvt_f32_i32_e32 v146, v0
	ds_read_b128 v[4:7], v11 offset:24064
	ds_read_b128 v[0:3], v11 offset:24080
	v_mov_b32_e32 v147, 0
	s_waitcnt lgkmcnt(1)
	v_dot4c_i32_i8_e32 v147, v175, v4
	v_dot4c_i32_i8_e32 v147, v172, v5
	;; [unrolled: 1-line block ×8, first 2 shown]
	s_waitcnt lgkmcnt(0)
	v_dot4c_i32_i8_e32 v151, v189, v0
	v_mul_lo_u32 v172, v147, v192
	v_mov_b32_e32 v147, 0
	v_dot4c_i32_i8_e32 v147, v15, v0
	v_dot4c_i32_i8_e32 v147, v154, v1
	;; [unrolled: 1-line block ×7, first 2 shown]
	v_mov_b32_e32 v15, 0
	v_dot4c_i32_i8_e32 v15, v177, v0
	v_mad_u64_u32 v[154:155], s[18:19], v147, v191, v[172:173]
	v_cvt_f32_i32_e32 v153, v154
	v_cvt_f32_i32_e32 v155, v151
	;; [unrolled: 1-line block ×3, first 2 shown]
	v_dot4c_i32_i8_e32 v15, v178, v1
	v_dot4c_i32_i8_e32 v15, v179, v2
	;; [unrolled: 1-line block ×3, first 2 shown]
	v_pk_mul_f32 v[154:155], v[10:11], v[154:155] op_sel_hi:[0,1]
	v_mov_b32_e32 v10, 0
	v_dot4c_i32_i8_e32 v10, v190, v4
	v_pk_fma_f32 v[152:153], v[8:9], v[152:153], v[154:155] op_sel_hi:[0,1,1] neg_lo:[0,0,1] neg_hi:[0,0,1]
	v_mov_b32_e32 v8, 0
	v_dot4c_i32_i8_e32 v10, v190, v5
	v_dot4c_i32_i8_e32 v8, v188, v4
	;; [unrolled: 1-line block ×10, first 2 shown]
	v_pk_fma_f32 v[22:23], v[144:145], v[152:153], v[22:23]
	v_mul_lo_u32 v8, v8, v206
	v_dot4c_i32_i8_e32 v10, v201, v3
	v_mad_u64_u32 v[152:153], s[18:19], v15, v204, v[8:9]
	v_cvt_f32_i32_e32 v151, v152
	s_nop 0
	v_cvt_f32_i32_e32 v153, v10
	v_cvt_f32_i32_e32 v152, v217
	v_mov_b32_e32 v10, 0
	v_dot4c_i32_i8_e32 v10, v203, v4
	v_mov_b32_e32 v8, 0
	v_pk_mul_f32 v[14:15], v[14:15], v[152:153] op_sel_hi:[0,1]
	v_dot4c_i32_i8_e32 v10, v203, v5
	v_pk_fma_f32 v[14:15], v[12:13], v[150:151], v[14:15] op_sel_hi:[0,1,1] neg_lo:[0,0,1] neg_hi:[0,0,1]
	v_dot4c_i32_i8_e32 v8, v200, v4
	v_dot4c_i32_i8_e32 v10, v203, v6
	v_mov_b32_e32 v12, 0
	v_dot4c_i32_i8_e32 v8, v197, v5
	v_dot4c_i32_i8_e32 v10, v203, v7
	;; [unrolled: 1-line block ×10, first 2 shown]
	v_mul_lo_u32 v8, v8, v214
	v_dot4c_i32_i8_e32 v12, v196, v3
	v_pk_fma_f32 v[20:21], v[144:145], v[14:15], v[20:21]
	v_dot4c_i32_i8_e32 v10, v211, v3
	v_add_u32_e32 v13, 4, v13
	v_mad_u64_u32 v[14:15], s[18:19], v12, v213, v[8:9]
	s_nop 0
	v_cvt_f32_i32_e32 v15, v10
	v_mov_b32_e32 v10, 0
	v_mov_b32_e32 v8, 0
	v_dot4c_i32_i8_e32 v10, v212, v4
	v_dot4c_i32_i8_e32 v8, v210, v4
	;; [unrolled: 1-line block ×5, first 2 shown]
	v_mov_b32_e32 v5, 0
	v_dot4c_i32_i8_e32 v10, v212, v7
	v_dot4c_i32_i8_e32 v5, v181, v0
	;; [unrolled: 1-line block ×9, first 2 shown]
	v_mul_lo_u32 v4, v8, v215
	v_dot4c_i32_i8_e32 v5, v184, v3
	v_dot4c_i32_i8_e32 v10, v202, v3
	v_cvt_f32_i32_e32 v149, v14
	v_cvt_f32_i32_e32 v14, v218
	v_mad_u64_u32 v[0:1], s[18:19], v5, v205, v[4:5]
	v_cvt_f32_i32_e32 v147, v0
	v_cvt_f32_i32_e32 v1, v10
	;; [unrolled: 1-line block ×3, first 2 shown]
	v_pk_mul_f32 v[14:15], v[142:143], v[14:15] op_sel_hi:[0,1]
	v_pk_fma_f32 v[14:15], v[140:141], v[148:149], v[14:15] op_sel_hi:[0,1,1] neg_lo:[0,0,1] neg_hi:[0,0,1]
	v_pk_fma_f32 v[18:19], v[144:145], v[14:15], v[18:19]
	v_pk_mul_f32 v[0:1], v[138:139], v[0:1] op_sel_hi:[0,1]
	v_pk_fma_f32 v[0:1], v[136:137], v[146:147], v[0:1] op_sel_hi:[0,1,1] neg_lo:[0,0,1] neg_hi:[0,0,1]
	v_pk_fma_f32 v[16:17], v[144:145], v[0:1], v[16:17]
	v_add_u32_e32 v11, 32, v11
	s_cbranch_scc1 .LBB168_7
; %bb.8:                                ;   in Loop: Header=BB168_6 Depth=1
	v_add_u32_e32 v8, s8, v109
	v_add_u32_e32 v0, v8, v55
	;; [unrolled: 1-line block ×9, first 2 shown]
	v_mad_i64_i32 v[144:145], s[18:19], v8, 36, v[132:133]
	v_add_u32_e32 v8, 4, v9
	v_mad_i64_i32 v[0:1], s[18:19], v0, 36, v[132:133]
	v_mad_i64_i32 v[2:3], s[18:19], v2, 36, v[132:133]
	;; [unrolled: 1-line block ×4, first 2 shown]
	v_mad_u64_u32 v[146:147], s[18:19], v8, 36, s[2:3]
	s_barrier
	v_mad_i64_i32 v[10:11], s[18:19], v10, 36, v[132:133]
	v_mad_i64_i32 v[12:13], s[18:19], v12, 36, v[132:133]
	v_mad_i64_i32 v[14:15], s[18:19], v14, 36, v[132:133]
	global_load_dword v8, v[146:147], off
	s_nop 0
	global_load_dword v0, v[0:1], off offset:4
	s_nop 0
	global_load_dword v1, v[2:3], off offset:4
	;; [unrolled: 2-line block ×3, first 2 shown]
	global_load_dword v3, v[6:7], off offset:4
	s_nop 0
	global_load_dword v4, v[10:11], off offset:4
	global_load_dword v5, v[12:13], off offset:4
	;; [unrolled: 1-line block ×4, first 2 shown]
	s_mov_b32 s9, 8
	s_mov_b32 s11, 0
	v_mov_b32_e32 v11, v159
	v_mov_b32_e32 v13, v158
	s_waitcnt vmcnt(8)
	v_cvt_f32_f16_e32 v8, v8
	s_waitcnt vmcnt(7)
	ds_write_b32 v59, v0
	s_waitcnt vmcnt(6)
	ds_write_b32 v63, v1
	s_waitcnt vmcnt(5)
	ds_write_b32 v67, v2
	s_waitcnt vmcnt(4)
	ds_write_b32 v71, v3
	s_waitcnt vmcnt(3)
	ds_write_b32 v75, v4
	s_waitcnt vmcnt(2)
	ds_write_b32 v79, v5
	s_waitcnt vmcnt(1)
	ds_write_b32 v83, v6
	s_waitcnt vmcnt(0)
	ds_write_b32 v89, v7
	ds_write_b32 v53, v8
	s_waitcnt lgkmcnt(0)
	s_barrier
.LBB168_9:                              ;   Parent Loop BB168_6 Depth=1
                                        ; =>  This Inner Loop Header: Depth=2
	s_add_i32 s17, s11, 8
	s_and_b32 s19, s17, 0x3ffffff8
	s_lshl_b32 s19, s19, 2
	v_add_u32_e32 v8, s19, v91
	ds_read2_b32 v[144:145], v13 offset1:32
	ds_read_b128 v[4:7], v11
	ds_read_b128 v[0:3], v11 offset:16
	ds_read2_b32 v[14:15], v8 offset1:1
	s_lshr_b32 s20, s17, 2
	s_and_b32 s18, s9, -16
	v_add_u32_e32 v136, s11, v125
	s_and_b32 s20, s20, 0x3ffffffc
	s_waitcnt lgkmcnt(0)
	v_ashrrev_i32_e32 v10, s11, v14
	v_and_b32_e32 v187, 0x3030303, v10
	v_ashrrev_i32_e32 v10, s11, v15
	ds_read2_b32 v[14:15], v8 offset0:2 offset1:3
	v_and_b32_e32 v184, 0x3030303, v10
	v_mov_b32_e32 v213, 0
	v_mov_b32_e32 v215, 0
	;; [unrolled: 1-line block ×3, first 2 shown]
	s_waitcnt lgkmcnt(0)
	v_ashrrev_i32_e32 v10, s11, v14
	v_and_b32_e32 v185, 0x3030303, v10
	v_ashrrev_i32_e32 v10, s11, v15
	ds_read2_b32 v[14:15], v8 offset0:4 offset1:5
	v_and_b32_e32 v186, 0x3030303, v10
	v_mov_b32_e32 v221, 0
	v_mov_b32_e32 v147, 0
	;; [unrolled: 1-line block ×3, first 2 shown]
	s_waitcnt lgkmcnt(0)
	v_ashrrev_i32_e32 v10, s11, v14
	v_and_b32_e32 v177, 0x3030303, v10
	v_ashrrev_i32_e32 v10, s11, v15
	ds_read2_b32 v[14:15], v8 offset0:6 offset1:7
	v_and_b32_e32 v178, 0x3030303, v10
	v_add_u32_e32 v10, s20, v93
	v_mov_b32_e32 v216, 0
	v_mov_b32_e32 v220, 0
	s_waitcnt lgkmcnt(0)
	v_ashrrev_i32_e32 v8, s11, v14
	v_and_b32_e32 v179, 0x3030303, v8
	v_ashrrev_i32_e32 v8, s11, v15
	v_and_b32_e32 v180, 0x3030303, v8
	v_add3_u32 v8, v157, s18, v136
	ds_read_b32 v10, v10
	ds_read_u16 v8, v8
	v_dot4c_i32_i8_e32 v147, v187, v4
	v_dot4c_i32_i8_e32 v147, v184, v5
	;; [unrolled: 1-line block ×3, first 2 shown]
	s_waitcnt lgkmcnt(1)
	v_cvt_f32_f16_sdwa v14, v10 dst_sel:DWORD dst_unused:UNUSED_PAD src0_sel:WORD_1
	s_waitcnt lgkmcnt(0)
	v_bfe_u32 v12, v8, 4, 4
	v_mul_lo_u32 v205, v12, s1
	v_and_b32_e32 v196, 15, v8
	v_lshrrev_b32_sdwa v12, v169, v8 dst_sel:DWORD dst_unused:UNUSED_PAD src0_sel:DWORD src1_sel:BYTE_1
	v_and_b32_sdwa v206, v8, v170 dst_sel:DWORD dst_unused:UNUSED_PAD src0_sel:BYTE_1 src1_sel:DWORD
	v_add_u32_e32 v8, s19, v95
	v_mul_lo_u32 v204, v12, s1
	v_mov_b32_e32 v12, 0
	ds_read2_b32 v[148:149], v8 offset1:1
	v_dot4c_i32_i8_e32 v12, v177, v0
	v_dot4c_i32_i8_e32 v12, v178, v1
	;; [unrolled: 1-line block ×7, first 2 shown]
	v_mul_lo_u32 v146, v206, v12
	v_cvt_f32_f16_e32 v12, v10
	s_waitcnt lgkmcnt(0)
	v_ashrrev_i32_e32 v10, s11, v148
	v_and_b32_e32 v201, 0x3030303, v10
	v_ashrrev_i32_e32 v10, s11, v149
	ds_read2_b32 v[148:149], v8 offset0:2 offset1:3
	v_and_b32_e32 v198, 0x3030303, v10
	v_dot4c_i32_i8_e32 v214, v201, v4
	v_dot4c_i32_i8_e32 v213, v205, v7
	;; [unrolled: 1-line block ×3, first 2 shown]
	s_waitcnt lgkmcnt(0)
	v_ashrrev_i32_e32 v10, s11, v148
	v_and_b32_e32 v199, 0x3030303, v10
	v_ashrrev_i32_e32 v10, s11, v149
	ds_read2_b32 v[148:149], v8 offset0:4 offset1:5
	v_and_b32_e32 v200, 0x3030303, v10
	v_dot4c_i32_i8_e32 v213, v204, v1
	v_dot4c_i32_i8_e32 v214, v198, v5
	v_dot4c_i32_i8_e32 v213, v204, v2
	s_waitcnt lgkmcnt(0)
	v_ashrrev_i32_e32 v10, s11, v148
	v_and_b32_e32 v191, 0x3030303, v10
	v_ashrrev_i32_e32 v10, s11, v149
	ds_read2_b32 v[148:149], v8 offset0:6 offset1:7
	v_and_b32_e32 v192, 0x3030303, v10
	v_add_u32_e32 v10, s20, v97
	v_dot4c_i32_i8_e32 v214, v199, v6
	v_dot4c_i32_i8_e32 v147, v186, v7
	s_waitcnt lgkmcnt(0)
	v_ashrrev_i32_e32 v8, s11, v148
	v_and_b32_e32 v193, 0x3030303, v8
	v_ashrrev_i32_e32 v8, s11, v149
	v_and_b32_e32 v194, 0x3030303, v8
	v_add3_u32 v8, v156, s18, v136
	ds_read_b32 v10, v10
	ds_read_u16 v8, v8
	v_dot4c_i32_i8_e32 v213, v204, v3
	v_dot4c_i32_i8_e32 v214, v200, v7
	v_mov_b32_e32 v222, 0
	s_waitcnt lgkmcnt(1)
	v_cvt_f32_f16_e32 v140, v10
	s_waitcnt lgkmcnt(0)
	v_bfe_u32 v15, v8, 4, 4
	v_mul_lo_u32 v203, v15, s1
	v_and_b32_e32 v209, 15, v8
	v_lshrrev_b32_sdwa v15, v169, v8 dst_sel:DWORD dst_unused:UNUSED_PAD src0_sel:DWORD src1_sel:BYTE_1
	v_and_b32_sdwa v212, v8, v170 dst_sel:DWORD dst_unused:UNUSED_PAD src0_sel:BYTE_1 src1_sel:DWORD
	v_add_u32_e32 v8, s19, v99
	ds_read2_b32 v[150:151], v8 offset1:1
	ds_read2_b32 v[152:153], v8 offset0:6 offset1:7
	v_cvt_f32_f16_sdwa v142, v10 dst_sel:DWORD dst_unused:UNUSED_PAD src0_sel:WORD_1
	v_mul_lo_u32 v211, v15, s1
	v_mov_b32_e32 v15, 0
	s_waitcnt lgkmcnt(1)
	v_ashrrev_i32_e32 v10, s11, v150
	v_and_b32_e32 v210, 0x3030303, v10
	v_ashrrev_i32_e32 v10, s11, v151
	ds_read2_b32 v[150:151], v8 offset0:2 offset1:3
	v_and_b32_e32 v154, 0x3030303, v10
	v_dot4c_i32_i8_e32 v15, v191, v0
	v_dot4c_i32_i8_e32 v15, v192, v1
	;; [unrolled: 1-line block ×3, first 2 shown]
	s_waitcnt lgkmcnt(0)
	v_ashrrev_i32_e32 v10, s11, v150
	v_and_b32_e32 v155, 0x3030303, v10
	v_ashrrev_i32_e32 v10, s11, v151
	ds_read2_b32 v[150:151], v8 offset0:4 offset1:5
	v_dot4c_i32_i8_e32 v15, v194, v3
	v_and_b32_e32 v171, 0x3030303, v10
	v_ashrrev_i32_e32 v8, s11, v152
	v_dot4c_i32_i8_e32 v215, v203, v4
	s_waitcnt lgkmcnt(0)
	v_ashrrev_i32_e32 v10, s11, v150
	v_mul_lo_u32 v148, v212, v15
	v_and_b32_e32 v15, 0x3030303, v10
	v_ashrrev_i32_e32 v10, s11, v151
	v_and_b32_e32 v151, 0x3030303, v8
	v_ashrrev_i32_e32 v8, s11, v153
	v_and_b32_e32 v149, 0x3030303, v10
	v_and_b32_e32 v153, 0x3030303, v8
	v_add3_u32 v8, v143, s18, v136
	v_add_u32_e32 v10, s20, v101
	ds_read_b32 v10, v10
	ds_read_u16 v8, v8
	v_add3_u32 v136, v141, s18, v136
	v_dot4c_i32_i8_e32 v215, v203, v5
	v_dot4c_i32_i8_e32 v216, v210, v4
	;; [unrolled: 1-line block ×3, first 2 shown]
	s_waitcnt lgkmcnt(0)
	v_bfe_u32 v138, v8, 4, 4
	v_mul_lo_u32 v176, v138, s1
	v_lshrrev_b32_sdwa v138, v169, v8 dst_sel:DWORD dst_unused:UNUSED_PAD src0_sel:DWORD src1_sel:BYTE_1
	v_mul_lo_u32 v195, v138, s1
	v_mov_b32_e32 v138, 0
	v_dot4c_i32_i8_e32 v138, v15, v0
	v_dot4c_i32_i8_e32 v138, v149, v1
	v_dot4c_i32_i8_e32 v138, v151, v2
	v_dot4c_i32_i8_e32 v138, v153, v3
	v_and_b32_sdwa v197, v8, v170 dst_sel:DWORD dst_unused:UNUSED_PAD src0_sel:BYTE_1 src1_sel:DWORD
	v_dot4c_i32_i8_e32 v217, v176, v4
	v_dot4c_i32_i8_e32 v217, v176, v5
	v_mul_lo_u32 v150, v197, v138
	v_add_u32_e32 v138, s19, v103
	ds_read2_b32 v[172:173], v138 offset1:1
	ds_read2_b32 v[174:175], v138 offset0:6 offset1:7
	v_dot4c_i32_i8_e32 v217, v176, v6
	v_dot4c_i32_i8_e32 v215, v203, v7
	;; [unrolled: 1-line block ×3, first 2 shown]
	s_waitcnt lgkmcnt(1)
	v_ashrrev_i32_e32 v152, s11, v172
	v_and_b32_e32 v189, 0x3030303, v152
	v_ashrrev_i32_e32 v152, s11, v173
	ds_read2_b32 v[172:173], v138 offset0:2 offset1:3
	v_and_b32_e32 v181, 0x3030303, v152
	v_dot4c_i32_i8_e32 v220, v189, v4
	v_dot4c_i32_i8_e32 v215, v211, v0
	;; [unrolled: 1-line block ×3, first 2 shown]
	s_waitcnt lgkmcnt(0)
	v_ashrrev_i32_e32 v152, s11, v172
	v_and_b32_e32 v182, 0x3030303, v152
	v_ashrrev_i32_e32 v152, s11, v173
	ds_read2_b32 v[172:173], v138 offset0:4 offset1:5
	v_ashrrev_i32_e32 v138, s11, v174
	v_and_b32_e32 v174, 0x3030303, v138
	v_ashrrev_i32_e32 v138, s11, v175
	v_and_b32_e32 v175, 0x3030303, v138
	v_add_u32_e32 v138, s20, v107
	ds_read_b32 v138, v138
	ds_read_u16 v136, v136
	v_and_b32_e32 v183, 0x3030303, v152
	s_waitcnt lgkmcnt(2)
	v_ashrrev_i32_e32 v152, s11, v172
	v_and_b32_e32 v172, 0x3030303, v152
	v_ashrrev_i32_e32 v152, s11, v173
	v_and_b32_e32 v173, 0x3030303, v152
	s_waitcnt lgkmcnt(0)
	v_bfe_u32 v152, v136, 4, 4
	v_mul_lo_u32 v190, v152, s1
	v_dot4c_i32_i8_e32 v221, v190, v4
	v_dot4c_i32_i8_e32 v221, v190, v5
	v_lshrrev_b32_sdwa v4, v169, v136 dst_sel:DWORD dst_unused:UNUSED_PAD src0_sel:DWORD src1_sel:BYTE_1
	v_dot4c_i32_i8_e32 v221, v190, v6
	v_mul_lo_u32 v207, v4, s1
	v_mov_b32_e32 v4, 0
	v_dot4c_i32_i8_e32 v221, v190, v7
	v_dot4c_i32_i8_e32 v4, v172, v0
	;; [unrolled: 1-line block ×16, first 2 shown]
	v_and_b32_sdwa v208, v136, v170 dst_sel:DWORD dst_unused:UNUSED_PAD src0_sel:BYTE_1 src1_sel:DWORD
	v_dot4c_i32_i8_e32 v215, v211, v3
	v_dot4c_i32_i8_e32 v216, v171, v7
	;; [unrolled: 1-line block ×5, first 2 shown]
	v_mul_lo_u32 v152, v208, v4
	ds_read_b128 v[4:7], v11 offset:1024
	ds_read_b128 v[0:3], v11 offset:1040
	v_mov_b32_e32 v218, 0
	v_mov_b32_e32 v219, 0
	v_mad_u64_u32 v[146:147], s[18:19], v196, v147, v[146:147]
	s_waitcnt lgkmcnt(1)
	v_dot4c_i32_i8_e32 v222, v205, v4
	v_dot4c_i32_i8_e32 v222, v205, v5
	;; [unrolled: 1-line block ×6, first 2 shown]
	s_waitcnt lgkmcnt(0)
	v_dot4c_i32_i8_e32 v219, v177, v0
	v_dot4c_i32_i8_e32 v218, v185, v6
	v_dot4c_i32_i8_e32 v222, v204, v0
	v_dot4c_i32_i8_e32 v219, v178, v1
	v_dot4c_i32_i8_e32 v218, v186, v7
	v_dot4c_i32_i8_e32 v222, v204, v1
	v_dot4c_i32_i8_e32 v219, v179, v2
	v_dot4c_i32_i8_e32 v222, v204, v2
	v_mul_lo_u32 v218, v218, v196
	v_dot4c_i32_i8_e32 v219, v180, v3
	v_dot4c_i32_i8_e32 v222, v204, v3
	v_cvt_f32_i32_e32 v147, v146
	v_cvt_f32_i32_e32 v215, v215
	v_mad_u64_u32 v[218:219], s[18:19], v219, v206, v[218:219]
	v_cvt_f32_i32_e32 v146, v218
	v_cvt_f32_i32_e32 v219, v213
	;; [unrolled: 1-line block ×3, first 2 shown]
	v_mov_b32_e32 v213, 0
	v_dot4c_i32_i8_e32 v213, v203, v4
	v_dot4c_i32_i8_e32 v213, v203, v5
	v_pk_mul_f32 v[218:219], v[14:15], v[218:219] op_sel_hi:[0,1]
	v_pk_fma_f32 v[218:219], v[12:13], v[146:147], v[218:219] op_sel_hi:[0,1,1] neg_lo:[0,0,1] neg_hi:[0,0,1]
	v_mov_b32_e32 v147, v144
	v_mov_b32_e32 v144, 0
	v_dot4c_i32_i8_e32 v213, v203, v6
	v_mov_b32_e32 v146, v145
	v_dot4c_i32_i8_e32 v144, v201, v4
	v_dot4c_i32_i8_e32 v213, v203, v7
	v_mov_b32_e32 v145, 0
	v_dot4c_i32_i8_e32 v144, v198, v5
	v_dot4c_i32_i8_e32 v145, v191, v0
	;; [unrolled: 1-line block ×10, first 2 shown]
	v_mul_lo_u32 v144, v144, v209
	v_dot4c_i32_i8_e32 v213, v211, v3
	v_pk_fma_f32 v[118:119], v[146:147], v[218:219], v[118:119]
	v_mad_u64_u32 v[144:145], s[18:19], v145, v212, v[144:145]
	v_mad_u64_u32 v[218:219], s[18:19], v209, v214, v[148:149]
	v_cvt_f32_i32_e32 v214, v213
	v_cvt_f32_i32_e32 v145, v218
	;; [unrolled: 1-line block ×3, first 2 shown]
	v_mov_b32_e32 v148, 0
	v_pk_mul_f32 v[214:215], v[142:143], v[214:215] op_sel_hi:[0,1]
	v_dot4c_i32_i8_e32 v148, v176, v4
	v_pk_fma_f32 v[144:145], v[140:141], v[144:145], v[214:215] op_sel_hi:[0,1,1] neg_lo:[0,0,1] neg_hi:[0,0,1]
	v_pk_fma_f32 v[116:117], v[146:147], v[144:145], v[116:117]
	v_mov_b32_e32 v144, 0
	v_dot4c_i32_i8_e32 v148, v176, v5
	v_dot4c_i32_i8_e32 v144, v210, v4
	;; [unrolled: 1-line block ×3, first 2 shown]
	v_mov_b32_e32 v145, 0
	v_dot4c_i32_i8_e32 v144, v154, v5
	v_dot4c_i32_i8_e32 v148, v176, v7
	;; [unrolled: 1-line block ×6, first 2 shown]
	v_and_b32_e32 v188, 15, v8
	v_dot4c_i32_i8_e32 v144, v171, v7
	v_dot4c_i32_i8_e32 v148, v195, v1
	;; [unrolled: 1-line block ×4, first 2 shown]
	v_mul_lo_u32 v144, v144, v188
	v_dot4c_i32_i8_e32 v145, v153, v3
	v_dot4c_i32_i8_e32 v148, v195, v3
	v_mad_u64_u32 v[214:215], s[18:19], v188, v216, v[150:151]
	s_nop 0
	v_mad_u64_u32 v[144:145], s[18:19], v145, v197, v[144:145]
	v_cvt_f32_f16_e32 v8, v10
	v_cvt_f32_f16_sdwa v10, v10 dst_sel:DWORD dst_unused:UNUSED_PAD src0_sel:WORD_1
	v_cvt_f32_i32_e32 v145, v214
	v_cvt_f32_i32_e32 v215, v217
	;; [unrolled: 1-line block ×4, first 2 shown]
	v_and_b32_e32 v202, 15, v136
	v_cvt_f32_f16_e32 v136, v138
	v_pk_mul_f32 v[214:215], v[10:11], v[214:215] op_sel_hi:[0,1]
	v_pk_fma_f32 v[144:145], v[8:9], v[144:145], v[214:215] op_sel_hi:[0,1,1] neg_lo:[0,0,1] neg_hi:[0,0,1]
	v_pk_fma_f32 v[104:105], v[146:147], v[144:145], v[104:105]
	v_mov_b32_e32 v145, 0
	v_mov_b32_e32 v144, 0
	v_dot4c_i32_i8_e32 v145, v190, v4
	v_dot4c_i32_i8_e32 v144, v189, v4
	;; [unrolled: 1-line block ×5, first 2 shown]
	v_mov_b32_e32 v5, 0
	v_dot4c_i32_i8_e32 v145, v190, v7
	v_dot4c_i32_i8_e32 v5, v172, v0
	;; [unrolled: 1-line block ×9, first 2 shown]
	v_mul_lo_u32 v4, v144, v202
	v_dot4c_i32_i8_e32 v5, v175, v3
	v_dot4c_i32_i8_e32 v145, v207, v3
	v_mad_u64_u32 v[2:3], s[18:19], v202, v220, v[152:153]
	s_nop 0
	v_mad_u64_u32 v[0:1], s[18:19], v5, v208, v[4:5]
	v_cvt_f32_f16_sdwa v138, v138 dst_sel:DWORD dst_unused:UNUSED_PAD src0_sel:WORD_1
	v_cvt_f32_i32_e32 v1, v2
	v_cvt_f32_i32_e32 v3, v221
	;; [unrolled: 1-line block ×4, first 2 shown]
	v_mov_b32_e32 v213, 0
	v_mov_b32_e32 v219, 0
	v_pk_mul_f32 v[2:3], v[138:139], v[2:3] op_sel_hi:[0,1]
	v_pk_fma_f32 v[0:1], v[136:137], v[0:1], v[2:3] op_sel_hi:[0,1,1] neg_lo:[0,0,1] neg_hi:[0,0,1]
	v_pk_fma_f32 v[84:85], v[146:147], v[0:1], v[84:85]
	ds_read2_b32 v[144:145], v13 offset0:64 offset1:96
	ds_read_b128 v[0:3], v11 offset:2048
	ds_read_b128 v[4:7], v11 offset:2064
	v_mov_b32_e32 v146, 0
	v_mov_b32_e32 v221, 0
	;; [unrolled: 1-line block ×3, first 2 shown]
	s_waitcnt lgkmcnt(1)
	v_dot4c_i32_i8_e32 v213, v205, v0
	s_waitcnt lgkmcnt(0)
	v_dot4c_i32_i8_e32 v146, v177, v4
	v_dot4c_i32_i8_e32 v146, v178, v5
	;; [unrolled: 1-line block ×7, first 2 shown]
	v_mul_lo_u32 v152, v146, v206
	v_mov_b32_e32 v146, 0
	v_dot4c_i32_i8_e32 v146, v191, v4
	v_dot4c_i32_i8_e32 v146, v192, v5
	;; [unrolled: 1-line block ×3, first 2 shown]
	v_mov_b32_e32 v147, 0
	v_dot4c_i32_i8_e32 v213, v205, v1
	v_mov_b32_e32 v218, 0
	v_dot4c_i32_i8_e32 v219, v203, v1
	v_dot4c_i32_i8_e32 v146, v194, v7
	v_mov_b32_e32 v220, 0
	v_dot4c_i32_i8_e32 v221, v176, v1
	v_mov_b32_e32 v222, 0
	v_dot4c_i32_i8_e32 v223, v190, v1
	v_dot4c_i32_i8_e32 v147, v187, v0
	;; [unrolled: 1-line block ×5, first 2 shown]
	v_mul_lo_u32 v150, v146, v212
	v_dot4c_i32_i8_e32 v220, v210, v0
	v_dot4c_i32_i8_e32 v221, v176, v2
	v_mov_b32_e32 v146, 0
	v_dot4c_i32_i8_e32 v222, v189, v0
	v_dot4c_i32_i8_e32 v223, v190, v2
	v_mov_b32_e32 v0, 0
	v_dot4c_i32_i8_e32 v213, v205, v3
	v_dot4c_i32_i8_e32 v219, v203, v3
	;; [unrolled: 1-line block ×38, first 2 shown]
	v_mul_lo_u32 v148, v146, v197
	v_dot4c_i32_i8_e32 v222, v183, v3
	v_dot4c_i32_i8_e32 v223, v207, v7
	v_mul_lo_u32 v146, v0, v208
	ds_read_b128 v[4:7], v11 offset:3072
	ds_read_b128 v[0:3], v11 offset:3088
	v_mov_b32_e32 v224, 0
	v_mov_b32_e32 v214, 0
	;; [unrolled: 1-line block ×3, first 2 shown]
	s_waitcnt lgkmcnt(1)
	v_dot4c_i32_i8_e32 v224, v205, v4
	v_dot4c_i32_i8_e32 v214, v187, v4
	;; [unrolled: 1-line block ×5, first 2 shown]
	s_waitcnt lgkmcnt(0)
	v_dot4c_i32_i8_e32 v215, v177, v0
	v_dot4c_i32_i8_e32 v214, v185, v6
	;; [unrolled: 1-line block ×4, first 2 shown]
	v_mad_u64_u32 v[216:217], s[18:19], v147, v196, v[152:153]
	v_mov_b32_e32 v147, 0
	v_dot4c_i32_i8_e32 v214, v186, v7
	v_dot4c_i32_i8_e32 v224, v204, v0
	;; [unrolled: 1-line block ×4, first 2 shown]
	v_mul_lo_u32 v214, v214, v196
	v_dot4c_i32_i8_e32 v224, v204, v1
	v_dot4c_i32_i8_e32 v215, v180, v3
	;; [unrolled: 1-line block ×5, first 2 shown]
	v_mad_u64_u32 v[214:215], s[18:19], v215, v206, v[214:215]
	v_dot4c_i32_i8_e32 v224, v204, v3
	v_cvt_f32_i32_e32 v215, v214
	v_cvt_f32_i32_e32 v214, v216
	v_cvt_f32_i32_e32 v216, v213
	v_mov_b32_e32 v213, 0
	v_dot4c_i32_i8_e32 v147, v200, v7
	v_cvt_f32_i32_e32 v217, v224
	v_dot4c_i32_i8_e32 v213, v203, v4
	v_dot4c_i32_i8_e32 v213, v203, v5
	v_mul_lo_u32 v152, v147, v209
	v_mov_b32_e32 v147, 0
	v_dot4c_i32_i8_e32 v147, v191, v0
	v_dot4c_i32_i8_e32 v213, v203, v6
	;; [unrolled: 1-line block ×5, first 2 shown]
	v_pk_mul_f32 v[216:217], v[14:15], v[216:217] op_sel_hi:[0,1]
	v_dot4c_i32_i8_e32 v213, v211, v0
	v_dot4c_i32_i8_e32 v147, v194, v3
	v_pk_fma_f32 v[214:215], v[12:13], v[214:215], v[216:217] op_sel_hi:[0,1,1] neg_lo:[0,0,1] neg_hi:[0,0,1]
	v_dot4c_i32_i8_e32 v213, v211, v1
	v_dot4c_i32_i8_e32 v213, v211, v2
	v_mad_u64_u32 v[216:217], s[18:19], v147, v212, v[152:153]
	v_mov_b32_e32 v147, 0
	v_dot4c_i32_i8_e32 v147, v210, v4
	v_pk_fma_f32 v[38:39], v[144:145], v[214:215], v[38:39]
	v_dot4c_i32_i8_e32 v213, v211, v3
	v_mad_u64_u32 v[214:215], s[18:19], v218, v209, v[150:151]
	v_dot4c_i32_i8_e32 v147, v154, v5
	v_cvt_f32_i32_e32 v215, v216
	v_cvt_f32_i32_e32 v217, v213
	;; [unrolled: 1-line block ×3, first 2 shown]
	v_dot4c_i32_i8_e32 v147, v155, v6
	v_cvt_f32_i32_e32 v214, v214
	v_dot4c_i32_i8_e32 v147, v171, v7
	v_pk_mul_f32 v[216:217], v[142:143], v[216:217] op_sel_hi:[0,1]
	v_mov_b32_e32 v152, 0
	v_pk_fma_f32 v[214:215], v[140:141], v[214:215], v[216:217] op_sel_hi:[0,1,1] neg_lo:[0,0,1] neg_hi:[0,0,1]
	v_mul_lo_u32 v150, v147, v188
	v_mov_b32_e32 v147, 0
	v_dot4c_i32_i8_e32 v147, v15, v0
	v_dot4c_i32_i8_e32 v147, v149, v1
	;; [unrolled: 1-line block ×3, first 2 shown]
	v_pk_fma_f32 v[36:37], v[144:145], v[214:215], v[36:37]
	v_dot4c_i32_i8_e32 v147, v153, v3
	v_mad_u64_u32 v[214:215], s[18:19], v220, v188, v[148:149]
	v_mov_b32_e32 v148, 0
	v_dot4c_i32_i8_e32 v152, v176, v4
	v_mad_u64_u32 v[216:217], s[18:19], v147, v197, v[150:151]
	v_mov_b32_e32 v147, 0
	v_dot4c_i32_i8_e32 v148, v190, v4
	v_dot4c_i32_i8_e32 v152, v176, v5
	;; [unrolled: 1-line block ×7, first 2 shown]
	v_mov_b32_e32 v5, 0
	v_dot4c_i32_i8_e32 v152, v176, v7
	v_dot4c_i32_i8_e32 v148, v190, v7
	;; [unrolled: 1-line block ×12, first 2 shown]
	v_mul_lo_u32 v4, v147, v202
	v_dot4c_i32_i8_e32 v148, v207, v2
	v_dot4c_i32_i8_e32 v5, v175, v3
	;; [unrolled: 1-line block ×4, first 2 shown]
	v_mad_u64_u32 v[0:1], s[18:19], v222, v202, v[146:147]
	v_mad_u64_u32 v[2:3], s[18:19], v5, v208, v[4:5]
	v_cvt_f32_i32_e32 v215, v216
	v_cvt_f32_i32_e32 v217, v152
	;; [unrolled: 1-line block ×8, first 2 shown]
	v_pk_mul_f32 v[216:217], v[10:11], v[216:217] op_sel_hi:[0,1]
	v_pk_mul_f32 v[2:3], v[138:139], v[2:3] op_sel_hi:[0,1]
	v_pk_fma_f32 v[214:215], v[8:9], v[214:215], v[216:217] op_sel_hi:[0,1,1] neg_lo:[0,0,1] neg_hi:[0,0,1]
	v_pk_fma_f32 v[0:1], v[136:137], v[0:1], v[2:3] op_sel_hi:[0,1,1] neg_lo:[0,0,1] neg_hi:[0,0,1]
	v_pk_fma_f32 v[34:35], v[144:145], v[214:215], v[34:35]
	v_pk_fma_f32 v[32:33], v[144:145], v[0:1], v[32:33]
	ds_read2_b32 v[144:145], v13 offset0:128 offset1:160
	ds_read_b128 v[0:3], v11 offset:4096
	ds_read_b128 v[4:7], v11 offset:4112
	v_mov_b32_e32 v146, 0
	v_mov_b32_e32 v213, 0
	;; [unrolled: 1-line block ×4, first 2 shown]
	s_waitcnt lgkmcnt(0)
	v_dot4c_i32_i8_e32 v146, v177, v4
	v_dot4c_i32_i8_e32 v146, v178, v5
	;; [unrolled: 1-line block ×4, first 2 shown]
	v_mov_b32_e32 v223, 0
	v_dot4c_i32_i8_e32 v213, v205, v0
	v_dot4c_i32_i8_e32 v219, v203, v0
	v_mul_lo_u32 v152, v146, v206
	v_mov_b32_e32 v146, 0
	v_dot4c_i32_i8_e32 v146, v191, v4
	v_dot4c_i32_i8_e32 v146, v192, v5
	;; [unrolled: 1-line block ×5, first 2 shown]
	v_mov_b32_e32 v147, 0
	v_dot4c_i32_i8_e32 v213, v205, v1
	v_mov_b32_e32 v218, 0
	v_dot4c_i32_i8_e32 v219, v203, v1
	v_dot4c_i32_i8_e32 v146, v194, v7
	v_mov_b32_e32 v220, 0
	v_dot4c_i32_i8_e32 v221, v176, v1
	v_mov_b32_e32 v222, 0
	v_dot4c_i32_i8_e32 v223, v190, v1
	v_dot4c_i32_i8_e32 v147, v187, v0
	;; [unrolled: 1-line block ×5, first 2 shown]
	v_mul_lo_u32 v150, v146, v212
	v_dot4c_i32_i8_e32 v220, v210, v0
	v_dot4c_i32_i8_e32 v221, v176, v2
	v_mov_b32_e32 v146, 0
	v_dot4c_i32_i8_e32 v222, v189, v0
	v_dot4c_i32_i8_e32 v223, v190, v2
	v_mov_b32_e32 v0, 0
	v_dot4c_i32_i8_e32 v213, v205, v3
	v_dot4c_i32_i8_e32 v219, v203, v3
	;; [unrolled: 1-line block ×38, first 2 shown]
	v_mul_lo_u32 v148, v146, v197
	v_dot4c_i32_i8_e32 v222, v183, v3
	v_dot4c_i32_i8_e32 v223, v207, v7
	v_mul_lo_u32 v146, v0, v208
	ds_read_b128 v[4:7], v11 offset:5120
	ds_read_b128 v[0:3], v11 offset:5136
	v_mov_b32_e32 v224, 0
	v_mov_b32_e32 v214, 0
	;; [unrolled: 1-line block ×3, first 2 shown]
	s_waitcnt lgkmcnt(1)
	v_dot4c_i32_i8_e32 v224, v205, v4
	v_dot4c_i32_i8_e32 v214, v187, v4
	;; [unrolled: 1-line block ×5, first 2 shown]
	s_waitcnt lgkmcnt(0)
	v_dot4c_i32_i8_e32 v215, v177, v0
	v_dot4c_i32_i8_e32 v214, v185, v6
	;; [unrolled: 1-line block ×4, first 2 shown]
	v_mad_u64_u32 v[216:217], s[18:19], v147, v196, v[152:153]
	v_mov_b32_e32 v147, 0
	v_dot4c_i32_i8_e32 v214, v186, v7
	v_dot4c_i32_i8_e32 v224, v204, v0
	;; [unrolled: 1-line block ×4, first 2 shown]
	v_mul_lo_u32 v214, v214, v196
	v_dot4c_i32_i8_e32 v224, v204, v1
	v_dot4c_i32_i8_e32 v215, v180, v3
	;; [unrolled: 1-line block ×5, first 2 shown]
	v_mad_u64_u32 v[214:215], s[18:19], v215, v206, v[214:215]
	v_dot4c_i32_i8_e32 v224, v204, v3
	v_cvt_f32_i32_e32 v215, v214
	v_cvt_f32_i32_e32 v214, v216
	;; [unrolled: 1-line block ×3, first 2 shown]
	v_mov_b32_e32 v213, 0
	v_dot4c_i32_i8_e32 v147, v200, v7
	v_cvt_f32_i32_e32 v217, v224
	v_dot4c_i32_i8_e32 v213, v203, v4
	v_dot4c_i32_i8_e32 v213, v203, v5
	v_mul_lo_u32 v152, v147, v209
	v_mov_b32_e32 v147, 0
	v_dot4c_i32_i8_e32 v147, v191, v0
	v_dot4c_i32_i8_e32 v213, v203, v6
	;; [unrolled: 1-line block ×5, first 2 shown]
	v_pk_mul_f32 v[216:217], v[14:15], v[216:217] op_sel_hi:[0,1]
	v_dot4c_i32_i8_e32 v213, v211, v0
	v_dot4c_i32_i8_e32 v147, v194, v3
	v_pk_fma_f32 v[214:215], v[12:13], v[214:215], v[216:217] op_sel_hi:[0,1,1] neg_lo:[0,0,1] neg_hi:[0,0,1]
	v_dot4c_i32_i8_e32 v213, v211, v1
	v_dot4c_i32_i8_e32 v213, v211, v2
	v_mad_u64_u32 v[216:217], s[18:19], v147, v212, v[152:153]
	v_mov_b32_e32 v147, 0
	v_dot4c_i32_i8_e32 v147, v210, v4
	v_pk_fma_f32 v[30:31], v[144:145], v[214:215], v[30:31]
	v_dot4c_i32_i8_e32 v213, v211, v3
	v_mad_u64_u32 v[214:215], s[18:19], v218, v209, v[150:151]
	v_dot4c_i32_i8_e32 v147, v154, v5
	v_cvt_f32_i32_e32 v215, v216
	v_cvt_f32_i32_e32 v217, v213
	;; [unrolled: 1-line block ×3, first 2 shown]
	v_dot4c_i32_i8_e32 v147, v155, v6
	v_cvt_f32_i32_e32 v214, v214
	v_dot4c_i32_i8_e32 v147, v171, v7
	v_pk_mul_f32 v[216:217], v[142:143], v[216:217] op_sel_hi:[0,1]
	v_mov_b32_e32 v152, 0
	v_pk_fma_f32 v[214:215], v[140:141], v[214:215], v[216:217] op_sel_hi:[0,1,1] neg_lo:[0,0,1] neg_hi:[0,0,1]
	v_mul_lo_u32 v150, v147, v188
	v_mov_b32_e32 v147, 0
	v_dot4c_i32_i8_e32 v147, v15, v0
	v_dot4c_i32_i8_e32 v147, v149, v1
	;; [unrolled: 1-line block ×3, first 2 shown]
	v_pk_fma_f32 v[28:29], v[144:145], v[214:215], v[28:29]
	v_dot4c_i32_i8_e32 v147, v153, v3
	v_mad_u64_u32 v[214:215], s[18:19], v220, v188, v[148:149]
	v_mov_b32_e32 v148, 0
	v_dot4c_i32_i8_e32 v152, v176, v4
	v_mad_u64_u32 v[216:217], s[18:19], v147, v197, v[150:151]
	v_mov_b32_e32 v147, 0
	v_dot4c_i32_i8_e32 v148, v190, v4
	v_dot4c_i32_i8_e32 v152, v176, v5
	;; [unrolled: 1-line block ×7, first 2 shown]
	v_mov_b32_e32 v5, 0
	v_dot4c_i32_i8_e32 v152, v176, v7
	v_dot4c_i32_i8_e32 v148, v190, v7
	;; [unrolled: 1-line block ×12, first 2 shown]
	v_mul_lo_u32 v4, v147, v202
	v_dot4c_i32_i8_e32 v148, v207, v2
	v_dot4c_i32_i8_e32 v5, v175, v3
	;; [unrolled: 1-line block ×4, first 2 shown]
	v_mad_u64_u32 v[0:1], s[18:19], v222, v202, v[146:147]
	v_mad_u64_u32 v[2:3], s[18:19], v5, v208, v[4:5]
	v_cvt_f32_i32_e32 v215, v216
	v_cvt_f32_i32_e32 v217, v152
	;; [unrolled: 1-line block ×8, first 2 shown]
	v_pk_mul_f32 v[216:217], v[10:11], v[216:217] op_sel_hi:[0,1]
	v_pk_mul_f32 v[2:3], v[138:139], v[2:3] op_sel_hi:[0,1]
	v_pk_fma_f32 v[214:215], v[8:9], v[214:215], v[216:217] op_sel_hi:[0,1,1] neg_lo:[0,0,1] neg_hi:[0,0,1]
	v_pk_fma_f32 v[0:1], v[136:137], v[0:1], v[2:3] op_sel_hi:[0,1,1] neg_lo:[0,0,1] neg_hi:[0,0,1]
	v_pk_fma_f32 v[26:27], v[144:145], v[214:215], v[26:27]
	v_pk_fma_f32 v[24:25], v[144:145], v[0:1], v[24:25]
	ds_read2_b32 v[144:145], v13 offset0:192 offset1:224
	ds_read_b128 v[0:3], v11 offset:6144
	ds_read_b128 v[4:7], v11 offset:6160
	v_mov_b32_e32 v146, 0
	v_mov_b32_e32 v217, 0
	;; [unrolled: 1-line block ×4, first 2 shown]
	s_waitcnt lgkmcnt(0)
	v_dot4c_i32_i8_e32 v146, v177, v4
	v_dot4c_i32_i8_e32 v146, v178, v5
	;; [unrolled: 1-line block ×4, first 2 shown]
	v_mov_b32_e32 v147, 0
	v_dot4c_i32_i8_e32 v217, v205, v0
	v_dot4c_i32_i8_e32 v219, v203, v0
	v_mul_lo_u32 v152, v146, v206
	v_mov_b32_e32 v146, 0
	v_dot4c_i32_i8_e32 v146, v191, v4
	v_dot4c_i32_i8_e32 v146, v192, v5
	;; [unrolled: 1-line block ×5, first 2 shown]
	v_mov_b32_e32 v216, 0
	v_dot4c_i32_i8_e32 v217, v205, v1
	v_mov_b32_e32 v218, 0
	v_dot4c_i32_i8_e32 v219, v203, v1
	v_dot4c_i32_i8_e32 v146, v194, v7
	v_mov_b32_e32 v215, 0
	v_dot4c_i32_i8_e32 v214, v176, v1
	v_mov_b32_e32 v213, 0
	v_dot4c_i32_i8_e32 v147, v190, v1
	v_dot4c_i32_i8_e32 v216, v187, v0
	;; [unrolled: 1-line block ×5, first 2 shown]
	v_mul_lo_u32 v150, v146, v212
	v_dot4c_i32_i8_e32 v215, v210, v0
	v_dot4c_i32_i8_e32 v214, v176, v2
	v_mov_b32_e32 v146, 0
	v_dot4c_i32_i8_e32 v213, v189, v0
	v_dot4c_i32_i8_e32 v147, v190, v2
	v_mov_b32_e32 v0, 0
	v_dot4c_i32_i8_e32 v217, v205, v3
	v_dot4c_i32_i8_e32 v219, v203, v3
	;; [unrolled: 1-line block ×38, first 2 shown]
	v_mul_lo_u32 v148, v146, v197
	v_dot4c_i32_i8_e32 v213, v183, v3
	v_dot4c_i32_i8_e32 v147, v207, v7
	v_mul_lo_u32 v146, v0, v208
	ds_read_b128 v[4:7], v11 offset:7168
	ds_read_b128 v[0:3], v11 offset:7184
	v_mov_b32_e32 v220, 0
	s_add_i32 s9, s9, 2
	s_add_i32 s11, s11, 2
	s_waitcnt lgkmcnt(1)
	v_dot4c_i32_i8_e32 v220, v187, v4
	v_mov_b32_e32 v187, 0
	v_dot4c_i32_i8_e32 v187, v205, v4
	v_dot4c_i32_i8_e32 v220, v184, v5
	;; [unrolled: 1-line block ×5, first 2 shown]
	v_mov_b32_e32 v185, 0
	v_dot4c_i32_i8_e32 v187, v205, v7
	s_waitcnt lgkmcnt(0)
	v_dot4c_i32_i8_e32 v185, v177, v0
	v_dot4c_i32_i8_e32 v187, v204, v0
	v_dot4c_i32_i8_e32 v185, v178, v1
	v_dot4c_i32_i8_e32 v220, v186, v7
	v_dot4c_i32_i8_e32 v187, v204, v1
	v_dot4c_i32_i8_e32 v185, v179, v2
	v_dot4c_i32_i8_e32 v187, v204, v2
	v_mul_lo_u32 v184, v220, v196
	v_dot4c_i32_i8_e32 v185, v180, v3
	v_dot4c_i32_i8_e32 v187, v204, v3
	v_mad_u64_u32 v[178:179], s[18:19], v216, v196, v[152:153]
	s_nop 0
	v_mad_u64_u32 v[184:185], s[18:19], v185, v206, v[184:185]
	v_cvt_f32_i32_e32 v179, v184
	v_cvt_f32_i32_e32 v185, v187
	;; [unrolled: 1-line block ×4, first 2 shown]
	v_mov_b32_e32 v152, 0
	v_dot4c_i32_i8_e32 v152, v191, v0
	v_pk_mul_f32 v[184:185], v[14:15], v[184:185] op_sel_hi:[0,1]
	v_mov_b32_e32 v14, 0
	v_dot4c_i32_i8_e32 v14, v203, v4
	v_pk_fma_f32 v[178:179], v[12:13], v[178:179], v[184:185] op_sel_hi:[0,1,1] neg_lo:[0,0,1] neg_hi:[0,0,1]
	v_mov_b32_e32 v12, 0
	v_dot4c_i32_i8_e32 v14, v203, v5
	v_dot4c_i32_i8_e32 v12, v201, v4
	;; [unrolled: 1-line block ×12, first 2 shown]
	v_mul_lo_u32 v12, v12, v209
	v_dot4c_i32_i8_e32 v152, v194, v3
	v_pk_fma_f32 v[22:23], v[144:145], v[178:179], v[22:23]
	v_dot4c_i32_i8_e32 v14, v211, v3
	v_mad_u64_u32 v[178:179], s[18:19], v218, v209, v[150:151]
	v_mad_u64_u32 v[184:185], s[18:19], v152, v212, v[12:13]
	v_cvt_f32_i32_e32 v179, v184
	v_cvt_f32_i32_e32 v185, v14
	;; [unrolled: 1-line block ×4, first 2 shown]
	v_mov_b32_e32 v12, 0
	v_dot4c_i32_i8_e32 v12, v210, v4
	v_pk_mul_f32 v[184:185], v[142:143], v[184:185] op_sel_hi:[0,1]
	v_pk_fma_f32 v[178:179], v[140:141], v[178:179], v[184:185] op_sel_hi:[0,1,1] neg_lo:[0,0,1] neg_hi:[0,0,1]
	v_mov_b32_e32 v140, 0
	v_dot4c_i32_i8_e32 v140, v176, v4
	v_dot4c_i32_i8_e32 v140, v176, v5
	;; [unrolled: 1-line block ×3, first 2 shown]
	v_mov_b32_e32 v142, 0
	v_dot4c_i32_i8_e32 v12, v154, v5
	v_dot4c_i32_i8_e32 v140, v176, v7
	;; [unrolled: 1-line block ×10, first 2 shown]
	v_mul_lo_u32 v12, v12, v188
	v_dot4c_i32_i8_e32 v142, v153, v3
	v_dot4c_i32_i8_e32 v140, v195, v3
	v_mad_u64_u32 v[14:15], s[18:19], v215, v188, v[148:149]
	s_nop 0
	v_mad_u64_u32 v[148:149], s[18:19], v142, v197, v[12:13]
	v_cvt_f32_i32_e32 v15, v148
	v_cvt_f32_i32_e32 v149, v140
	;; [unrolled: 1-line block ×4, first 2 shown]
	v_pk_fma_f32 v[20:21], v[144:145], v[178:179], v[20:21]
	v_add_u32_e32 v13, 4, v13
	v_pk_mul_f32 v[148:149], v[10:11], v[148:149] op_sel_hi:[0,1]
	v_mov_b32_e32 v10, 0
	v_pk_fma_f32 v[14:15], v[8:9], v[14:15], v[148:149] op_sel_hi:[0,1,1] neg_lo:[0,0,1] neg_hi:[0,0,1]
	v_mov_b32_e32 v8, 0
	v_dot4c_i32_i8_e32 v10, v190, v4
	v_dot4c_i32_i8_e32 v8, v189, v4
	;; [unrolled: 1-line block ×5, first 2 shown]
	v_mov_b32_e32 v5, 0
	v_dot4c_i32_i8_e32 v10, v190, v7
	v_dot4c_i32_i8_e32 v5, v172, v0
	;; [unrolled: 1-line block ×9, first 2 shown]
	v_mul_lo_u32 v4, v8, v202
	v_dot4c_i32_i8_e32 v5, v175, v3
	v_dot4c_i32_i8_e32 v10, v207, v3
	v_mad_u64_u32 v[0:1], s[18:19], v213, v202, v[146:147]
	s_nop 0
	v_mad_u64_u32 v[2:3], s[18:19], v5, v208, v[4:5]
	v_cvt_f32_i32_e32 v1, v2
	v_cvt_f32_i32_e32 v3, v10
	;; [unrolled: 1-line block ×4, first 2 shown]
	v_pk_fma_f32 v[18:19], v[144:145], v[14:15], v[18:19]
	v_add_u32_e32 v11, 32, v11
	v_pk_mul_f32 v[2:3], v[138:139], v[2:3] op_sel_hi:[0,1]
	v_pk_fma_f32 v[0:1], v[136:137], v[0:1], v[2:3] op_sel_hi:[0,1,1] neg_lo:[0,0,1] neg_hi:[0,0,1]
	v_pk_fma_f32 v[16:17], v[144:145], v[0:1], v[16:17]
	s_cmp_lt_u32 s17, 14
	s_cbranch_scc1 .LBB168_9
; %bb.10:                               ;   in Loop: Header=BB168_6 Depth=1
	s_or_b32 s9, s0, 1
	s_cmp_ge_i32 s9, s4
	s_barrier
	s_cbranch_scc1 .LBB168_5
; %bb.11:                               ;   in Loop: Header=BB168_6 Depth=1
	v_add_u32_e32 v8, s8, v111
	v_add_u32_e32 v0, v8, v55
	;; [unrolled: 1-line block ×9, first 2 shown]
	v_mad_i64_i32 v[144:145], s[18:19], v8, 36, v[132:133]
	v_add_u32_e32 v8, 8, v9
	v_mad_i64_i32 v[0:1], s[18:19], v0, 36, v[132:133]
	v_mad_i64_i32 v[2:3], s[18:19], v2, 36, v[132:133]
	;; [unrolled: 1-line block ×4, first 2 shown]
	v_mad_u64_u32 v[146:147], s[18:19], v8, 36, s[2:3]
	v_mad_i64_i32 v[10:11], s[18:19], v10, 36, v[132:133]
	v_mad_i64_i32 v[12:13], s[18:19], v12, 36, v[132:133]
	;; [unrolled: 1-line block ×3, first 2 shown]
	global_load_dword v8, v[146:147], off
	s_nop 0
	global_load_dword v0, v[0:1], off offset:4
	s_nop 0
	global_load_dword v1, v[2:3], off offset:4
	;; [unrolled: 2-line block ×3, first 2 shown]
	global_load_dword v3, v[6:7], off offset:4
	s_nop 0
	global_load_dword v4, v[10:11], off offset:4
	global_load_dword v5, v[12:13], off offset:4
	;; [unrolled: 1-line block ×4, first 2 shown]
	s_mov_b32 s9, 16
	s_mov_b32 s17, 14
	v_mov_b32_e32 v11, v159
	v_mov_b32_e32 v13, v158
	s_waitcnt vmcnt(8)
	v_cvt_f32_f16_e32 v8, v8
	s_waitcnt vmcnt(7)
	ds_write_b32 v59, v0
	s_waitcnt vmcnt(6)
	ds_write_b32 v63, v1
	;; [unrolled: 2-line block ×8, first 2 shown]
	ds_write_b32 v53, v8
	s_waitcnt lgkmcnt(0)
	s_barrier
.LBB168_12:                             ;   Parent Loop BB168_6 Depth=1
                                        ; =>  This Inner Loop Header: Depth=2
	s_add_i32 s11, s17, 2
	s_and_b32 s19, s11, 0x3ffffff8
	s_lshl_b32 s19, s19, 2
	v_add_u32_e32 v8, s19, v91
	ds_read2_b32 v[144:145], v13 offset1:32
	ds_read_b128 v[4:7], v11
	ds_read_b128 v[0:3], v11 offset:16
	ds_read2_b32 v[14:15], v8 offset1:1
	s_and_b32 s18, s9, -16
	v_add_u32_e32 v12, s18, v125
	s_add_i32 s18, s17, -14
	s_lshr_b32 s20, s11, 2
	s_waitcnt lgkmcnt(0)
	v_ashrrev_i32_e32 v10, s18, v14
	v_and_b32_e32 v186, 0x3030303, v10
	v_ashrrev_i32_e32 v10, s18, v15
	ds_read2_b32 v[14:15], v8 offset0:2 offset1:3
	v_and_b32_e32 v183, 0x3030303, v10
	s_and_b32 s20, s20, 0x3ffffffc
	v_mov_b32_e32 v203, 0
	v_mov_b32_e32 v205, 0
	s_waitcnt lgkmcnt(0)
	v_ashrrev_i32_e32 v10, s18, v14
	v_and_b32_e32 v184, 0x3030303, v10
	v_ashrrev_i32_e32 v10, s18, v15
	ds_read2_b32 v[14:15], v8 offset0:4 offset1:5
	v_and_b32_e32 v185, 0x3030303, v10
	v_mov_b32_e32 v213, 0
	v_mov_b32_e32 v217, 0
	;; [unrolled: 1-line block ×3, first 2 shown]
	s_waitcnt lgkmcnt(0)
	v_ashrrev_i32_e32 v10, s18, v14
	v_and_b32_e32 v179, 0x3030303, v10
	v_ashrrev_i32_e32 v10, s18, v15
	ds_read2_b32 v[14:15], v8 offset0:6 offset1:7
	v_and_b32_e32 v180, 0x3030303, v10
	v_add_u32_e32 v10, s20, v93
	v_mov_b32_e32 v204, 0
	v_mov_b32_e32 v211, 0
	s_waitcnt lgkmcnt(0)
	v_ashrrev_i32_e32 v8, s18, v14
	v_and_b32_e32 v181, 0x3030303, v8
	v_ashrrev_i32_e32 v8, s18, v15
	v_and_b32_e32 v182, 0x3030303, v8
	v_add3_u32 v8, v137, s17, v12
	ds_read_b32 v10, v10
	ds_read_u16 v146, v8 offset:25074
	v_mov_b32_e32 v216, 0
	v_dot4c_i32_i8_e32 v147, v186, v4
	v_mov_b32_e32 v208, 0
	s_waitcnt lgkmcnt(1)
	v_cvt_f32_f16_e32 v136, v10
	s_waitcnt lgkmcnt(0)
	v_bfe_u32 v8, v146, 4, 4
	v_mul_lo_u32 v192, v8, s1
	v_lshrrev_b32_sdwa v8, v169, v146 dst_sel:DWORD dst_unused:UNUSED_PAD src0_sel:DWORD src1_sel:BYTE_1
	v_mul_lo_u32 v199, v8, s1
	v_add_u32_e32 v8, s19, v95
	ds_read2_b32 v[14:15], v8 offset1:1
	v_cvt_f32_f16_sdwa v138, v10 dst_sel:DWORD dst_unused:UNUSED_PAD src0_sel:WORD_1
	v_dot4c_i32_i8_e32 v203, v192, v4
	v_dot4c_i32_i8_e32 v203, v192, v5
	;; [unrolled: 1-line block ×3, first 2 shown]
	s_waitcnt lgkmcnt(0)
	v_ashrrev_i32_e32 v10, s18, v14
	v_and_b32_e32 v196, 0x3030303, v10
	v_ashrrev_i32_e32 v10, s18, v15
	ds_read2_b32 v[14:15], v8 offset0:2 offset1:3
	v_and_b32_e32 v193, 0x3030303, v10
	v_dot4c_i32_i8_e32 v204, v196, v4
	v_dot4c_i32_i8_e32 v203, v192, v7
	v_mov_b32_e32 v214, 0
	s_waitcnt lgkmcnt(0)
	v_ashrrev_i32_e32 v10, s18, v14
	v_and_b32_e32 v194, 0x3030303, v10
	v_ashrrev_i32_e32 v10, s18, v15
	ds_read2_b32 v[14:15], v8 offset0:4 offset1:5
	v_and_b32_e32 v195, 0x3030303, v10
	v_mov_b32_e32 v215, 0
	v_mov_b32_e32 v218, 0
	v_dot4c_i32_i8_e32 v208, v179, v0
	s_waitcnt lgkmcnt(0)
	v_ashrrev_i32_e32 v10, s18, v14
	v_and_b32_e32 v188, 0x3030303, v10
	v_ashrrev_i32_e32 v10, s18, v15
	ds_read2_b32 v[14:15], v8 offset0:6 offset1:7
	v_and_b32_e32 v189, 0x3030303, v10
	v_add_u32_e32 v10, s20, v97
	v_dot4c_i32_i8_e32 v203, v199, v0
	v_dot4c_i32_i8_e32 v214, v188, v0
	s_waitcnt lgkmcnt(0)
	v_ashrrev_i32_e32 v8, s18, v14
	v_and_b32_e32 v190, 0x3030303, v8
	v_ashrrev_i32_e32 v8, s18, v15
	v_and_b32_e32 v191, 0x3030303, v8
	v_add3_u32 v8, v131, s17, v12
	ds_read_b32 v10, v10
	ds_read_u16 v202, v8 offset:26098
	v_dot4c_i32_i8_e32 v147, v183, v5
	v_dot4c_i32_i8_e32 v208, v180, v1
	;; [unrolled: 1-line block ×3, first 2 shown]
	s_waitcnt lgkmcnt(1)
	v_cvt_f32_f16_e32 v140, v10
	s_waitcnt lgkmcnt(0)
	v_bfe_u32 v8, v202, 4, 4
	v_mul_lo_u32 v198, v8, s1
	v_lshrrev_b32_sdwa v8, v169, v202 dst_sel:DWORD dst_unused:UNUSED_PAD src0_sel:DWORD src1_sel:BYTE_1
	v_mul_lo_u32 v201, v8, s1
	v_add_u32_e32 v8, s19, v99
	ds_read2_b32 v[14:15], v8 offset1:1
	ds_read2_b32 v[148:149], v8 offset0:4 offset1:5
	v_cvt_f32_f16_sdwa v142, v10 dst_sel:DWORD dst_unused:UNUSED_PAD src0_sel:WORD_1
	ds_read2_b32 v[154:155], v8 offset0:6 offset1:7
	v_dot4c_i32_i8_e32 v205, v198, v4
	s_waitcnt lgkmcnt(2)
	v_ashrrev_i32_e32 v10, s18, v14
	v_and_b32_e32 v200, 0x3030303, v10
	v_ashrrev_i32_e32 v10, s18, v15
	ds_read2_b32 v[14:15], v8 offset0:2 offset1:3
	v_and_b32_e32 v151, 0x3030303, v10
	s_waitcnt lgkmcnt(1)
	v_ashrrev_i32_e32 v8, s18, v154
	v_dot4c_i32_i8_e32 v205, v198, v5
	v_dot4c_i32_i8_e32 v205, v198, v6
	s_waitcnt lgkmcnt(0)
	v_ashrrev_i32_e32 v10, s18, v14
	v_and_b32_e32 v152, 0x3030303, v10
	v_ashrrev_i32_e32 v10, s18, v15
	v_and_b32_e32 v153, 0x3030303, v10
	;; [unrolled: 2-line block ×4, first 2 shown]
	v_and_b32_e32 v149, 0x3030303, v8
	v_ashrrev_i32_e32 v8, s18, v155
	v_add_u32_e32 v10, s20, v101
	v_add_u32_e32 v14, s19, v103
	v_and_b32_e32 v150, 0x3030303, v8
	v_add3_u32 v8, v127, s17, v12
	ds_read_b32 v10, v10
	ds_read_u16 v210, v8 offset:27122
	ds_read2_b32 v[154:155], v14 offset1:1
	ds_read2_b32 v[206:207], v14 offset0:6 offset1:7
	v_add3_u32 v12, v115, s17, v12
	v_dot4c_i32_i8_e32 v211, v200, v4
	s_waitcnt lgkmcnt(2)
	v_bfe_u32 v8, v210, 4, 4
	s_waitcnt lgkmcnt(1)
	v_ashrrev_i32_e32 v154, s18, v154
	v_and_b32_e32 v177, 0x3030303, v154
	v_ashrrev_i32_e32 v154, s18, v155
	v_and_b32_e32 v174, 0x3030303, v154
	ds_read2_b32 v[154:155], v14 offset0:2 offset1:3
	v_mul_lo_u32 v173, v8, s1
	v_dot4c_i32_i8_e32 v213, v173, v4
	v_dot4c_i32_i8_e32 v213, v173, v5
	;; [unrolled: 1-line block ×3, first 2 shown]
	s_waitcnt lgkmcnt(0)
	v_ashrrev_i32_e32 v154, s18, v154
	v_and_b32_e32 v175, 0x3030303, v154
	v_ashrrev_i32_e32 v154, s18, v155
	v_and_b32_e32 v176, 0x3030303, v154
	ds_read2_b32 v[154:155], v14 offset0:4 offset1:5
	v_ashrrev_i32_e32 v14, s18, v206
	v_and_b32_e32 v171, 0x3030303, v14
	v_ashrrev_i32_e32 v14, s18, v207
	v_and_b32_e32 v172, 0x3030303, v14
	v_add_u32_e32 v14, s20, v107
	ds_read_b32 v14, v14
	ds_read_u16 v212, v12 offset:28146
	v_lshrrev_b32_sdwa v8, v169, v210 dst_sel:DWORD dst_unused:UNUSED_PAD src0_sel:DWORD src1_sel:BYTE_1
	s_waitcnt lgkmcnt(2)
	v_ashrrev_i32_e32 v154, s18, v154
	v_dot4c_i32_i8_e32 v216, v177, v4
	v_dot4c_i32_i8_e32 v205, v198, v7
	s_waitcnt lgkmcnt(0)
	v_bfe_u32 v12, v212, 4, 4
	v_mul_lo_u32 v178, v12, s1
	v_dot4c_i32_i8_e32 v217, v178, v4
	v_dot4c_i32_i8_e32 v217, v178, v5
	;; [unrolled: 1-line block ×3, first 2 shown]
	v_lshrrev_b32_sdwa v4, v169, v212 dst_sel:DWORD dst_unused:UNUSED_PAD src0_sel:DWORD src1_sel:BYTE_1
	v_dot4c_i32_i8_e32 v213, v173, v7
	v_mul_lo_u32 v187, v8, s1
	v_and_b32_e32 v154, 0x3030303, v154
	v_ashrrev_i32_e32 v155, s18, v155
	v_dot4c_i32_i8_e32 v217, v178, v7
	v_mul_lo_u32 v197, v4, s1
	v_dot4c_i32_i8_e32 v205, v201, v0
	v_dot4c_i32_i8_e32 v215, v15, v0
	;; [unrolled: 1-line block ×3, first 2 shown]
	v_and_b32_e32 v155, 0x3030303, v155
	v_dot4c_i32_i8_e32 v218, v154, v0
	v_dot4c_i32_i8_e32 v217, v197, v0
	;; [unrolled: 1-line block ×35, first 2 shown]
	ds_read_b128 v[4:7], v11 offset:1024
	ds_read_b128 v[0:3], v11 offset:1040
	v_mov_b32_e32 v219, 0
	v_mov_b32_e32 v209, 0
	;; [unrolled: 1-line block ×3, first 2 shown]
	s_waitcnt lgkmcnt(1)
	v_dot4c_i32_i8_e32 v219, v192, v4
	v_dot4c_i32_i8_e32 v219, v192, v5
	;; [unrolled: 1-line block ×6, first 2 shown]
	s_waitcnt lgkmcnt(0)
	v_dot4c_i32_i8_e32 v220, v179, v0
	v_dot4c_i32_i8_e32 v209, v184, v6
	;; [unrolled: 1-line block ×7, first 2 shown]
	v_and_b32_e32 v207, 15, v146
	v_and_b32_sdwa v206, v146, v170 dst_sel:DWORD dst_unused:UNUSED_PAD src0_sel:BYTE_1 src1_sel:DWORD
	v_dot4c_i32_i8_e32 v219, v199, v2
	v_dot4c_i32_i8_e32 v220, v182, v3
	v_mul_lo_u32 v146, v206, v208
	v_mul_lo_u32 v208, v207, v209
                                        ; kill: def $vgpr209 killed $sgpr0 killed $exec
	v_dot4c_i32_i8_e32 v219, v199, v3
	v_mad_u64_u32 v[208:209], s[18:19], v206, v220, v[208:209]
	v_mad_u64_u32 v[146:147], s[18:19], v207, v147, v[146:147]
	v_cvt_f32_i32_e32 v147, v146
	v_cvt_f32_i32_e32 v146, v208
	v_cvt_f32_i32_e32 v209, v203
	v_cvt_f32_i32_e32 v208, v219
	v_mov_b32_e32 v219, 0
	v_dot4c_i32_i8_e32 v219, v198, v4
	v_dot4c_i32_i8_e32 v219, v198, v5
	v_pk_mul_f32 v[208:209], v[138:139], v[208:209] op_sel_hi:[0,1]
	v_pk_fma_f32 v[208:209], v[136:137], v[146:147], v[208:209] op_sel_hi:[0,1,1] neg_lo:[0,0,1] neg_hi:[0,0,1]
	v_mov_b32_e32 v146, v145
	v_mov_b32_e32 v145, 0
	v_dot4c_i32_i8_e32 v145, v196, v4
	v_dot4c_i32_i8_e32 v219, v198, v6
	v_mov_b32_e32 v203, 0
	v_dot4c_i32_i8_e32 v145, v193, v5
	v_dot4c_i32_i8_e32 v219, v198, v7
	;; [unrolled: 1-line block ×3, first 2 shown]
	v_mov_b32_e32 v147, v144
	v_dot4c_i32_i8_e32 v145, v194, v6
	v_dot4c_i32_i8_e32 v219, v201, v0
	;; [unrolled: 1-line block ×3, first 2 shown]
	v_pk_fma_f32 v[118:119], v[146:147], v[208:209], v[118:119]
	v_dot4c_i32_i8_e32 v145, v195, v7
	v_dot4c_i32_i8_e32 v219, v201, v1
	;; [unrolled: 1-line block ×3, first 2 shown]
	v_and_b32_e32 v209, 15, v202
	v_and_b32_sdwa v208, v202, v170 dst_sel:DWORD dst_unused:UNUSED_PAD src0_sel:BYTE_1 src1_sel:DWORD
	v_dot4c_i32_i8_e32 v219, v201, v2
	v_dot4c_i32_i8_e32 v203, v191, v3
	v_mul_lo_u32 v144, v208, v214
	v_mul_lo_u32 v202, v209, v145
                                        ; kill: def $vgpr145 killed $sgpr0 killed $exec
	v_dot4c_i32_i8_e32 v219, v201, v3
	v_mad_u64_u32 v[202:203], s[18:19], v208, v203, v[202:203]
	v_mad_u64_u32 v[144:145], s[18:19], v209, v204, v[144:145]
	v_cvt_f32_i32_e32 v145, v144
	v_cvt_f32_i32_e32 v144, v202
	;; [unrolled: 1-line block ×4, first 2 shown]
	v_mov_b32_e32 v214, 0
	v_dot4c_i32_i8_e32 v214, v173, v4
	v_dot4c_i32_i8_e32 v214, v173, v5
	v_pk_mul_f32 v[202:203], v[142:143], v[202:203] op_sel_hi:[0,1]
	v_pk_fma_f32 v[144:145], v[140:141], v[144:145], v[202:203] op_sel_hi:[0,1,1] neg_lo:[0,0,1] neg_hi:[0,0,1]
	v_pk_fma_f32 v[116:117], v[146:147], v[144:145], v[116:117]
	v_mov_b32_e32 v145, 0
	v_dot4c_i32_i8_e32 v145, v200, v4
	v_dot4c_i32_i8_e32 v214, v173, v6
	v_mov_b32_e32 v203, 0
	v_dot4c_i32_i8_e32 v145, v151, v5
	v_dot4c_i32_i8_e32 v214, v173, v7
	;; [unrolled: 1-line block ×9, first 2 shown]
	v_and_b32_e32 v205, 15, v210
	v_and_b32_sdwa v204, v210, v170 dst_sel:DWORD dst_unused:UNUSED_PAD src0_sel:BYTE_1 src1_sel:DWORD
	v_dot4c_i32_i8_e32 v214, v187, v2
	v_dot4c_i32_i8_e32 v203, v150, v3
	v_mul_lo_u32 v144, v204, v215
	v_mul_lo_u32 v202, v205, v145
                                        ; kill: def $vgpr145 killed $sgpr0 killed $exec
	v_dot4c_i32_i8_e32 v214, v187, v3
	v_mad_u64_u32 v[202:203], s[18:19], v204, v203, v[202:203]
	v_mad_u64_u32 v[144:145], s[18:19], v205, v211, v[144:145]
	v_cvt_f32_f16_e32 v8, v10
	v_cvt_f32_f16_sdwa v10, v10 dst_sel:DWORD dst_unused:UNUSED_PAD src0_sel:WORD_1
	v_cvt_f32_i32_e32 v145, v144
	v_cvt_f32_i32_e32 v144, v202
	;; [unrolled: 1-line block ×4, first 2 shown]
	v_cvt_f32_f16_e32 v12, v14
	v_cvt_f32_f16_sdwa v14, v14 dst_sel:DWORD dst_unused:UNUSED_PAD src0_sel:WORD_1
	v_mov_b32_e32 v214, 0
	v_pk_mul_f32 v[202:203], v[10:11], v[202:203] op_sel_hi:[0,1]
	v_pk_fma_f32 v[144:145], v[8:9], v[144:145], v[202:203] op_sel_hi:[0,1,1] neg_lo:[0,0,1] neg_hi:[0,0,1]
	v_pk_fma_f32 v[104:105], v[146:147], v[144:145], v[104:105]
	v_mov_b32_e32 v145, 0
	v_dot4c_i32_i8_e32 v145, v178, v4
	v_mov_b32_e32 v144, 0
	v_dot4c_i32_i8_e32 v145, v178, v5
	v_dot4c_i32_i8_e32 v144, v177, v4
	;; [unrolled: 1-line block ×3, first 2 shown]
	v_mov_b32_e32 v4, 0
	v_dot4c_i32_i8_e32 v144, v174, v5
	v_dot4c_i32_i8_e32 v145, v178, v7
	;; [unrolled: 1-line block ×9, first 2 shown]
	v_and_b32_e32 v203, 15, v212
	v_and_b32_sdwa v202, v212, v170 dst_sel:DWORD dst_unused:UNUSED_PAD src0_sel:BYTE_1 src1_sel:DWORD
	v_dot4c_i32_i8_e32 v145, v197, v2
	v_dot4c_i32_i8_e32 v4, v172, v3
	v_mul_lo_u32 v0, v202, v218
	v_mul_lo_u32 v2, v203, v144
                                        ; kill: def $vgpr1 killed $sgpr0 killed $exec
	v_dot4c_i32_i8_e32 v145, v197, v3
	v_mad_u64_u32 v[2:3], s[18:19], v202, v4, v[2:3]
	v_mad_u64_u32 v[0:1], s[18:19], v203, v216, v[0:1]
	v_cvt_f32_i32_e32 v1, v0
	v_cvt_f32_i32_e32 v0, v2
	;; [unrolled: 1-line block ×4, first 2 shown]
	v_mov_b32_e32 v212, 0
	v_mov_b32_e32 v217, 0
	;; [unrolled: 1-line block ×3, first 2 shown]
	v_pk_mul_f32 v[2:3], v[14:15], v[2:3] op_sel_hi:[0,1]
	v_pk_fma_f32 v[0:1], v[12:13], v[0:1], v[2:3] op_sel_hi:[0,1,1] neg_lo:[0,0,1] neg_hi:[0,0,1]
	v_pk_fma_f32 v[84:85], v[146:147], v[0:1], v[84:85]
	ds_read2_b32 v[144:145], v13 offset0:64 offset1:96
	ds_read_b128 v[0:3], v11 offset:2048
	ds_read_b128 v[4:7], v11 offset:2064
	v_mov_b32_e32 v147, 0
	v_mov_b32_e32 v210, 0
	;; [unrolled: 1-line block ×3, first 2 shown]
	s_waitcnt lgkmcnt(1)
	v_dot4c_i32_i8_e32 v212, v192, v0
	v_dot4c_i32_i8_e32 v214, v198, v0
	;; [unrolled: 1-line block ×14, first 2 shown]
	v_mov_b32_e32 v215, 0
	v_mov_b32_e32 v216, 0
	v_dot4c_i32_i8_e32 v217, v173, v3
	v_mov_b32_e32 v218, 0
	v_mov_b32_e32 v219, 0
	v_dot4c_i32_i8_e32 v220, v178, v3
	v_mov_b32_e32 v221, 0
	v_dot4c_i32_i8_e32 v147, v186, v0
	s_waitcnt lgkmcnt(0)
	v_dot4c_i32_i8_e32 v210, v179, v4
	v_dot4c_i32_i8_e32 v212, v199, v4
	;; [unrolled: 1-line block ×47, first 2 shown]
	ds_read_b128 v[4:7], v11 offset:3072
	ds_read_b128 v[0:3], v11 offset:3088
	v_mov_b32_e32 v222, 0
	v_mov_b32_e32 v146, 0
	;; [unrolled: 1-line block ×3, first 2 shown]
	s_waitcnt lgkmcnt(1)
	v_dot4c_i32_i8_e32 v222, v192, v4
	v_dot4c_i32_i8_e32 v222, v192, v5
	;; [unrolled: 1-line block ×6, first 2 shown]
	s_waitcnt lgkmcnt(0)
	v_dot4c_i32_i8_e32 v223, v179, v0
	v_dot4c_i32_i8_e32 v146, v184, v6
	;; [unrolled: 1-line block ×7, first 2 shown]
	v_mul_lo_u32 v210, v210, v206
                                        ; kill: def $vgpr211 killed $sgpr0 killed $exec
	v_dot4c_i32_i8_e32 v222, v199, v2
	v_dot4c_i32_i8_e32 v223, v182, v3
	v_mul_lo_u32 v146, v146, v207
	v_mad_u64_u32 v[210:211], s[18:19], v147, v207, v[210:211]
                                        ; kill: def $vgpr147 killed $sgpr0 killed $exec
	v_dot4c_i32_i8_e32 v222, v199, v3
	v_mad_u64_u32 v[146:147], s[18:19], v223, v206, v[146:147]
	v_cvt_f32_i32_e32 v147, v146
	v_cvt_f32_i32_e32 v146, v210
	;; [unrolled: 1-line block ×4, first 2 shown]
	v_mov_b32_e32 v212, 0
	v_dot4c_i32_i8_e32 v212, v198, v4
	v_dot4c_i32_i8_e32 v212, v198, v5
	v_pk_mul_f32 v[210:211], v[138:139], v[210:211] op_sel_hi:[0,1]
	v_pk_fma_f32 v[146:147], v[136:137], v[146:147], v[210:211] op_sel_hi:[0,1,1] neg_lo:[0,0,1] neg_hi:[0,0,1]
	v_pk_fma_f32 v[38:39], v[144:145], v[146:147], v[38:39]
	v_mov_b32_e32 v146, 0
	v_dot4c_i32_i8_e32 v146, v196, v4
	v_dot4c_i32_i8_e32 v212, v198, v6
	v_mov_b32_e32 v147, 0
	v_dot4c_i32_i8_e32 v146, v193, v5
	v_dot4c_i32_i8_e32 v212, v198, v7
	;; [unrolled: 1-line block ×11, first 2 shown]
	v_mul_lo_u32 v146, v146, v209
	v_mul_lo_u32 v210, v215, v208
                                        ; kill: def $vgpr211 killed $sgpr0 killed $exec
	v_dot4c_i32_i8_e32 v212, v201, v3
	v_mad_u64_u32 v[210:211], s[18:19], v213, v209, v[210:211]
	v_mad_u64_u32 v[146:147], s[18:19], v147, v208, v[146:147]
	v_cvt_f32_i32_e32 v147, v146
	v_cvt_f32_i32_e32 v146, v210
	;; [unrolled: 1-line block ×4, first 2 shown]
	v_mov_b32_e32 v212, 0
	v_dot4c_i32_i8_e32 v212, v173, v4
	v_dot4c_i32_i8_e32 v212, v173, v5
	v_pk_mul_f32 v[210:211], v[142:143], v[210:211] op_sel_hi:[0,1]
	v_pk_fma_f32 v[146:147], v[140:141], v[146:147], v[210:211] op_sel_hi:[0,1,1] neg_lo:[0,0,1] neg_hi:[0,0,1]
	v_pk_fma_f32 v[36:37], v[144:145], v[146:147], v[36:37]
	v_mov_b32_e32 v146, 0
	v_dot4c_i32_i8_e32 v146, v200, v4
	v_dot4c_i32_i8_e32 v212, v173, v6
	v_mov_b32_e32 v147, 0
	v_dot4c_i32_i8_e32 v146, v151, v5
	v_dot4c_i32_i8_e32 v212, v173, v7
	;; [unrolled: 1-line block ×11, first 2 shown]
	v_mul_lo_u32 v146, v146, v205
	v_mul_lo_u32 v210, v218, v204
                                        ; kill: def $vgpr211 killed $sgpr0 killed $exec
	v_dot4c_i32_i8_e32 v212, v187, v3
	v_mad_u64_u32 v[210:211], s[18:19], v216, v205, v[210:211]
	v_mad_u64_u32 v[146:147], s[18:19], v147, v204, v[146:147]
	v_cvt_f32_i32_e32 v147, v146
	v_cvt_f32_i32_e32 v146, v210
	;; [unrolled: 1-line block ×4, first 2 shown]
	v_mov_b32_e32 v212, 0
	v_mov_b32_e32 v214, 0
	;; [unrolled: 1-line block ×3, first 2 shown]
	v_pk_mul_f32 v[210:211], v[10:11], v[210:211] op_sel_hi:[0,1]
	v_pk_fma_f32 v[146:147], v[8:9], v[146:147], v[210:211] op_sel_hi:[0,1,1] neg_lo:[0,0,1] neg_hi:[0,0,1]
	v_pk_fma_f32 v[34:35], v[144:145], v[146:147], v[34:35]
	v_mov_b32_e32 v147, 0
	v_dot4c_i32_i8_e32 v147, v178, v4
	v_mov_b32_e32 v146, 0
	v_dot4c_i32_i8_e32 v147, v178, v5
	v_dot4c_i32_i8_e32 v146, v177, v4
	;; [unrolled: 1-line block ×3, first 2 shown]
	v_mov_b32_e32 v4, 0
	v_dot4c_i32_i8_e32 v146, v174, v5
	v_dot4c_i32_i8_e32 v147, v178, v7
	;; [unrolled: 1-line block ×11, first 2 shown]
	v_mul_lo_u32 v0, v146, v203
	v_mul_lo_u32 v2, v221, v202
                                        ; kill: def $vgpr1 killed $sgpr0 killed $exec
	v_dot4c_i32_i8_e32 v147, v197, v3
	v_mad_u64_u32 v[2:3], s[18:19], v219, v203, v[2:3]
	v_mad_u64_u32 v[0:1], s[18:19], v4, v202, v[0:1]
	v_cvt_f32_i32_e32 v1, v0
	v_cvt_f32_i32_e32 v0, v2
	v_cvt_f32_i32_e32 v3, v147
	v_cvt_f32_i32_e32 v2, v220
	v_mov_b32_e32 v220, 0
	v_mov_b32_e32 v147, 0
	;; [unrolled: 1-line block ×3, first 2 shown]
	v_pk_mul_f32 v[2:3], v[14:15], v[2:3] op_sel_hi:[0,1]
	v_pk_fma_f32 v[0:1], v[12:13], v[0:1], v[2:3] op_sel_hi:[0,1,1] neg_lo:[0,0,1] neg_hi:[0,0,1]
	v_pk_fma_f32 v[32:33], v[144:145], v[0:1], v[32:33]
	ds_read2_b32 v[144:145], v13 offset0:128 offset1:160
	ds_read_b128 v[0:3], v11 offset:4096
	ds_read_b128 v[4:7], v11 offset:4112
	v_mov_b32_e32 v213, 0
	v_mov_b32_e32 v215, 0
	;; [unrolled: 1-line block ×3, first 2 shown]
	s_waitcnt lgkmcnt(1)
	v_dot4c_i32_i8_e32 v212, v192, v0
	v_dot4c_i32_i8_e32 v214, v198, v0
	v_dot4c_i32_i8_e32 v217, v173, v0
	v_dot4c_i32_i8_e32 v220, v178, v0
	v_dot4c_i32_i8_e32 v212, v192, v1
	v_dot4c_i32_i8_e32 v214, v198, v1
	v_dot4c_i32_i8_e32 v217, v173, v1
	v_dot4c_i32_i8_e32 v220, v178, v1
	v_dot4c_i32_i8_e32 v212, v192, v2
	v_dot4c_i32_i8_e32 v214, v198, v2
	v_dot4c_i32_i8_e32 v217, v173, v2
	v_dot4c_i32_i8_e32 v220, v178, v2
	v_dot4c_i32_i8_e32 v212, v192, v3
	v_dot4c_i32_i8_e32 v214, v198, v3
	v_dot4c_i32_i8_e32 v217, v173, v3
	v_mov_b32_e32 v218, 0
	v_mov_b32_e32 v219, 0
	v_dot4c_i32_i8_e32 v220, v178, v3
	v_mov_b32_e32 v221, 0
	v_dot4c_i32_i8_e32 v147, v186, v0
	s_waitcnt lgkmcnt(0)
	v_dot4c_i32_i8_e32 v210, v179, v4
	v_dot4c_i32_i8_e32 v212, v199, v4
	;; [unrolled: 1-line block ×47, first 2 shown]
	ds_read_b128 v[4:7], v11 offset:5120
	ds_read_b128 v[0:3], v11 offset:5136
	v_mov_b32_e32 v222, 0
	v_mov_b32_e32 v146, 0
	;; [unrolled: 1-line block ×3, first 2 shown]
	s_waitcnt lgkmcnt(1)
	v_dot4c_i32_i8_e32 v222, v192, v4
	v_dot4c_i32_i8_e32 v222, v192, v5
	;; [unrolled: 1-line block ×6, first 2 shown]
	s_waitcnt lgkmcnt(0)
	v_dot4c_i32_i8_e32 v223, v179, v0
	v_dot4c_i32_i8_e32 v146, v184, v6
	;; [unrolled: 1-line block ×7, first 2 shown]
	v_mul_lo_u32 v210, v210, v206
                                        ; kill: def $vgpr211 killed $sgpr0 killed $exec
	v_dot4c_i32_i8_e32 v222, v199, v2
	v_dot4c_i32_i8_e32 v223, v182, v3
	v_mul_lo_u32 v146, v146, v207
	v_mad_u64_u32 v[210:211], s[18:19], v147, v207, v[210:211]
                                        ; kill: def $vgpr147 killed $sgpr0 killed $exec
	v_dot4c_i32_i8_e32 v222, v199, v3
	v_mad_u64_u32 v[146:147], s[18:19], v223, v206, v[146:147]
	v_cvt_f32_i32_e32 v147, v146
	v_cvt_f32_i32_e32 v146, v210
	v_cvt_f32_i32_e32 v211, v222
	v_cvt_f32_i32_e32 v210, v212
	v_mov_b32_e32 v212, 0
	v_dot4c_i32_i8_e32 v212, v198, v4
	v_dot4c_i32_i8_e32 v212, v198, v5
	v_pk_mul_f32 v[210:211], v[138:139], v[210:211] op_sel_hi:[0,1]
	v_pk_fma_f32 v[146:147], v[136:137], v[146:147], v[210:211] op_sel_hi:[0,1,1] neg_lo:[0,0,1] neg_hi:[0,0,1]
	v_pk_fma_f32 v[30:31], v[144:145], v[146:147], v[30:31]
	v_mov_b32_e32 v146, 0
	v_dot4c_i32_i8_e32 v146, v196, v4
	v_dot4c_i32_i8_e32 v212, v198, v6
	v_mov_b32_e32 v147, 0
	v_dot4c_i32_i8_e32 v146, v193, v5
	v_dot4c_i32_i8_e32 v212, v198, v7
	;; [unrolled: 1-line block ×11, first 2 shown]
	v_mul_lo_u32 v146, v146, v209
	v_mul_lo_u32 v210, v215, v208
                                        ; kill: def $vgpr211 killed $sgpr0 killed $exec
	v_dot4c_i32_i8_e32 v212, v201, v3
	v_mad_u64_u32 v[210:211], s[18:19], v213, v209, v[210:211]
	v_mad_u64_u32 v[146:147], s[18:19], v147, v208, v[146:147]
	v_cvt_f32_i32_e32 v147, v146
	v_cvt_f32_i32_e32 v146, v210
	;; [unrolled: 1-line block ×4, first 2 shown]
	v_mov_b32_e32 v212, 0
	v_dot4c_i32_i8_e32 v212, v173, v4
	v_dot4c_i32_i8_e32 v212, v173, v5
	v_pk_mul_f32 v[210:211], v[142:143], v[210:211] op_sel_hi:[0,1]
	v_pk_fma_f32 v[146:147], v[140:141], v[146:147], v[210:211] op_sel_hi:[0,1,1] neg_lo:[0,0,1] neg_hi:[0,0,1]
	v_pk_fma_f32 v[28:29], v[144:145], v[146:147], v[28:29]
	v_mov_b32_e32 v146, 0
	v_dot4c_i32_i8_e32 v146, v200, v4
	v_dot4c_i32_i8_e32 v212, v173, v6
	v_mov_b32_e32 v147, 0
	v_dot4c_i32_i8_e32 v146, v151, v5
	v_dot4c_i32_i8_e32 v212, v173, v7
	;; [unrolled: 1-line block ×11, first 2 shown]
	v_mul_lo_u32 v146, v146, v205
	v_mul_lo_u32 v210, v218, v204
                                        ; kill: def $vgpr211 killed $sgpr0 killed $exec
	v_dot4c_i32_i8_e32 v212, v187, v3
	v_mad_u64_u32 v[210:211], s[18:19], v216, v205, v[210:211]
	v_mad_u64_u32 v[146:147], s[18:19], v147, v204, v[146:147]
	v_cvt_f32_i32_e32 v147, v146
	v_cvt_f32_i32_e32 v146, v210
	;; [unrolled: 1-line block ×4, first 2 shown]
	v_mov_b32_e32 v214, 0
	v_mov_b32_e32 v217, 0
	;; [unrolled: 1-line block ×3, first 2 shown]
	v_pk_mul_f32 v[210:211], v[10:11], v[210:211] op_sel_hi:[0,1]
	v_pk_fma_f32 v[146:147], v[8:9], v[146:147], v[210:211] op_sel_hi:[0,1,1] neg_lo:[0,0,1] neg_hi:[0,0,1]
	v_pk_fma_f32 v[26:27], v[144:145], v[146:147], v[26:27]
	v_mov_b32_e32 v147, 0
	v_dot4c_i32_i8_e32 v147, v178, v4
	v_mov_b32_e32 v146, 0
	v_dot4c_i32_i8_e32 v147, v178, v5
	v_dot4c_i32_i8_e32 v146, v177, v4
	;; [unrolled: 1-line block ×3, first 2 shown]
	v_mov_b32_e32 v4, 0
	v_dot4c_i32_i8_e32 v146, v174, v5
	v_dot4c_i32_i8_e32 v147, v178, v7
	;; [unrolled: 1-line block ×11, first 2 shown]
	v_mul_lo_u32 v0, v146, v203
	v_mul_lo_u32 v2, v221, v202
                                        ; kill: def $vgpr1 killed $sgpr0 killed $exec
	v_dot4c_i32_i8_e32 v147, v197, v3
	v_mad_u64_u32 v[2:3], s[18:19], v219, v203, v[2:3]
	v_mad_u64_u32 v[0:1], s[18:19], v4, v202, v[0:1]
	v_cvt_f32_i32_e32 v1, v0
	v_cvt_f32_i32_e32 v0, v2
	;; [unrolled: 1-line block ×4, first 2 shown]
	v_mov_b32_e32 v210, 0
	v_mov_b32_e32 v146, 0
	;; [unrolled: 1-line block ×3, first 2 shown]
	v_pk_mul_f32 v[2:3], v[14:15], v[2:3] op_sel_hi:[0,1]
	v_pk_fma_f32 v[0:1], v[12:13], v[0:1], v[2:3] op_sel_hi:[0,1,1] neg_lo:[0,0,1] neg_hi:[0,0,1]
	v_pk_fma_f32 v[24:25], v[144:145], v[0:1], v[24:25]
	ds_read2_b32 v[144:145], v13 offset0:192 offset1:224
	ds_read_b128 v[0:3], v11 offset:6144
	ds_read_b128 v[4:7], v11 offset:6160
	v_mov_b32_e32 v216, 0
	v_mov_b32_e32 v218, 0
	;; [unrolled: 1-line block ×3, first 2 shown]
	s_waitcnt lgkmcnt(1)
	v_dot4c_i32_i8_e32 v214, v192, v0
	v_dot4c_i32_i8_e32 v217, v198, v0
	;; [unrolled: 1-line block ×15, first 2 shown]
	v_mov_b32_e32 v219, 0
	v_mov_b32_e32 v147, 0
	v_dot4c_i32_i8_e32 v146, v178, v3
	v_mov_b32_e32 v211, 0
	v_dot4c_i32_i8_e32 v213, v186, v0
	s_waitcnt lgkmcnt(0)
	v_dot4c_i32_i8_e32 v215, v179, v4
	v_dot4c_i32_i8_e32 v214, v199, v4
	;; [unrolled: 1-line block ×47, first 2 shown]
	ds_read_b128 v[4:7], v11 offset:7168
	ds_read_b128 v[0:3], v11 offset:7184
	v_mov_b32_e32 v220, 0
	s_add_i32 s9, s9, 2
	s_cmp_lt_u32 s11, 22
	s_waitcnt lgkmcnt(1)
	v_dot4c_i32_i8_e32 v220, v186, v4
	v_mov_b32_e32 v186, 0
	v_dot4c_i32_i8_e32 v186, v192, v4
	v_dot4c_i32_i8_e32 v220, v183, v5
	;; [unrolled: 1-line block ×5, first 2 shown]
	v_mov_b32_e32 v184, 0
	v_dot4c_i32_i8_e32 v186, v192, v7
	s_waitcnt lgkmcnt(0)
	v_dot4c_i32_i8_e32 v184, v179, v0
	v_dot4c_i32_i8_e32 v186, v199, v0
	;; [unrolled: 1-line block ×8, first 2 shown]
	v_mul_lo_u32 v180, v220, v207
	v_mul_lo_u32 v182, v215, v206
	v_dot4c_i32_i8_e32 v186, v199, v3
	v_mad_u64_u32 v[182:183], s[18:19], v213, v207, v[182:183]
	v_mad_u64_u32 v[180:181], s[18:19], v184, v206, v[180:181]
	v_cvt_f32_i32_e32 v181, v180
	v_cvt_f32_i32_e32 v180, v182
	;; [unrolled: 1-line block ×4, first 2 shown]
	v_mov_b32_e32 v179, 0
	v_dot4c_i32_i8_e32 v179, v198, v4
	v_dot4c_i32_i8_e32 v179, v198, v5
	v_pk_mul_f32 v[182:183], v[138:139], v[182:183] op_sel_hi:[0,1]
	v_pk_fma_f32 v[180:181], v[136:137], v[180:181], v[182:183] op_sel_hi:[0,1,1] neg_lo:[0,0,1] neg_hi:[0,0,1]
	v_mov_b32_e32 v136, 0
	v_dot4c_i32_i8_e32 v136, v196, v4
	v_dot4c_i32_i8_e32 v179, v198, v6
	v_mov_b32_e32 v182, 0
	v_dot4c_i32_i8_e32 v136, v193, v5
	v_dot4c_i32_i8_e32 v179, v198, v7
	;; [unrolled: 1-line block ×11, first 2 shown]
	v_mul_lo_u32 v136, v136, v209
	v_mul_lo_u32 v138, v218, v208
	v_pk_fma_f32 v[22:23], v[144:145], v[180:181], v[22:23]
	v_dot4c_i32_i8_e32 v179, v201, v3
	v_mad_u64_u32 v[180:181], s[18:19], v216, v209, v[138:139]
	v_mad_u64_u32 v[182:183], s[18:19], v182, v208, v[136:137]
	v_cvt_f32_i32_e32 v181, v182
	v_cvt_f32_i32_e32 v183, v179
	;; [unrolled: 1-line block ×4, first 2 shown]
	v_mov_b32_e32 v136, 0
	v_dot4c_i32_i8_e32 v136, v200, v4
	v_pk_mul_f32 v[182:183], v[142:143], v[182:183] op_sel_hi:[0,1]
	v_pk_fma_f32 v[180:181], v[140:141], v[180:181], v[182:183] op_sel_hi:[0,1,1] neg_lo:[0,0,1] neg_hi:[0,0,1]
	v_mov_b32_e32 v140, 0
	v_dot4c_i32_i8_e32 v140, v173, v4
	v_dot4c_i32_i8_e32 v140, v173, v5
	;; [unrolled: 1-line block ×3, first 2 shown]
	v_mov_b32_e32 v142, 0
	v_dot4c_i32_i8_e32 v136, v151, v5
	v_dot4c_i32_i8_e32 v140, v173, v7
	;; [unrolled: 1-line block ×11, first 2 shown]
	v_mul_lo_u32 v136, v136, v205
	v_mul_lo_u32 v138, v219, v204
	v_dot4c_i32_i8_e32 v140, v187, v3
	v_mad_u64_u32 v[148:149], s[18:19], v212, v205, v[138:139]
	v_mad_u64_u32 v[150:151], s[18:19], v142, v204, v[136:137]
	v_cvt_f32_i32_e32 v149, v150
	v_cvt_f32_i32_e32 v151, v140
	;; [unrolled: 1-line block ×4, first 2 shown]
                                        ; kill: def $vgpr15 killed $sgpr0 killed $exec
	v_pk_fma_f32 v[20:21], v[144:145], v[180:181], v[20:21]
	s_mov_b32 s17, s11
	v_pk_mul_f32 v[150:151], v[10:11], v[150:151] op_sel_hi:[0,1]
	v_mov_b32_e32 v10, 0
	v_dot4c_i32_i8_e32 v10, v178, v4
	v_pk_fma_f32 v[148:149], v[8:9], v[148:149], v[150:151] op_sel_hi:[0,1,1] neg_lo:[0,0,1] neg_hi:[0,0,1]
	v_mov_b32_e32 v8, 0
	v_dot4c_i32_i8_e32 v10, v178, v5
	v_dot4c_i32_i8_e32 v8, v177, v4
	;; [unrolled: 1-line block ×3, first 2 shown]
	v_mov_b32_e32 v4, 0
	v_dot4c_i32_i8_e32 v8, v174, v5
	v_dot4c_i32_i8_e32 v10, v178, v7
	;; [unrolled: 1-line block ×11, first 2 shown]
	v_mul_lo_u32 v0, v8, v203
	v_mul_lo_u32 v2, v211, v202
                                        ; kill: def $vgpr1 killed $sgpr0 killed $exec
	v_dot4c_i32_i8_e32 v10, v197, v3
	v_mad_u64_u32 v[2:3], s[18:19], v147, v203, v[2:3]
	v_mad_u64_u32 v[0:1], s[18:19], v4, v202, v[0:1]
	v_cvt_f32_i32_e32 v1, v0
	v_cvt_f32_i32_e32 v0, v2
	;; [unrolled: 1-line block ×4, first 2 shown]
	v_pk_fma_f32 v[18:19], v[144:145], v[148:149], v[18:19]
	v_add_u32_e32 v11, 32, v11
	v_pk_mul_f32 v[2:3], v[14:15], v[2:3] op_sel_hi:[0,1]
	v_pk_fma_f32 v[0:1], v[12:13], v[0:1], v[2:3] op_sel_hi:[0,1,1] neg_lo:[0,0,1] neg_hi:[0,0,1]
	v_pk_fma_f32 v[16:17], v[144:145], v[0:1], v[16:17]
	v_add_u32_e32 v13, 4, v13
	s_cbranch_scc1 .LBB168_12
; %bb.13:                               ;   in Loop: Header=BB168_6 Depth=1
	v_add_u32_e32 v8, s8, v113
	v_add_u32_e32 v0, v8, v55
	;; [unrolled: 1-line block ×9, first 2 shown]
	v_mad_i64_i32 v[144:145], s[8:9], v8, 36, v[132:133]
	v_add_u32_e32 v8, 12, v9
	v_mad_i64_i32 v[0:1], s[8:9], v0, 36, v[132:133]
	v_mad_i64_i32 v[2:3], s[8:9], v2, 36, v[132:133]
	;; [unrolled: 1-line block ×4, first 2 shown]
	v_mad_u64_u32 v[8:9], s[8:9], v8, 36, s[2:3]
	s_barrier
	v_mad_i64_i32 v[10:11], s[8:9], v10, 36, v[132:133]
	v_mad_i64_i32 v[12:13], s[8:9], v12, 36, v[132:133]
	;; [unrolled: 1-line block ×3, first 2 shown]
	global_load_dword v8, v[8:9], off
	s_nop 0
	global_load_dword v0, v[0:1], off offset:4
	s_nop 0
	global_load_dword v1, v[2:3], off offset:4
	;; [unrolled: 2-line block ×3, first 2 shown]
	global_load_dword v3, v[6:7], off offset:4
	s_nop 0
	global_load_dword v4, v[10:11], off offset:4
	global_load_dword v5, v[12:13], off offset:4
	;; [unrolled: 1-line block ×4, first 2 shown]
	s_mov_b32 s8, 24
	s_mov_b32 s11, 22
	v_mov_b32_e32 v145, v159
	v_mov_b32_e32 v147, v158
	s_waitcnt vmcnt(8)
	v_cvt_f32_f16_e32 v8, v8
	s_waitcnt vmcnt(7)
	ds_write_b32 v59, v0
	s_waitcnt vmcnt(6)
	ds_write_b32 v63, v1
	;; [unrolled: 2-line block ×8, first 2 shown]
	ds_write_b32 v53, v8
	s_waitcnt lgkmcnt(0)
	s_barrier
.LBB168_14:                             ;   Parent Loop BB168_6 Depth=1
                                        ; =>  This Inner Loop Header: Depth=2
	s_add_i32 s9, s11, 2
	s_and_b32 s18, s9, 0x3ffffff8
	s_lshl_b32 s18, s18, 2
	v_add_u32_e32 v10, s18, v91
	ds_read2_b32 v[152:153], v147 offset1:32
	ds_read_b128 v[4:7], v145
	ds_read_b128 v[0:3], v145 offset:16
	ds_read2_b32 v[8:9], v10 offset1:1
	s_sub_i32 s17, s11, 22
	s_and_b32 s19, s8, -16
	s_add_i32 s11, s11, s19
	s_lshr_b32 s19, s9, 2
	s_waitcnt lgkmcnt(0)
	v_ashrrev_i32_e32 v8, s17, v8
	v_and_b32_e32 v196, 0x3030303, v8
	v_ashrrev_i32_e32 v8, s17, v9
	v_and_b32_e32 v190, 0x3030303, v8
	ds_read2_b32 v[8:9], v10 offset0:2 offset1:3
	s_and_b32 s19, s19, 0x3ffffffc
	v_add_u32_e32 v154, s11, v163
	v_add_u32_e32 v204, s11, v162
	v_mov_b32_e32 v210, 0
	s_waitcnt lgkmcnt(0)
	v_ashrrev_i32_e32 v8, s17, v8
	v_and_b32_e32 v193, 0x3030303, v8
	v_ashrrev_i32_e32 v8, s17, v9
	v_and_b32_e32 v194, 0x3030303, v8
	ds_read2_b32 v[8:9], v10 offset0:4 offset1:5
	v_mov_b32_e32 v211, 0
	v_mov_b32_e32 v213, 0
	;; [unrolled: 1-line block ×4, first 2 shown]
	s_waitcnt lgkmcnt(0)
	v_ashrrev_i32_e32 v8, s17, v8
	v_and_b32_e32 v183, 0x3030303, v8
	v_ashrrev_i32_e32 v8, s17, v9
	v_and_b32_e32 v184, 0x3030303, v8
	ds_read2_b32 v[8:9], v10 offset0:6 offset1:7
	v_add_u32_e32 v10, s18, v95
	v_dot4c_i32_i8_e32 v210, v183, v0
	v_dot4c_i32_i8_e32 v155, v196, v4
	;; [unrolled: 1-line block ×3, first 2 shown]
	s_waitcnt lgkmcnt(0)
	v_ashrrev_i32_e32 v8, s17, v8
	v_and_b32_e32 v187, 0x3030303, v8
	v_ashrrev_i32_e32 v8, s17, v9
	v_and_b32_e32 v188, 0x3030303, v8
	v_add_u32_e32 v8, s19, v93
	ds_read_b32 v8, v8
	v_mov_b32_e32 v212, 0
	v_dot4c_i32_i8_e32 v155, v190, v5
	v_dot4c_i32_i8_e32 v210, v187, v2
	;; [unrolled: 1-line block ×3, first 2 shown]
	s_waitcnt lgkmcnt(0)
	v_cvt_f32_f16_e32 v144, v8
	v_cvt_f32_f16_sdwa v146, v8 dst_sel:DWORD dst_unused:UNUSED_PAD src0_sel:WORD_1
	ds_read2_b32 v[8:9], v10 offset1:1
	v_dot4c_i32_i8_e32 v210, v188, v3
	v_dot4c_i32_i8_e32 v155, v194, v7
	v_mov_b32_e32 v220, 0
	v_mov_b32_e32 v221, 0
	s_waitcnt lgkmcnt(0)
	v_ashrrev_i32_e32 v8, s17, v8
	v_and_b32_e32 v195, 0x3030303, v8
	v_ashrrev_i32_e32 v8, s17, v9
	v_and_b32_e32 v189, 0x3030303, v8
	ds_read2_b32 v[8:9], v10 offset0:2 offset1:3
	v_mov_b32_e32 v214, 0
	v_mov_b32_e32 v203, 0
	v_dot4c_i32_i8_e32 v203, v195, v4
	v_dot4c_i32_i8_e32 v203, v189, v5
	s_waitcnt lgkmcnt(0)
	v_ashrrev_i32_e32 v8, s17, v8
	v_and_b32_e32 v191, 0x3030303, v8
	v_ashrrev_i32_e32 v8, s17, v9
	v_and_b32_e32 v192, 0x3030303, v8
	ds_read2_b32 v[8:9], v10 offset0:4 offset1:5
	v_dot4c_i32_i8_e32 v203, v191, v6
	v_dot4c_i32_i8_e32 v203, v192, v7
	v_add_u32_e32 v202, s11, v161
	v_mov_b32_e32 v217, 0
	s_waitcnt lgkmcnt(0)
	v_ashrrev_i32_e32 v8, s17, v8
	v_and_b32_e32 v181, 0x3030303, v8
	v_ashrrev_i32_e32 v8, s17, v9
	v_and_b32_e32 v182, 0x3030303, v8
	ds_read2_b32 v[8:9], v10 offset0:6 offset1:7
	v_add_u32_e32 v10, s18, v99
	v_dot4c_i32_i8_e32 v214, v181, v0
	v_dot4c_i32_i8_e32 v214, v182, v1
	v_mov_b32_e32 v209, 0
	s_waitcnt lgkmcnt(0)
	v_ashrrev_i32_e32 v8, s17, v8
	v_and_b32_e32 v185, 0x3030303, v8
	v_ashrrev_i32_e32 v8, s17, v9
	v_and_b32_e32 v186, 0x3030303, v8
	v_add_u32_e32 v8, s19, v97
	ds_read_b32 v8, v8
	v_dot4c_i32_i8_e32 v214, v185, v2
	v_dot4c_i32_i8_e32 v214, v186, v3
	v_add_u32_e32 v201, s11, v160
	v_mov_b32_e32 v215, 0
	s_waitcnt lgkmcnt(0)
	v_cvt_f32_f16_e32 v148, v8
	v_cvt_f32_f16_sdwa v150, v8 dst_sel:DWORD dst_unused:UNUSED_PAD src0_sel:WORD_1
	ds_read2_b32 v[8:9], v10 offset1:1
	v_mov_b32_e32 v216, 0
	v_mov_b32_e32 v222, 0
	s_add_i32 s8, s8, 2
	s_cmp_lt_u32 s9, 30
	s_waitcnt lgkmcnt(0)
	v_ashrrev_i32_e32 v8, s17, v8
	v_and_b32_e32 v200, 0x3030303, v8
	v_ashrrev_i32_e32 v8, s17, v9
	v_and_b32_e32 v197, 0x3030303, v8
	ds_read2_b32 v[8:9], v10 offset0:2 offset1:3
	v_dot4c_i32_i8_e32 v209, v200, v4
	v_dot4c_i32_i8_e32 v209, v197, v5
	s_mov_b32 s11, s9
	s_waitcnt lgkmcnt(0)
	v_ashrrev_i32_e32 v8, s17, v8
	v_and_b32_e32 v198, 0x3030303, v8
	v_ashrrev_i32_e32 v8, s17, v9
	v_and_b32_e32 v199, 0x3030303, v8
	ds_read2_b32 v[8:9], v10 offset0:4 offset1:5
	v_dot4c_i32_i8_e32 v209, v198, v6
	v_dot4c_i32_i8_e32 v209, v199, v7
	s_waitcnt lgkmcnt(0)
	v_ashrrev_i32_e32 v8, s17, v8
	v_and_b32_e32 v173, 0x3030303, v8
	v_ashrrev_i32_e32 v8, s17, v9
	v_and_b32_e32 v174, 0x3030303, v8
	ds_read2_b32 v[8:9], v10 offset0:6 offset1:7
	v_add_u32_e32 v10, s18, v103
	v_dot4c_i32_i8_e32 v217, v173, v0
	v_dot4c_i32_i8_e32 v217, v174, v1
	s_waitcnt lgkmcnt(0)
	v_ashrrev_i32_e32 v8, s17, v8
	v_and_b32_e32 v175, 0x3030303, v8
	v_ashrrev_i32_e32 v8, s17, v9
	v_and_b32_e32 v176, 0x3030303, v8
	v_add_u32_e32 v8, s19, v101
	ds_read_b32 v8, v8
	v_dot4c_i32_i8_e32 v217, v175, v2
	v_dot4c_i32_i8_e32 v217, v176, v3
	s_waitcnt lgkmcnt(0)
	v_cvt_f32_f16_e32 v140, v8
	v_cvt_f32_f16_sdwa v142, v8 dst_sel:DWORD dst_unused:UNUSED_PAD src0_sel:WORD_1
	ds_read2_b32 v[8:9], v10 offset1:1
	s_waitcnt lgkmcnt(0)
	v_ashrrev_i32_e32 v8, s17, v8
	v_and_b32_e32 v180, 0x3030303, v8
	v_ashrrev_i32_e32 v8, s17, v9
	v_and_b32_e32 v177, 0x3030303, v8
	ds_read2_b32 v[8:9], v10 offset0:2 offset1:3
	v_dot4c_i32_i8_e32 v215, v180, v4
	v_dot4c_i32_i8_e32 v215, v177, v5
	s_waitcnt lgkmcnt(0)
	v_ashrrev_i32_e32 v8, s17, v8
	v_and_b32_e32 v178, 0x3030303, v8
	v_ashrrev_i32_e32 v8, s17, v9
	v_and_b32_e32 v179, 0x3030303, v8
	ds_read2_b32 v[8:9], v10 offset0:4 offset1:5
	v_dot4c_i32_i8_e32 v215, v178, v6
	v_dot4c_i32_i8_e32 v215, v179, v7
	;; [unrolled: 8-line block ×3, first 2 shown]
	s_waitcnt lgkmcnt(0)
	v_ashrrev_i32_e32 v8, s17, v8
	v_and_b32_e32 v171, 0x3030303, v8
	v_ashrrev_i32_e32 v8, s17, v9
	v_and_b32_e32 v172, 0x3030303, v8
	v_add_u32_e32 v8, s19, v107
	ds_read_b32 v8, v8
	v_dot4c_i32_i8_e32 v216, v171, v2
	v_dot4c_i32_i8_e32 v216, v172, v3
	s_waitcnt lgkmcnt(0)
	v_cvt_f32_f16_e32 v136, v8
	v_cvt_f32_f16_sdwa v138, v8 dst_sel:DWORD dst_unused:UNUSED_PAD src0_sel:WORD_1
	ds_read_b128 v[12:15], v145 offset:1024
	ds_read_b128 v[8:11], v145 offset:1040
	ds_read_u16 v154, v154 offset:25074
	ds_read_u16 v204, v204 offset:26098
	s_waitcnt lgkmcnt(3)
	v_dot4c_i32_i8_e32 v211, v196, v12
	v_dot4c_i32_i8_e32 v211, v190, v13
	s_waitcnt lgkmcnt(1)
	v_bfe_u32 v205, v154, 4, 4
	v_mul_lo_u32 v208, v205, s1
	v_dot4c_i32_i8_e32 v213, v208, v4
	v_dot4c_i32_i8_e32 v218, v208, v12
	;; [unrolled: 1-line block ×7, first 2 shown]
	v_lshrrev_b32_sdwa v205, v169, v154 dst_sel:DWORD dst_unused:UNUSED_PAD src0_sel:DWORD src1_sel:BYTE_1
	v_dot4c_i32_i8_e32 v218, v208, v14
	v_dot4c_i32_i8_e32 v211, v194, v15
	;; [unrolled: 1-line block ×4, first 2 shown]
	v_mul_lo_u32 v207, v205, s1
	v_and_b32_sdwa v205, v154, v170 dst_sel:DWORD dst_unused:UNUSED_PAD src0_sel:BYTE_1 src1_sel:DWORD
	v_and_b32_e32 v206, 15, v154
	v_dot4c_i32_i8_e32 v218, v208, v15
	v_dot4c_i32_i8_e32 v212, v187, v10
	;; [unrolled: 1-line block ×3, first 2 shown]
	v_mul_lo_u32 v154, v206, v211
	v_mul_lo_u32 v210, v205, v210
	v_dot4c_i32_i8_e32 v218, v207, v8
                                        ; kill: def $vgpr211 killed $sgpr0 killed $exec
	v_dot4c_i32_i8_e32 v212, v188, v11
	v_dot4c_i32_i8_e32 v213, v207, v1
	;; [unrolled: 1-line block ×3, first 2 shown]
	v_mad_u64_u32 v[210:211], s[18:19], v206, v155, v[210:211]
                                        ; kill: def $vgpr155 killed $sgpr0 killed $exec
	v_dot4c_i32_i8_e32 v213, v207, v2
	v_dot4c_i32_i8_e32 v218, v207, v10
	v_mad_u64_u32 v[154:155], s[18:19], v205, v212, v[154:155]
	v_dot4c_i32_i8_e32 v213, v207, v3
	v_dot4c_i32_i8_e32 v218, v207, v11
	v_cvt_f32_i32_e32 v155, v154
	v_cvt_f32_i32_e32 v154, v210
	;; [unrolled: 1-line block ×4, first 2 shown]
	v_pk_mul_f32 v[154:155], v[144:145], v[154:155] op_sel_hi:[0,1]
	v_pk_fma_f32 v[210:211], v[146:147], v[210:211], v[154:155] op_sel:[0,0,1] op_sel_hi:[0,1,0] neg_lo:[1,0,0] neg_hi:[1,0,0]
	v_mov_b32_e32 v154, v153
	v_mov_b32_e32 v155, v152
	v_pk_fma_f32 v[118:119], v[154:155], v[210:211], v[118:119]
	s_waitcnt lgkmcnt(0)
	v_bfe_u32 v210, v204, 4, 4
	v_mul_lo_u32 v213, v210, s1
	v_mov_b32_e32 v152, 0
	v_dot4c_i32_i8_e32 v220, v213, v4
	v_dot4c_i32_i8_e32 v221, v213, v12
	;; [unrolled: 1-line block ×3, first 2 shown]
	v_mov_b32_e32 v153, 0
	v_dot4c_i32_i8_e32 v220, v213, v5
	v_dot4c_i32_i8_e32 v221, v213, v13
	;; [unrolled: 1-line block ×5, first 2 shown]
	v_lshrrev_b32_sdwa v210, v169, v204 dst_sel:DWORD dst_unused:UNUSED_PAD src0_sel:DWORD src1_sel:BYTE_1
	v_dot4c_i32_i8_e32 v221, v213, v14
	v_dot4c_i32_i8_e32 v152, v191, v14
	v_dot4c_i32_i8_e32 v153, v182, v9
	v_dot4c_i32_i8_e32 v220, v213, v7
	v_mul_lo_u32 v212, v210, s1
	v_dot4c_i32_i8_e32 v221, v213, v15
	v_dot4c_i32_i8_e32 v152, v192, v15
	;; [unrolled: 1-line block ×4, first 2 shown]
	v_and_b32_sdwa v210, v204, v170 dst_sel:DWORD dst_unused:UNUSED_PAD src0_sel:BYTE_1 src1_sel:DWORD
	v_and_b32_e32 v211, 15, v204
	v_dot4c_i32_i8_e32 v221, v212, v8
	v_dot4c_i32_i8_e32 v153, v186, v11
	;; [unrolled: 1-line block ×3, first 2 shown]
	v_mul_lo_u32 v152, v211, v152
	v_mul_lo_u32 v204, v210, v214
	v_dot4c_i32_i8_e32 v221, v212, v9
	v_dot4c_i32_i8_e32 v220, v212, v2
	;; [unrolled: 1-line block ×3, first 2 shown]
	v_mad_u64_u32 v[218:219], s[18:19], v211, v203, v[204:205]
	v_mad_u64_u32 v[152:153], s[18:19], v210, v153, v[152:153]
	ds_read_u16 v203, v202 offset:27122
	v_dot4c_i32_i8_e32 v220, v212, v3
	v_dot4c_i32_i8_e32 v221, v212, v11
	v_cvt_f32_i32_e32 v153, v152
	v_cvt_f32_i32_e32 v152, v218
	;; [unrolled: 1-line block ×4, first 2 shown]
	s_waitcnt lgkmcnt(0)
	v_bfe_u32 v202, v203, 4, 4
	v_pk_mul_f32 v[152:153], v[148:149], v[152:153] op_sel_hi:[0,1]
	v_mul_lo_u32 v214, v202, s1
	v_pk_fma_f32 v[152:153], v[150:151], v[218:219], v[152:153] op_sel:[0,0,1] op_sel_hi:[0,1,0] neg_lo:[1,0,0] neg_hi:[1,0,0]
	v_mov_b32_e32 v220, 0
	v_mov_b32_e32 v221, 0
	v_pk_fma_f32 v[116:117], v[154:155], v[152:153], v[116:117]
	v_mov_b32_e32 v152, 0
	v_dot4c_i32_i8_e32 v220, v214, v4
	v_dot4c_i32_i8_e32 v221, v214, v12
	;; [unrolled: 1-line block ×3, first 2 shown]
	v_mov_b32_e32 v153, 0
	v_dot4c_i32_i8_e32 v220, v214, v5
	v_dot4c_i32_i8_e32 v221, v214, v13
	;; [unrolled: 1-line block ×5, first 2 shown]
	v_lshrrev_b32_sdwa v202, v169, v203 dst_sel:DWORD dst_unused:UNUSED_PAD src0_sel:DWORD src1_sel:BYTE_1
	v_dot4c_i32_i8_e32 v221, v214, v14
	v_dot4c_i32_i8_e32 v152, v198, v14
	;; [unrolled: 1-line block ×4, first 2 shown]
	v_mul_lo_u32 v204, v202, s1
	v_dot4c_i32_i8_e32 v221, v214, v15
	v_dot4c_i32_i8_e32 v152, v199, v15
	;; [unrolled: 1-line block ×4, first 2 shown]
	v_and_b32_sdwa v202, v203, v170 dst_sel:DWORD dst_unused:UNUSED_PAD src0_sel:BYTE_1 src1_sel:DWORD
	v_and_b32_e32 v203, 15, v203
	v_dot4c_i32_i8_e32 v221, v204, v8
	v_dot4c_i32_i8_e32 v153, v176, v11
	;; [unrolled: 1-line block ×3, first 2 shown]
	v_mul_lo_u32 v152, v203, v152
	v_mul_lo_u32 v218, v202, v217
	v_dot4c_i32_i8_e32 v221, v204, v9
	v_dot4c_i32_i8_e32 v220, v204, v2
	;; [unrolled: 1-line block ×3, first 2 shown]
	v_mad_u64_u32 v[218:219], s[18:19], v203, v209, v[218:219]
	v_mad_u64_u32 v[152:153], s[18:19], v202, v153, v[152:153]
	v_dot4c_i32_i8_e32 v220, v204, v3
	v_dot4c_i32_i8_e32 v221, v204, v11
	v_cvt_f32_i32_e32 v153, v152
	v_cvt_f32_i32_e32 v152, v218
	;; [unrolled: 1-line block ×4, first 2 shown]
	v_mov_b32_e32 v217, 0
	v_pk_mul_f32 v[152:153], v[140:141], v[152:153] op_sel_hi:[0,1]
	v_dot4c_i32_i8_e32 v217, v180, v12
	v_pk_fma_f32 v[152:153], v[142:143], v[218:219], v[152:153] op_sel:[0,0,1] op_sel_hi:[0,1,0] neg_lo:[1,0,0] neg_hi:[1,0,0]
	v_pk_fma_f32 v[104:105], v[154:155], v[152:153], v[104:105]
	ds_read_u16 v153, v201 offset:28146
	v_mov_b32_e32 v219, 0
	v_mov_b32_e32 v218, 0
	v_dot4c_i32_i8_e32 v217, v177, v13
	v_dot4c_i32_i8_e32 v218, v149, v8
	s_waitcnt lgkmcnt(0)
	v_bfe_u32 v152, v153, 4, 4
	v_mul_lo_u32 v209, v152, s1
	v_dot4c_i32_i8_e32 v219, v209, v4
	v_lshrrev_b32_sdwa v4, v169, v153 dst_sel:DWORD dst_unused:UNUSED_PAD src0_sel:DWORD src1_sel:BYTE_1
	v_mul_lo_u32 v201, v4, s1
	v_mov_b32_e32 v4, 0
	v_dot4c_i32_i8_e32 v219, v209, v5
	v_dot4c_i32_i8_e32 v4, v209, v12
	;; [unrolled: 1-line block ×13, first 2 shown]
	v_and_b32_sdwa v152, v153, v170 dst_sel:DWORD dst_unused:UNUSED_PAD src0_sel:BYTE_1 src1_sel:DWORD
	v_and_b32_e32 v153, 15, v153
	v_dot4c_i32_i8_e32 v4, v201, v8
	v_dot4c_i32_i8_e32 v218, v172, v11
	;; [unrolled: 1-line block ×3, first 2 shown]
	v_mul_lo_u32 v0, v153, v217
	v_mul_lo_u32 v2, v152, v216
	v_dot4c_i32_i8_e32 v4, v201, v9
                                        ; kill: def $vgpr1 killed $sgpr0 killed $exec
	v_dot4c_i32_i8_e32 v219, v201, v3
	v_dot4c_i32_i8_e32 v4, v201, v10
	v_mad_u64_u32 v[2:3], s[18:19], v153, v215, v[2:3]
	v_mad_u64_u32 v[0:1], s[18:19], v152, v218, v[0:1]
	v_dot4c_i32_i8_e32 v4, v201, v11
	v_cvt_f32_i32_e32 v1, v0
	v_cvt_f32_i32_e32 v0, v2
	;; [unrolled: 1-line block ×4, first 2 shown]
	v_mov_b32_e32 v14, 0
	v_pk_mul_f32 v[0:1], v[136:137], v[0:1] op_sel_hi:[0,1]
	v_mov_b32_e32 v216, 0
	v_pk_fma_f32 v[0:1], v[138:139], v[2:3], v[0:1] op_sel:[0,0,1] op_sel_hi:[0,1,0] neg_lo:[1,0,0] neg_hi:[1,0,0]
	v_pk_fma_f32 v[84:85], v[154:155], v[0:1], v[84:85]
	ds_read2_b32 v[8:9], v147 offset0:64 offset1:96
	ds_read_b128 v[0:3], v145 offset:2048
	ds_read_b128 v[4:7], v145 offset:2064
	v_mov_b32_e32 v154, 0
	v_mov_b32_e32 v219, 0
	;; [unrolled: 1-line block ×3, first 2 shown]
	s_waitcnt lgkmcnt(1)
	v_dot4c_i32_i8_e32 v14, v208, v0
	v_dot4c_i32_i8_e32 v154, v213, v0
	;; [unrolled: 1-line block ×13, first 2 shown]
	v_mov_b32_e32 v12, 0
	v_mov_b32_e32 v15, 0
	v_dot4c_i32_i8_e32 v154, v213, v3
	v_mov_b32_e32 v155, 0
	v_mov_b32_e32 v215, 0
	v_dot4c_i32_i8_e32 v216, v214, v3
	;; [unrolled: 3-line block ×3, first 2 shown]
	v_mov_b32_e32 v220, 0
	v_dot4c_i32_i8_e32 v11, v196, v0
	s_waitcnt lgkmcnt(0)
	v_dot4c_i32_i8_e32 v12, v183, v4
	v_dot4c_i32_i8_e32 v14, v207, v4
	;; [unrolled: 1-line block ×47, first 2 shown]
	ds_read_b128 v[4:7], v145 offset:3072
	ds_read_b128 v[0:3], v145 offset:3088
	v_mov_b32_e32 v221, 0
	v_mov_b32_e32 v10, 0
	v_mul_lo_u32 v12, v12, v205
	s_waitcnt lgkmcnt(1)
	v_dot4c_i32_i8_e32 v221, v208, v4
	v_dot4c_i32_i8_e32 v221, v208, v5
	;; [unrolled: 1-line block ×6, first 2 shown]
	s_waitcnt lgkmcnt(0)
	v_dot4c_i32_i8_e32 v222, v183, v0
	v_dot4c_i32_i8_e32 v10, v193, v6
	v_dot4c_i32_i8_e32 v221, v207, v0
	v_dot4c_i32_i8_e32 v222, v184, v1
	v_dot4c_i32_i8_e32 v10, v194, v7
	v_dot4c_i32_i8_e32 v221, v207, v1
	v_dot4c_i32_i8_e32 v222, v187, v2
                                        ; kill: def $vgpr13 killed $sgpr0 killed $exec
	v_dot4c_i32_i8_e32 v221, v207, v2
	v_dot4c_i32_i8_e32 v222, v188, v3
	v_mul_lo_u32 v10, v10, v206
	v_mad_u64_u32 v[12:13], s[18:19], v11, v206, v[12:13]
                                        ; kill: def $vgpr11 killed $sgpr0 killed $exec
	v_dot4c_i32_i8_e32 v221, v207, v3
	v_mad_u64_u32 v[10:11], s[18:19], v222, v205, v[10:11]
	v_cvt_f32_i32_e32 v11, v10
	v_cvt_f32_i32_e32 v10, v12
	;; [unrolled: 1-line block ×4, first 2 shown]
	v_mov_b32_e32 v14, 0
	v_dot4c_i32_i8_e32 v14, v213, v4
	v_dot4c_i32_i8_e32 v14, v213, v5
	v_pk_mul_f32 v[12:13], v[146:147], v[12:13] op_sel_hi:[0,1]
	v_pk_fma_f32 v[10:11], v[144:145], v[10:11], v[12:13] op_sel_hi:[0,1,1] neg_lo:[0,0,1] neg_hi:[0,0,1]
	v_pk_fma_f32 v[38:39], v[8:9], v[10:11], v[38:39]
	v_mov_b32_e32 v10, 0
	v_dot4c_i32_i8_e32 v10, v195, v4
	v_dot4c_i32_i8_e32 v14, v213, v6
	v_mov_b32_e32 v11, 0
	v_dot4c_i32_i8_e32 v10, v189, v5
	v_dot4c_i32_i8_e32 v14, v213, v7
	;; [unrolled: 1-line block ×11, first 2 shown]
	v_mul_lo_u32 v10, v10, v211
	v_mul_lo_u32 v12, v155, v210
                                        ; kill: def $vgpr13 killed $sgpr0 killed $exec
	v_dot4c_i32_i8_e32 v14, v212, v3
	v_mad_u64_u32 v[12:13], s[18:19], v15, v211, v[12:13]
	v_mad_u64_u32 v[10:11], s[18:19], v11, v210, v[10:11]
	v_cvt_f32_i32_e32 v11, v10
	v_cvt_f32_i32_e32 v10, v12
	v_cvt_f32_i32_e32 v13, v14
	v_cvt_f32_i32_e32 v12, v154
	v_mov_b32_e32 v14, 0
	v_dot4c_i32_i8_e32 v14, v214, v4
	v_dot4c_i32_i8_e32 v14, v214, v5
	v_pk_mul_f32 v[12:13], v[150:151], v[12:13] op_sel_hi:[0,1]
	v_pk_fma_f32 v[10:11], v[148:149], v[10:11], v[12:13] op_sel_hi:[0,1,1] neg_lo:[0,0,1] neg_hi:[0,0,1]
	v_pk_fma_f32 v[36:37], v[8:9], v[10:11], v[36:37]
	v_mov_b32_e32 v10, 0
	v_dot4c_i32_i8_e32 v10, v200, v4
	v_dot4c_i32_i8_e32 v14, v214, v6
	v_mov_b32_e32 v11, 0
	v_dot4c_i32_i8_e32 v10, v197, v5
	v_dot4c_i32_i8_e32 v14, v214, v7
	;; [unrolled: 1-line block ×11, first 2 shown]
	v_mul_lo_u32 v10, v10, v203
	v_mul_lo_u32 v12, v217, v202
                                        ; kill: def $vgpr13 killed $sgpr0 killed $exec
	v_dot4c_i32_i8_e32 v14, v204, v3
	v_mad_u64_u32 v[12:13], s[18:19], v215, v203, v[12:13]
	v_mad_u64_u32 v[10:11], s[18:19], v11, v202, v[10:11]
	v_cvt_f32_i32_e32 v11, v10
	v_cvt_f32_i32_e32 v10, v12
	;; [unrolled: 1-line block ×4, first 2 shown]
	v_mov_b32_e32 v14, 0
	v_mov_b32_e32 v154, 0
	;; [unrolled: 1-line block ×3, first 2 shown]
	v_pk_mul_f32 v[12:13], v[142:143], v[12:13] op_sel_hi:[0,1]
	v_pk_fma_f32 v[10:11], v[140:141], v[10:11], v[12:13] op_sel_hi:[0,1,1] neg_lo:[0,0,1] neg_hi:[0,0,1]
	v_pk_fma_f32 v[34:35], v[8:9], v[10:11], v[34:35]
	v_mov_b32_e32 v11, 0
	v_dot4c_i32_i8_e32 v11, v209, v4
	v_mov_b32_e32 v10, 0
	v_dot4c_i32_i8_e32 v11, v209, v5
	v_dot4c_i32_i8_e32 v10, v180, v4
	;; [unrolled: 1-line block ×3, first 2 shown]
	v_mov_b32_e32 v4, 0
	v_dot4c_i32_i8_e32 v10, v177, v5
	v_dot4c_i32_i8_e32 v11, v209, v7
	;; [unrolled: 1-line block ×11, first 2 shown]
	v_mul_lo_u32 v0, v10, v153
	v_mul_lo_u32 v2, v220, v152
                                        ; kill: def $vgpr1 killed $sgpr0 killed $exec
	v_dot4c_i32_i8_e32 v11, v201, v3
	v_mad_u64_u32 v[2:3], s[18:19], v218, v153, v[2:3]
	v_mad_u64_u32 v[0:1], s[18:19], v4, v152, v[0:1]
	v_cvt_f32_i32_e32 v1, v0
	v_cvt_f32_i32_e32 v0, v2
	v_cvt_f32_i32_e32 v3, v11
	v_cvt_f32_i32_e32 v2, v219
	v_mov_b32_e32 v219, 0
	v_mov_b32_e32 v11, 0
	;; [unrolled: 1-line block ×3, first 2 shown]
	v_pk_mul_f32 v[2:3], v[138:139], v[2:3] op_sel_hi:[0,1]
	v_pk_fma_f32 v[0:1], v[136:137], v[0:1], v[2:3] op_sel_hi:[0,1,1] neg_lo:[0,0,1] neg_hi:[0,0,1]
	v_pk_fma_f32 v[32:33], v[8:9], v[0:1], v[32:33]
	ds_read2_b32 v[8:9], v147 offset0:128 offset1:160
	ds_read_b128 v[0:3], v145 offset:4096
	ds_read_b128 v[4:7], v145 offset:4112
	v_mov_b32_e32 v15, 0
	v_mov_b32_e32 v155, 0
	;; [unrolled: 1-line block ×3, first 2 shown]
	s_waitcnt lgkmcnt(1)
	v_dot4c_i32_i8_e32 v14, v208, v0
	v_dot4c_i32_i8_e32 v154, v213, v0
	v_dot4c_i32_i8_e32 v216, v214, v0
	v_dot4c_i32_i8_e32 v219, v209, v0
	v_dot4c_i32_i8_e32 v14, v208, v1
	v_dot4c_i32_i8_e32 v154, v213, v1
	v_dot4c_i32_i8_e32 v216, v214, v1
	v_dot4c_i32_i8_e32 v219, v209, v1
	v_dot4c_i32_i8_e32 v14, v208, v2
	v_dot4c_i32_i8_e32 v154, v213, v2
	v_dot4c_i32_i8_e32 v216, v214, v2
	v_dot4c_i32_i8_e32 v219, v209, v2
	v_dot4c_i32_i8_e32 v14, v208, v3
	v_dot4c_i32_i8_e32 v154, v213, v3
	v_dot4c_i32_i8_e32 v216, v214, v3
	v_mov_b32_e32 v217, 0
	v_mov_b32_e32 v218, 0
	v_dot4c_i32_i8_e32 v219, v209, v3
	v_mov_b32_e32 v220, 0
	v_dot4c_i32_i8_e32 v11, v196, v0
	s_waitcnt lgkmcnt(0)
	v_dot4c_i32_i8_e32 v12, v183, v4
	v_dot4c_i32_i8_e32 v14, v207, v4
	;; [unrolled: 1-line block ×47, first 2 shown]
	ds_read_b128 v[4:7], v145 offset:5120
	ds_read_b128 v[0:3], v145 offset:5136
	v_mov_b32_e32 v221, 0
	v_mov_b32_e32 v10, 0
	;; [unrolled: 1-line block ×3, first 2 shown]
	s_waitcnt lgkmcnt(1)
	v_dot4c_i32_i8_e32 v221, v208, v4
	v_dot4c_i32_i8_e32 v221, v208, v5
	;; [unrolled: 1-line block ×6, first 2 shown]
	s_waitcnt lgkmcnt(0)
	v_dot4c_i32_i8_e32 v222, v183, v0
	v_dot4c_i32_i8_e32 v10, v193, v6
	;; [unrolled: 1-line block ×7, first 2 shown]
	v_mul_lo_u32 v12, v12, v205
                                        ; kill: def $vgpr13 killed $sgpr0 killed $exec
	v_dot4c_i32_i8_e32 v221, v207, v2
	v_dot4c_i32_i8_e32 v222, v188, v3
	v_mul_lo_u32 v10, v10, v206
	v_mad_u64_u32 v[12:13], s[18:19], v11, v206, v[12:13]
                                        ; kill: def $vgpr11 killed $sgpr0 killed $exec
	v_dot4c_i32_i8_e32 v221, v207, v3
	v_mad_u64_u32 v[10:11], s[18:19], v222, v205, v[10:11]
	v_cvt_f32_i32_e32 v11, v10
	v_cvt_f32_i32_e32 v10, v12
	;; [unrolled: 1-line block ×4, first 2 shown]
	v_mov_b32_e32 v14, 0
	v_dot4c_i32_i8_e32 v14, v213, v4
	v_dot4c_i32_i8_e32 v14, v213, v5
	v_pk_mul_f32 v[12:13], v[146:147], v[12:13] op_sel_hi:[0,1]
	v_pk_fma_f32 v[10:11], v[144:145], v[10:11], v[12:13] op_sel_hi:[0,1,1] neg_lo:[0,0,1] neg_hi:[0,0,1]
	v_pk_fma_f32 v[30:31], v[8:9], v[10:11], v[30:31]
	v_mov_b32_e32 v10, 0
	v_dot4c_i32_i8_e32 v10, v195, v4
	v_dot4c_i32_i8_e32 v14, v213, v6
	v_mov_b32_e32 v11, 0
	v_dot4c_i32_i8_e32 v10, v189, v5
	v_dot4c_i32_i8_e32 v14, v213, v7
	v_dot4c_i32_i8_e32 v11, v181, v0
	v_dot4c_i32_i8_e32 v10, v191, v6
	v_dot4c_i32_i8_e32 v14, v212, v0
	v_dot4c_i32_i8_e32 v11, v182, v1
	v_dot4c_i32_i8_e32 v10, v192, v7
	v_dot4c_i32_i8_e32 v14, v212, v1
	v_dot4c_i32_i8_e32 v11, v185, v2
	v_dot4c_i32_i8_e32 v14, v212, v2
	v_dot4c_i32_i8_e32 v11, v186, v3
	v_mul_lo_u32 v10, v10, v211
	v_mul_lo_u32 v12, v155, v210
                                        ; kill: def $vgpr13 killed $sgpr0 killed $exec
	v_dot4c_i32_i8_e32 v14, v212, v3
	v_mad_u64_u32 v[12:13], s[18:19], v15, v211, v[12:13]
	v_mad_u64_u32 v[10:11], s[18:19], v11, v210, v[10:11]
	v_cvt_f32_i32_e32 v11, v10
	v_cvt_f32_i32_e32 v10, v12
	;; [unrolled: 1-line block ×4, first 2 shown]
	v_mov_b32_e32 v14, 0
	v_dot4c_i32_i8_e32 v14, v214, v4
	v_dot4c_i32_i8_e32 v14, v214, v5
	v_pk_mul_f32 v[12:13], v[150:151], v[12:13] op_sel_hi:[0,1]
	v_pk_fma_f32 v[10:11], v[148:149], v[10:11], v[12:13] op_sel_hi:[0,1,1] neg_lo:[0,0,1] neg_hi:[0,0,1]
	v_pk_fma_f32 v[28:29], v[8:9], v[10:11], v[28:29]
	v_mov_b32_e32 v10, 0
	v_dot4c_i32_i8_e32 v10, v200, v4
	v_dot4c_i32_i8_e32 v14, v214, v6
	v_mov_b32_e32 v11, 0
	v_dot4c_i32_i8_e32 v10, v197, v5
	v_dot4c_i32_i8_e32 v14, v214, v7
	;; [unrolled: 1-line block ×11, first 2 shown]
	v_mul_lo_u32 v10, v10, v203
	v_mul_lo_u32 v12, v217, v202
                                        ; kill: def $vgpr13 killed $sgpr0 killed $exec
	v_dot4c_i32_i8_e32 v14, v204, v3
	v_mad_u64_u32 v[12:13], s[18:19], v215, v203, v[12:13]
	v_mad_u64_u32 v[10:11], s[18:19], v11, v202, v[10:11]
	v_cvt_f32_i32_e32 v11, v10
	v_cvt_f32_i32_e32 v10, v12
	;; [unrolled: 1-line block ×4, first 2 shown]
	v_mov_b32_e32 v215, 0
	v_mov_b32_e32 v217, 0
	v_mov_b32_e32 v15, 0
	v_pk_mul_f32 v[12:13], v[142:143], v[12:13] op_sel_hi:[0,1]
	v_pk_fma_f32 v[10:11], v[140:141], v[10:11], v[12:13] op_sel_hi:[0,1,1] neg_lo:[0,0,1] neg_hi:[0,0,1]
	v_pk_fma_f32 v[26:27], v[8:9], v[10:11], v[26:27]
	v_mov_b32_e32 v11, 0
	v_dot4c_i32_i8_e32 v11, v209, v4
	v_mov_b32_e32 v10, 0
	v_dot4c_i32_i8_e32 v11, v209, v5
	v_dot4c_i32_i8_e32 v10, v180, v4
	;; [unrolled: 1-line block ×3, first 2 shown]
	v_mov_b32_e32 v4, 0
	v_dot4c_i32_i8_e32 v10, v177, v5
	v_dot4c_i32_i8_e32 v11, v209, v7
	;; [unrolled: 1-line block ×11, first 2 shown]
	v_mul_lo_u32 v0, v10, v153
	v_mul_lo_u32 v2, v220, v152
                                        ; kill: def $vgpr1 killed $sgpr0 killed $exec
	v_dot4c_i32_i8_e32 v11, v201, v3
	v_mad_u64_u32 v[2:3], s[18:19], v218, v153, v[2:3]
	v_mad_u64_u32 v[0:1], s[18:19], v4, v152, v[0:1]
	v_cvt_f32_i32_e32 v1, v0
	v_cvt_f32_i32_e32 v0, v2
	;; [unrolled: 1-line block ×4, first 2 shown]
	v_mov_b32_e32 v13, 0
	v_mov_b32_e32 v10, 0
	;; [unrolled: 1-line block ×3, first 2 shown]
	v_pk_mul_f32 v[2:3], v[138:139], v[2:3] op_sel_hi:[0,1]
	v_pk_fma_f32 v[0:1], v[136:137], v[0:1], v[2:3] op_sel_hi:[0,1,1] neg_lo:[0,0,1] neg_hi:[0,0,1]
	v_pk_fma_f32 v[24:25], v[8:9], v[0:1], v[24:25]
	ds_read2_b32 v[8:9], v147 offset0:192 offset1:224
	ds_read_b128 v[0:3], v145 offset:6144
	ds_read_b128 v[4:7], v145 offset:6160
	v_mov_b32_e32 v216, 0
	v_mov_b32_e32 v218, 0
	;; [unrolled: 1-line block ×3, first 2 shown]
	s_waitcnt lgkmcnt(1)
	v_dot4c_i32_i8_e32 v215, v208, v0
	v_dot4c_i32_i8_e32 v217, v213, v0
	;; [unrolled: 1-line block ×15, first 2 shown]
	v_mov_b32_e32 v219, 0
	v_mov_b32_e32 v11, 0
	v_dot4c_i32_i8_e32 v10, v209, v3
	v_mov_b32_e32 v12, 0
	v_dot4c_i32_i8_e32 v15, v196, v0
	s_waitcnt lgkmcnt(0)
	v_dot4c_i32_i8_e32 v155, v183, v4
	v_dot4c_i32_i8_e32 v215, v207, v4
	;; [unrolled: 1-line block ×47, first 2 shown]
	ds_read_b128 v[4:7], v145 offset:7168
	ds_read_b128 v[0:3], v145 offset:7184
	v_mov_b32_e32 v154, 0
	s_waitcnt lgkmcnt(1)
	v_dot4c_i32_i8_e32 v154, v196, v4
	v_mov_b32_e32 v196, 0
	v_dot4c_i32_i8_e32 v196, v208, v4
	v_dot4c_i32_i8_e32 v196, v208, v5
	;; [unrolled: 1-line block ×5, first 2 shown]
	v_mov_b32_e32 v190, 0
	s_waitcnt lgkmcnt(0)
	v_dot4c_i32_i8_e32 v190, v183, v0
	v_dot4c_i32_i8_e32 v196, v207, v0
	;; [unrolled: 1-line block ×8, first 2 shown]
	v_mul_lo_u32 v184, v155, v205
	v_dot4c_i32_i8_e32 v190, v188, v3
	v_dot4c_i32_i8_e32 v196, v207, v3
	v_mul_lo_u32 v154, v154, v206
                                        ; kill: def $vgpr155 killed $sgpr0 killed $exec
	v_mad_u64_u32 v[206:207], s[18:19], v15, v206, v[184:185]
	v_mov_b32_e32 v184, 0
	v_mad_u64_u32 v[154:155], s[18:19], v190, v205, v[154:155]
	v_dot4c_i32_i8_e32 v184, v213, v4
	v_cvt_f32_i32_e32 v155, v154
	v_cvt_f32_i32_e32 v154, v206
	;; [unrolled: 1-line block ×4, first 2 shown]
	v_mov_b32_e32 v15, 0
	v_dot4c_i32_i8_e32 v184, v213, v5
	v_dot4c_i32_i8_e32 v15, v195, v4
	;; [unrolled: 1-line block ×3, first 2 shown]
	v_mov_b32_e32 v183, 0
	v_dot4c_i32_i8_e32 v15, v189, v5
	v_dot4c_i32_i8_e32 v184, v213, v7
	;; [unrolled: 1-line block ×6, first 2 shown]
	v_pk_mul_f32 v[206:207], v[146:147], v[206:207] op_sel_hi:[0,1]
	v_dot4c_i32_i8_e32 v15, v192, v7
	v_dot4c_i32_i8_e32 v184, v212, v1
	;; [unrolled: 1-line block ×3, first 2 shown]
	v_pk_fma_f32 v[154:155], v[144:145], v[154:155], v[206:207] op_sel_hi:[0,1,1] neg_lo:[0,0,1] neg_hi:[0,0,1]
	v_dot4c_i32_i8_e32 v184, v212, v2
	v_dot4c_i32_i8_e32 v183, v186, v3
	v_mul_lo_u32 v144, v15, v211
	v_mul_lo_u32 v146, v218, v210
	v_pk_fma_f32 v[22:23], v[8:9], v[154:155], v[22:23]
	v_dot4c_i32_i8_e32 v184, v212, v3
	v_mad_u64_u32 v[154:155], s[18:19], v216, v211, v[146:147]
	v_mad_u64_u32 v[182:183], s[18:19], v183, v210, v[144:145]
	v_cvt_f32_i32_e32 v155, v182
	v_cvt_f32_i32_e32 v183, v184
	;; [unrolled: 1-line block ×4, first 2 shown]
	v_mov_b32_e32 v15, 0
	v_dot4c_i32_i8_e32 v15, v200, v4
	v_pk_mul_f32 v[182:183], v[150:151], v[182:183] op_sel_hi:[0,1]
	v_pk_fma_f32 v[154:155], v[148:149], v[154:155], v[182:183] op_sel_hi:[0,1,1] neg_lo:[0,0,1] neg_hi:[0,0,1]
	v_mov_b32_e32 v148, 0
	v_dot4c_i32_i8_e32 v148, v214, v4
	v_dot4c_i32_i8_e32 v148, v214, v5
	;; [unrolled: 1-line block ×3, first 2 shown]
	v_mov_b32_e32 v150, 0
	v_dot4c_i32_i8_e32 v15, v197, v5
	v_dot4c_i32_i8_e32 v148, v214, v7
	;; [unrolled: 1-line block ×11, first 2 shown]
	v_mul_lo_u32 v144, v15, v203
	v_mul_lo_u32 v146, v219, v202
	v_pk_fma_f32 v[20:21], v[8:9], v[154:155], v[20:21]
	v_dot4c_i32_i8_e32 v148, v204, v3
	v_mad_u64_u32 v[14:15], s[18:19], v14, v203, v[146:147]
	v_mad_u64_u32 v[154:155], s[18:19], v150, v202, v[144:145]
	v_cvt_f32_i32_e32 v15, v154
	v_cvt_f32_i32_e32 v155, v148
	;; [unrolled: 1-line block ×4, first 2 shown]
	v_mov_b32_e32 v13, 0
	v_dot4c_i32_i8_e32 v13, v180, v4
	v_pk_mul_f32 v[154:155], v[142:143], v[154:155] op_sel_hi:[0,1]
	v_pk_fma_f32 v[14:15], v[140:141], v[14:15], v[154:155] op_sel_hi:[0,1,1] neg_lo:[0,0,1] neg_hi:[0,0,1]
	v_pk_fma_f32 v[18:19], v[8:9], v[14:15], v[18:19]
	v_mov_b32_e32 v14, 0
	v_dot4c_i32_i8_e32 v14, v209, v4
	v_dot4c_i32_i8_e32 v14, v209, v5
	;; [unrolled: 1-line block ×3, first 2 shown]
	v_mov_b32_e32 v4, 0
	v_dot4c_i32_i8_e32 v13, v177, v5
	v_dot4c_i32_i8_e32 v14, v209, v7
	;; [unrolled: 1-line block ×11, first 2 shown]
	v_mul_lo_u32 v0, v13, v153
	v_mul_lo_u32 v2, v12, v152
                                        ; kill: def $vgpr1 killed $sgpr0 killed $exec
	v_dot4c_i32_i8_e32 v14, v201, v3
	v_mad_u64_u32 v[2:3], s[18:19], v11, v153, v[2:3]
	v_mad_u64_u32 v[0:1], s[18:19], v4, v152, v[0:1]
	v_cvt_f32_i32_e32 v1, v0
	v_cvt_f32_i32_e32 v0, v2
	;; [unrolled: 1-line block ×4, first 2 shown]
	v_add_u32_e32 v147, 4, v147
	v_add_u32_e32 v145, 32, v145
	v_pk_mul_f32 v[2:3], v[138:139], v[2:3] op_sel_hi:[0,1]
	v_pk_fma_f32 v[0:1], v[136:137], v[0:1], v[2:3] op_sel_hi:[0,1,1] neg_lo:[0,0,1] neg_hi:[0,0,1]
	v_pk_fma_f32 v[16:17], v[8:9], v[0:1], v[16:17]
	s_cbranch_scc1 .LBB168_14
; %bb.15:                               ;   in Loop: Header=BB168_6 Depth=1
	s_barrier
	s_branch .LBB168_5
.LBB168_16:
	v_mov_b32_e32 v1, v45
.LBB168_17:
	v_cmp_gt_u32_e32 vcc, s10, v47
	s_and_saveexec_b64 s[0:1], vcc
	s_cbranch_execz .LBB168_68
; %bb.18:
	v_add_u32_e32 v0, s16, v41
	v_mul_lo_u32 v5, v47, s14
	v_cmp_gt_u32_e32 vcc, s14, v0
	s_and_saveexec_b64 s[2:3], vcc
	s_cbranch_execz .LBB168_20
; %bb.19:
	v_bfe_u32 v2, v119, 16, 1
	s_movk_i32 s0, 0x7fff
	v_add3_u32 v2, v119, v2, s0
	v_lshrrev_b32_e32 v2, 16, v2
	v_mov_b32_e32 v3, 0x7fc0
	v_cmp_o_f32_e64 s[0:1], v119, v119
	s_nop 1
	v_cndmask_b32_e64 v4, v3, v2, s[0:1]
	v_add_u32_e32 v2, v0, v5
	v_mov_b32_e32 v3, 0
	s_waitcnt lgkmcnt(0)
	v_lshl_add_u64 v[2:3], v[2:3], 1, s[12:13]
	global_store_short v[2:3], v4, off
.LBB168_20:
	s_or_b64 exec, exec, s[2:3]
	v_add_u32_e32 v2, 32, v0
	v_cmp_gt_u32_e64 s[0:1], s14, v2
	s_and_saveexec_b64 s[4:5], s[0:1]
	s_cbranch_execz .LBB168_22
; %bb.21:
	v_bfe_u32 v3, v117, 16, 1
	s_movk_i32 s2, 0x7fff
	v_add3_u32 v3, v117, v3, s2
	v_lshrrev_b32_e32 v3, 16, v3
	v_mov_b32_e32 v4, 0x7fc0
	v_cmp_o_f32_e64 s[2:3], v117, v117
	v_add_u32_e32 v6, v2, v5
	v_mov_b32_e32 v7, 0
	v_cndmask_b32_e64 v3, v4, v3, s[2:3]
	s_waitcnt lgkmcnt(0)
	v_lshl_add_u64 v[6:7], v[6:7], 1, s[12:13]
	global_store_short v[6:7], v3, off
.LBB168_22:
	s_or_b64 exec, exec, s[4:5]
	v_add_u32_e32 v3, 64, v0
	v_cmp_gt_u32_e64 s[2:3], s14, v3
	s_and_saveexec_b64 s[6:7], s[2:3]
	s_cbranch_execz .LBB168_24
; %bb.23:
	v_bfe_u32 v4, v105, 16, 1
	s_movk_i32 s4, 0x7fff
	v_add3_u32 v4, v105, v4, s4
	v_lshrrev_b32_e32 v4, 16, v4
	v_mov_b32_e32 v6, 0x7fc0
	v_cmp_o_f32_e64 s[4:5], v105, v105
	v_mov_b32_e32 v7, 0
	s_nop 0
	v_cndmask_b32_e64 v4, v6, v4, s[4:5]
	v_add_u32_e32 v6, v3, v5
	s_waitcnt lgkmcnt(0)
	v_lshl_add_u64 v[6:7], v[6:7], 1, s[12:13]
	global_store_short v[6:7], v4, off
.LBB168_24:
	s_or_b64 exec, exec, s[6:7]
	v_add_u32_e32 v4, 0x60, v0
	v_cmp_gt_u32_e64 s[4:5], s14, v4
	s_and_saveexec_b64 s[8:9], s[4:5]
	s_cbranch_execz .LBB168_26
; %bb.25:
	v_bfe_u32 v6, v85, 16, 1
	s_movk_i32 s6, 0x7fff
	v_add3_u32 v6, v85, v6, s6
	v_lshrrev_b32_e32 v6, 16, v6
	v_mov_b32_e32 v7, 0x7fc0
	v_cmp_o_f32_e64 s[6:7], v85, v85
	s_nop 1
	v_cndmask_b32_e64 v8, v7, v6, s[6:7]
	v_add_u32_e32 v6, v4, v5
	v_mov_b32_e32 v7, 0
	s_waitcnt lgkmcnt(0)
	v_lshl_add_u64 v[6:7], v[6:7], 1, s[12:13]
	global_store_short v[6:7], v8, off
.LBB168_26:
	s_or_b64 exec, exec, s[8:9]
	v_add3_u32 v5, v1, s15, 8
	v_cmp_gt_u32_e64 s[6:7], s10, v5
	s_and_b64 exec, exec, s[6:7]
	s_cbranch_execz .LBB168_68
; %bb.27:
	v_mul_lo_u32 v5, v5, s14
	s_and_saveexec_b64 s[8:9], vcc
	s_cbranch_execnz .LBB168_69
; %bb.28:
	s_or_b64 exec, exec, s[8:9]
	s_and_saveexec_b64 s[8:9], s[0:1]
	s_cbranch_execnz .LBB168_70
.LBB168_29:
	s_or_b64 exec, exec, s[8:9]
	s_and_saveexec_b64 s[8:9], s[2:3]
	s_cbranch_execnz .LBB168_71
.LBB168_30:
	s_or_b64 exec, exec, s[8:9]
	s_and_saveexec_b64 s[8:9], s[4:5]
	s_cbranch_execz .LBB168_32
.LBB168_31:
	v_bfe_u32 v6, v84, 16, 1
	s_movk_i32 s6, 0x7fff
	v_add3_u32 v6, v84, v6, s6
	v_lshrrev_b32_e32 v6, 16, v6
	v_mov_b32_e32 v7, 0x7fc0
	v_cmp_o_f32_e64 s[6:7], v84, v84
	s_nop 1
	v_cndmask_b32_e64 v8, v7, v6, s[6:7]
	v_add_u32_e32 v6, v5, v4
	v_mov_b32_e32 v7, 0
	s_waitcnt lgkmcnt(0)
	v_lshl_add_u64 v[6:7], v[6:7], 1, s[12:13]
	global_store_short v[6:7], v8, off
.LBB168_32:
	s_or_b64 exec, exec, s[8:9]
	v_add3_u32 v5, v1, s15, 16
	v_cmp_gt_u32_e64 s[6:7], s10, v5
	s_and_b64 exec, exec, s[6:7]
	s_cbranch_execz .LBB168_68
; %bb.33:
	v_mul_lo_u32 v5, v5, s14
	s_and_saveexec_b64 s[8:9], vcc
	s_cbranch_execnz .LBB168_72
; %bb.34:
	s_or_b64 exec, exec, s[8:9]
	s_and_saveexec_b64 s[8:9], s[0:1]
	s_cbranch_execnz .LBB168_73
.LBB168_35:
	s_or_b64 exec, exec, s[8:9]
	s_and_saveexec_b64 s[8:9], s[2:3]
	s_cbranch_execnz .LBB168_74
.LBB168_36:
	s_or_b64 exec, exec, s[8:9]
	s_and_saveexec_b64 s[8:9], s[4:5]
	s_cbranch_execz .LBB168_38
.LBB168_37:
	v_bfe_u32 v6, v32, 16, 1
	s_movk_i32 s6, 0x7fff
	v_add3_u32 v6, v32, v6, s6
	v_lshrrev_b32_e32 v6, 16, v6
	v_mov_b32_e32 v7, 0x7fc0
	v_cmp_o_f32_e64 s[6:7], v32, v32
	s_nop 1
	v_cndmask_b32_e64 v8, v7, v6, s[6:7]
	v_add_u32_e32 v6, v5, v4
	v_mov_b32_e32 v7, 0
	s_waitcnt lgkmcnt(0)
	v_lshl_add_u64 v[6:7], v[6:7], 1, s[12:13]
	global_store_short v[6:7], v8, off
.LBB168_38:
	s_or_b64 exec, exec, s[8:9]
	v_add3_u32 v5, v1, s15, 24
	v_cmp_gt_u32_e64 s[6:7], s10, v5
	s_and_b64 exec, exec, s[6:7]
	s_cbranch_execz .LBB168_68
; %bb.39:
	v_mul_lo_u32 v5, v5, s14
	s_and_saveexec_b64 s[8:9], vcc
	s_cbranch_execnz .LBB168_75
; %bb.40:
	s_or_b64 exec, exec, s[8:9]
	s_and_saveexec_b64 s[8:9], s[0:1]
	s_cbranch_execnz .LBB168_76
.LBB168_41:
	s_or_b64 exec, exec, s[8:9]
	s_and_saveexec_b64 s[8:9], s[2:3]
	s_cbranch_execnz .LBB168_77
.LBB168_42:
	s_or_b64 exec, exec, s[8:9]
	s_and_saveexec_b64 s[8:9], s[4:5]
	s_cbranch_execz .LBB168_44
.LBB168_43:
	v_bfe_u32 v6, v33, 16, 1
	s_movk_i32 s6, 0x7fff
	v_add3_u32 v6, v33, v6, s6
	v_lshrrev_b32_e32 v6, 16, v6
	v_mov_b32_e32 v7, 0x7fc0
	v_cmp_o_f32_e64 s[6:7], v33, v33
	s_nop 1
	v_cndmask_b32_e64 v8, v7, v6, s[6:7]
	v_add_u32_e32 v6, v5, v4
	v_mov_b32_e32 v7, 0
	s_waitcnt lgkmcnt(0)
	v_lshl_add_u64 v[6:7], v[6:7], 1, s[12:13]
	global_store_short v[6:7], v8, off
.LBB168_44:
	s_or_b64 exec, exec, s[8:9]
	v_add3_u32 v5, v1, s15, 32
	v_cmp_gt_u32_e64 s[6:7], s10, v5
	s_and_b64 exec, exec, s[6:7]
	s_cbranch_execz .LBB168_68
; %bb.45:
	v_mul_lo_u32 v5, v5, s14
	s_and_saveexec_b64 s[8:9], vcc
	s_cbranch_execnz .LBB168_78
; %bb.46:
	s_or_b64 exec, exec, s[8:9]
	s_and_saveexec_b64 s[8:9], s[0:1]
	s_cbranch_execnz .LBB168_79
.LBB168_47:
	s_or_b64 exec, exec, s[8:9]
	s_and_saveexec_b64 s[8:9], s[2:3]
	s_cbranch_execnz .LBB168_80
.LBB168_48:
	s_or_b64 exec, exec, s[8:9]
	s_and_saveexec_b64 s[8:9], s[4:5]
	s_cbranch_execz .LBB168_50
.LBB168_49:
	v_bfe_u32 v6, v24, 16, 1
	s_movk_i32 s6, 0x7fff
	v_add3_u32 v6, v24, v6, s6
	v_lshrrev_b32_e32 v6, 16, v6
	v_mov_b32_e32 v7, 0x7fc0
	v_cmp_o_f32_e64 s[6:7], v24, v24
	s_nop 1
	v_cndmask_b32_e64 v8, v7, v6, s[6:7]
	v_add_u32_e32 v6, v5, v4
	v_mov_b32_e32 v7, 0
	s_waitcnt lgkmcnt(0)
	v_lshl_add_u64 v[6:7], v[6:7], 1, s[12:13]
	global_store_short v[6:7], v8, off
.LBB168_50:
	s_or_b64 exec, exec, s[8:9]
	v_add3_u32 v5, v1, s15, 40
	v_cmp_gt_u32_e64 s[6:7], s10, v5
	s_and_b64 exec, exec, s[6:7]
	s_cbranch_execz .LBB168_68
; %bb.51:
	v_mul_lo_u32 v5, v5, s14
	s_and_saveexec_b64 s[8:9], vcc
	s_cbranch_execnz .LBB168_81
; %bb.52:
	s_or_b64 exec, exec, s[8:9]
	s_and_saveexec_b64 s[8:9], s[0:1]
	s_cbranch_execnz .LBB168_82
.LBB168_53:
	s_or_b64 exec, exec, s[8:9]
	s_and_saveexec_b64 s[8:9], s[2:3]
	s_cbranch_execnz .LBB168_83
.LBB168_54:
	s_or_b64 exec, exec, s[8:9]
	s_and_saveexec_b64 s[8:9], s[4:5]
	s_cbranch_execz .LBB168_56
.LBB168_55:
	v_bfe_u32 v6, v25, 16, 1
	s_movk_i32 s6, 0x7fff
	v_add3_u32 v6, v25, v6, s6
	v_lshrrev_b32_e32 v6, 16, v6
	v_mov_b32_e32 v7, 0x7fc0
	v_cmp_o_f32_e64 s[6:7], v25, v25
	s_nop 1
	v_cndmask_b32_e64 v8, v7, v6, s[6:7]
	v_add_u32_e32 v6, v5, v4
	v_mov_b32_e32 v7, 0
	s_waitcnt lgkmcnt(0)
	v_lshl_add_u64 v[6:7], v[6:7], 1, s[12:13]
	global_store_short v[6:7], v8, off
.LBB168_56:
	s_or_b64 exec, exec, s[8:9]
	v_add3_u32 v5, v1, s15, 48
	v_cmp_gt_u32_e64 s[6:7], s10, v5
	s_and_b64 exec, exec, s[6:7]
	s_cbranch_execz .LBB168_68
; %bb.57:
	v_mul_lo_u32 v5, v5, s14
	s_and_saveexec_b64 s[8:9], vcc
	s_cbranch_execnz .LBB168_84
; %bb.58:
	s_or_b64 exec, exec, s[8:9]
	s_and_saveexec_b64 s[8:9], s[0:1]
	s_cbranch_execnz .LBB168_85
.LBB168_59:
	s_or_b64 exec, exec, s[8:9]
	s_and_saveexec_b64 s[8:9], s[2:3]
	s_cbranch_execnz .LBB168_86
.LBB168_60:
	s_or_b64 exec, exec, s[8:9]
	s_and_saveexec_b64 s[8:9], s[4:5]
	s_cbranch_execz .LBB168_62
.LBB168_61:
	v_bfe_u32 v6, v16, 16, 1
	s_movk_i32 s6, 0x7fff
	v_add3_u32 v6, v16, v6, s6
	v_lshrrev_b32_e32 v6, 16, v6
	v_mov_b32_e32 v7, 0x7fc0
	v_cmp_o_f32_e64 s[6:7], v16, v16
	s_nop 1
	v_cndmask_b32_e64 v8, v7, v6, s[6:7]
	v_add_u32_e32 v6, v5, v4
	v_mov_b32_e32 v7, 0
	s_waitcnt lgkmcnt(0)
	v_lshl_add_u64 v[6:7], v[6:7], 1, s[12:13]
	global_store_short v[6:7], v8, off
.LBB168_62:
	s_or_b64 exec, exec, s[8:9]
	v_add3_u32 v1, v1, s15, 56
	v_cmp_gt_u32_e64 s[6:7], s10, v1
	s_and_b64 exec, exec, s[6:7]
	s_cbranch_execz .LBB168_68
; %bb.63:
	v_mul_lo_u32 v1, v1, s14
	s_and_saveexec_b64 s[6:7], vcc
	s_cbranch_execnz .LBB168_87
; %bb.64:
	s_or_b64 exec, exec, s[6:7]
	s_and_saveexec_b64 s[6:7], s[0:1]
	s_cbranch_execnz .LBB168_88
.LBB168_65:
	s_or_b64 exec, exec, s[6:7]
	s_and_saveexec_b64 s[0:1], s[2:3]
	s_cbranch_execnz .LBB168_89
.LBB168_66:
	s_or_b64 exec, exec, s[0:1]
	s_and_b64 exec, exec, s[4:5]
	s_cbranch_execz .LBB168_68
.LBB168_67:
	v_bfe_u32 v0, v17, 16, 1
	s_movk_i32 s0, 0x7fff
	v_add3_u32 v0, v17, v0, s0
	v_lshrrev_b32_e32 v0, 16, v0
	v_mov_b32_e32 v2, 0x7fc0
	v_cmp_o_f32_e32 vcc, v17, v17
	s_nop 1
	v_cndmask_b32_e32 v2, v2, v0, vcc
	v_add_u32_e32 v0, v1, v4
	v_mov_b32_e32 v1, 0
	s_waitcnt lgkmcnt(0)
	v_lshl_add_u64 v[0:1], v[0:1], 1, s[12:13]
	global_store_short v[0:1], v2, off
.LBB168_68:
	s_endpgm
.LBB168_69:
	v_bfe_u32 v6, v118, 16, 1
	s_movk_i32 s6, 0x7fff
	v_add3_u32 v6, v118, v6, s6
	v_lshrrev_b32_e32 v6, 16, v6
	v_mov_b32_e32 v7, 0x7fc0
	v_cmp_o_f32_e64 s[6:7], v118, v118
	s_nop 1
	v_cndmask_b32_e64 v8, v7, v6, s[6:7]
	v_add_u32_e32 v6, v5, v0
	v_mov_b32_e32 v7, 0
	s_waitcnt lgkmcnt(0)
	v_lshl_add_u64 v[6:7], v[6:7], 1, s[12:13]
	global_store_short v[6:7], v8, off
	s_or_b64 exec, exec, s[8:9]
	s_and_saveexec_b64 s[8:9], s[0:1]
	s_cbranch_execz .LBB168_29
.LBB168_70:
	v_bfe_u32 v6, v116, 16, 1
	s_movk_i32 s6, 0x7fff
	v_add3_u32 v6, v116, v6, s6
	v_lshrrev_b32_e32 v6, 16, v6
	v_mov_b32_e32 v7, 0x7fc0
	v_cmp_o_f32_e64 s[6:7], v116, v116
	s_nop 1
	v_cndmask_b32_e64 v8, v7, v6, s[6:7]
	v_add_u32_e32 v6, v5, v2
	v_mov_b32_e32 v7, 0
	s_waitcnt lgkmcnt(0)
	v_lshl_add_u64 v[6:7], v[6:7], 1, s[12:13]
	global_store_short v[6:7], v8, off
	s_or_b64 exec, exec, s[8:9]
	s_and_saveexec_b64 s[8:9], s[2:3]
	s_cbranch_execz .LBB168_30
.LBB168_71:
	v_bfe_u32 v6, v104, 16, 1
	s_movk_i32 s6, 0x7fff
	v_add3_u32 v6, v104, v6, s6
	v_lshrrev_b32_e32 v6, 16, v6
	v_mov_b32_e32 v7, 0x7fc0
	v_cmp_o_f32_e64 s[6:7], v104, v104
	s_nop 1
	v_cndmask_b32_e64 v8, v7, v6, s[6:7]
	v_add_u32_e32 v6, v5, v3
	v_mov_b32_e32 v7, 0
	s_waitcnt lgkmcnt(0)
	v_lshl_add_u64 v[6:7], v[6:7], 1, s[12:13]
	global_store_short v[6:7], v8, off
	s_or_b64 exec, exec, s[8:9]
	s_and_saveexec_b64 s[8:9], s[4:5]
	s_cbranch_execnz .LBB168_31
	s_branch .LBB168_32
.LBB168_72:
	v_bfe_u32 v6, v38, 16, 1
	s_movk_i32 s6, 0x7fff
	v_add3_u32 v6, v38, v6, s6
	v_lshrrev_b32_e32 v6, 16, v6
	v_mov_b32_e32 v7, 0x7fc0
	v_cmp_o_f32_e64 s[6:7], v38, v38
	s_nop 1
	v_cndmask_b32_e64 v8, v7, v6, s[6:7]
	v_add_u32_e32 v6, v5, v0
	v_mov_b32_e32 v7, 0
	s_waitcnt lgkmcnt(0)
	v_lshl_add_u64 v[6:7], v[6:7], 1, s[12:13]
	global_store_short v[6:7], v8, off
	s_or_b64 exec, exec, s[8:9]
	s_and_saveexec_b64 s[8:9], s[0:1]
	s_cbranch_execz .LBB168_35
.LBB168_73:
	v_bfe_u32 v6, v36, 16, 1
	s_movk_i32 s6, 0x7fff
	v_add3_u32 v6, v36, v6, s6
	v_lshrrev_b32_e32 v6, 16, v6
	v_mov_b32_e32 v7, 0x7fc0
	v_cmp_o_f32_e64 s[6:7], v36, v36
	s_nop 1
	v_cndmask_b32_e64 v8, v7, v6, s[6:7]
	v_add_u32_e32 v6, v5, v2
	v_mov_b32_e32 v7, 0
	s_waitcnt lgkmcnt(0)
	v_lshl_add_u64 v[6:7], v[6:7], 1, s[12:13]
	global_store_short v[6:7], v8, off
	s_or_b64 exec, exec, s[8:9]
	s_and_saveexec_b64 s[8:9], s[2:3]
	s_cbranch_execz .LBB168_36
.LBB168_74:
	v_bfe_u32 v6, v34, 16, 1
	s_movk_i32 s6, 0x7fff
	v_add3_u32 v6, v34, v6, s6
	v_lshrrev_b32_e32 v6, 16, v6
	v_mov_b32_e32 v7, 0x7fc0
	v_cmp_o_f32_e64 s[6:7], v34, v34
	s_nop 1
	v_cndmask_b32_e64 v8, v7, v6, s[6:7]
	v_add_u32_e32 v6, v5, v3
	v_mov_b32_e32 v7, 0
	s_waitcnt lgkmcnt(0)
	v_lshl_add_u64 v[6:7], v[6:7], 1, s[12:13]
	global_store_short v[6:7], v8, off
	s_or_b64 exec, exec, s[8:9]
	s_and_saveexec_b64 s[8:9], s[4:5]
	s_cbranch_execnz .LBB168_37
	s_branch .LBB168_38
.LBB168_75:
	v_bfe_u32 v6, v39, 16, 1
	s_movk_i32 s6, 0x7fff
	v_add3_u32 v6, v39, v6, s6
	v_lshrrev_b32_e32 v6, 16, v6
	v_mov_b32_e32 v7, 0x7fc0
	v_cmp_o_f32_e64 s[6:7], v39, v39
	s_nop 1
	v_cndmask_b32_e64 v8, v7, v6, s[6:7]
	v_add_u32_e32 v6, v5, v0
	v_mov_b32_e32 v7, 0
	s_waitcnt lgkmcnt(0)
	v_lshl_add_u64 v[6:7], v[6:7], 1, s[12:13]
	global_store_short v[6:7], v8, off
	s_or_b64 exec, exec, s[8:9]
	s_and_saveexec_b64 s[8:9], s[0:1]
	s_cbranch_execz .LBB168_41
.LBB168_76:
	v_bfe_u32 v6, v37, 16, 1
	s_movk_i32 s6, 0x7fff
	v_add3_u32 v6, v37, v6, s6
	v_lshrrev_b32_e32 v6, 16, v6
	v_mov_b32_e32 v7, 0x7fc0
	v_cmp_o_f32_e64 s[6:7], v37, v37
	s_nop 1
	v_cndmask_b32_e64 v8, v7, v6, s[6:7]
	v_add_u32_e32 v6, v5, v2
	v_mov_b32_e32 v7, 0
	s_waitcnt lgkmcnt(0)
	v_lshl_add_u64 v[6:7], v[6:7], 1, s[12:13]
	global_store_short v[6:7], v8, off
	s_or_b64 exec, exec, s[8:9]
	s_and_saveexec_b64 s[8:9], s[2:3]
	s_cbranch_execz .LBB168_42
.LBB168_77:
	v_bfe_u32 v6, v35, 16, 1
	s_movk_i32 s6, 0x7fff
	v_add3_u32 v6, v35, v6, s6
	v_lshrrev_b32_e32 v6, 16, v6
	v_mov_b32_e32 v7, 0x7fc0
	v_cmp_o_f32_e64 s[6:7], v35, v35
	s_nop 1
	v_cndmask_b32_e64 v8, v7, v6, s[6:7]
	v_add_u32_e32 v6, v5, v3
	v_mov_b32_e32 v7, 0
	s_waitcnt lgkmcnt(0)
	v_lshl_add_u64 v[6:7], v[6:7], 1, s[12:13]
	global_store_short v[6:7], v8, off
	s_or_b64 exec, exec, s[8:9]
	s_and_saveexec_b64 s[8:9], s[4:5]
	s_cbranch_execnz .LBB168_43
	s_branch .LBB168_44
.LBB168_78:
	v_bfe_u32 v6, v30, 16, 1
	s_movk_i32 s6, 0x7fff
	v_add3_u32 v6, v30, v6, s6
	v_lshrrev_b32_e32 v6, 16, v6
	v_mov_b32_e32 v7, 0x7fc0
	v_cmp_o_f32_e64 s[6:7], v30, v30
	s_nop 1
	v_cndmask_b32_e64 v8, v7, v6, s[6:7]
	v_add_u32_e32 v6, v5, v0
	v_mov_b32_e32 v7, 0
	s_waitcnt lgkmcnt(0)
	v_lshl_add_u64 v[6:7], v[6:7], 1, s[12:13]
	global_store_short v[6:7], v8, off
	s_or_b64 exec, exec, s[8:9]
	s_and_saveexec_b64 s[8:9], s[0:1]
	s_cbranch_execz .LBB168_47
.LBB168_79:
	v_bfe_u32 v6, v28, 16, 1
	s_movk_i32 s6, 0x7fff
	v_add3_u32 v6, v28, v6, s6
	v_lshrrev_b32_e32 v6, 16, v6
	v_mov_b32_e32 v7, 0x7fc0
	v_cmp_o_f32_e64 s[6:7], v28, v28
	s_nop 1
	v_cndmask_b32_e64 v8, v7, v6, s[6:7]
	v_add_u32_e32 v6, v5, v2
	v_mov_b32_e32 v7, 0
	s_waitcnt lgkmcnt(0)
	v_lshl_add_u64 v[6:7], v[6:7], 1, s[12:13]
	global_store_short v[6:7], v8, off
	s_or_b64 exec, exec, s[8:9]
	s_and_saveexec_b64 s[8:9], s[2:3]
	s_cbranch_execz .LBB168_48
.LBB168_80:
	v_bfe_u32 v6, v26, 16, 1
	s_movk_i32 s6, 0x7fff
	v_add3_u32 v6, v26, v6, s6
	v_lshrrev_b32_e32 v6, 16, v6
	v_mov_b32_e32 v7, 0x7fc0
	v_cmp_o_f32_e64 s[6:7], v26, v26
	s_nop 1
	v_cndmask_b32_e64 v8, v7, v6, s[6:7]
	v_add_u32_e32 v6, v5, v3
	v_mov_b32_e32 v7, 0
	s_waitcnt lgkmcnt(0)
	v_lshl_add_u64 v[6:7], v[6:7], 1, s[12:13]
	global_store_short v[6:7], v8, off
	s_or_b64 exec, exec, s[8:9]
	s_and_saveexec_b64 s[8:9], s[4:5]
	s_cbranch_execnz .LBB168_49
	s_branch .LBB168_50
.LBB168_81:
	v_bfe_u32 v6, v31, 16, 1
	s_movk_i32 s6, 0x7fff
	v_add3_u32 v6, v31, v6, s6
	v_lshrrev_b32_e32 v6, 16, v6
	v_mov_b32_e32 v7, 0x7fc0
	v_cmp_o_f32_e64 s[6:7], v31, v31
	s_nop 1
	v_cndmask_b32_e64 v8, v7, v6, s[6:7]
	v_add_u32_e32 v6, v5, v0
	v_mov_b32_e32 v7, 0
	s_waitcnt lgkmcnt(0)
	v_lshl_add_u64 v[6:7], v[6:7], 1, s[12:13]
	global_store_short v[6:7], v8, off
	s_or_b64 exec, exec, s[8:9]
	s_and_saveexec_b64 s[8:9], s[0:1]
	s_cbranch_execz .LBB168_53
.LBB168_82:
	v_bfe_u32 v6, v29, 16, 1
	s_movk_i32 s6, 0x7fff
	v_add3_u32 v6, v29, v6, s6
	v_lshrrev_b32_e32 v6, 16, v6
	v_mov_b32_e32 v7, 0x7fc0
	v_cmp_o_f32_e64 s[6:7], v29, v29
	s_nop 1
	v_cndmask_b32_e64 v8, v7, v6, s[6:7]
	v_add_u32_e32 v6, v5, v2
	v_mov_b32_e32 v7, 0
	s_waitcnt lgkmcnt(0)
	v_lshl_add_u64 v[6:7], v[6:7], 1, s[12:13]
	global_store_short v[6:7], v8, off
	s_or_b64 exec, exec, s[8:9]
	s_and_saveexec_b64 s[8:9], s[2:3]
	s_cbranch_execz .LBB168_54
.LBB168_83:
	v_bfe_u32 v6, v27, 16, 1
	s_movk_i32 s6, 0x7fff
	v_add3_u32 v6, v27, v6, s6
	v_lshrrev_b32_e32 v6, 16, v6
	v_mov_b32_e32 v7, 0x7fc0
	v_cmp_o_f32_e64 s[6:7], v27, v27
	s_nop 1
	v_cndmask_b32_e64 v8, v7, v6, s[6:7]
	v_add_u32_e32 v6, v5, v3
	v_mov_b32_e32 v7, 0
	s_waitcnt lgkmcnt(0)
	v_lshl_add_u64 v[6:7], v[6:7], 1, s[12:13]
	global_store_short v[6:7], v8, off
	s_or_b64 exec, exec, s[8:9]
	s_and_saveexec_b64 s[8:9], s[4:5]
	s_cbranch_execnz .LBB168_55
	s_branch .LBB168_56
.LBB168_84:
	v_bfe_u32 v6, v22, 16, 1
	s_movk_i32 s6, 0x7fff
	v_add3_u32 v6, v22, v6, s6
	v_lshrrev_b32_e32 v6, 16, v6
	v_mov_b32_e32 v7, 0x7fc0
	v_cmp_o_f32_e64 s[6:7], v22, v22
	s_nop 1
	v_cndmask_b32_e64 v8, v7, v6, s[6:7]
	v_add_u32_e32 v6, v5, v0
	v_mov_b32_e32 v7, 0
	s_waitcnt lgkmcnt(0)
	v_lshl_add_u64 v[6:7], v[6:7], 1, s[12:13]
	global_store_short v[6:7], v8, off
	s_or_b64 exec, exec, s[8:9]
	s_and_saveexec_b64 s[8:9], s[0:1]
	s_cbranch_execz .LBB168_59
.LBB168_85:
	v_bfe_u32 v6, v20, 16, 1
	s_movk_i32 s6, 0x7fff
	v_add3_u32 v6, v20, v6, s6
	v_lshrrev_b32_e32 v6, 16, v6
	v_mov_b32_e32 v7, 0x7fc0
	v_cmp_o_f32_e64 s[6:7], v20, v20
	s_nop 1
	v_cndmask_b32_e64 v8, v7, v6, s[6:7]
	v_add_u32_e32 v6, v5, v2
	v_mov_b32_e32 v7, 0
	s_waitcnt lgkmcnt(0)
	v_lshl_add_u64 v[6:7], v[6:7], 1, s[12:13]
	global_store_short v[6:7], v8, off
	s_or_b64 exec, exec, s[8:9]
	s_and_saveexec_b64 s[8:9], s[2:3]
	s_cbranch_execz .LBB168_60
.LBB168_86:
	v_bfe_u32 v6, v18, 16, 1
	s_movk_i32 s6, 0x7fff
	v_add3_u32 v6, v18, v6, s6
	v_lshrrev_b32_e32 v6, 16, v6
	v_mov_b32_e32 v7, 0x7fc0
	v_cmp_o_f32_e64 s[6:7], v18, v18
	s_nop 1
	v_cndmask_b32_e64 v8, v7, v6, s[6:7]
	v_add_u32_e32 v6, v5, v3
	v_mov_b32_e32 v7, 0
	s_waitcnt lgkmcnt(0)
	v_lshl_add_u64 v[6:7], v[6:7], 1, s[12:13]
	global_store_short v[6:7], v8, off
	s_or_b64 exec, exec, s[8:9]
	s_and_saveexec_b64 s[8:9], s[4:5]
	s_cbranch_execnz .LBB168_61
	s_branch .LBB168_62
.LBB168_87:
	v_bfe_u32 v5, v23, 16, 1
	s_movk_i32 s8, 0x7fff
	v_add3_u32 v5, v23, v5, s8
	v_lshrrev_b32_e32 v5, 16, v5
	v_mov_b32_e32 v6, 0x7fc0
	v_cmp_o_f32_e32 vcc, v23, v23
	v_mov_b32_e32 v7, 0
	s_nop 0
	v_cndmask_b32_e32 v5, v6, v5, vcc
	v_add_u32_e32 v6, v1, v0
	s_waitcnt lgkmcnt(0)
	v_lshl_add_u64 v[6:7], v[6:7], 1, s[12:13]
	global_store_short v[6:7], v5, off
	s_or_b64 exec, exec, s[6:7]
	s_and_saveexec_b64 s[6:7], s[0:1]
	s_cbranch_execz .LBB168_65
.LBB168_88:
	v_bfe_u32 v0, v21, 16, 1
	s_movk_i32 s0, 0x7fff
	v_add3_u32 v0, v21, v0, s0
	v_lshrrev_b32_e32 v0, 16, v0
	v_mov_b32_e32 v5, 0x7fc0
	v_cmp_o_f32_e32 vcc, v21, v21
	v_add_u32_e32 v6, v1, v2
	v_mov_b32_e32 v7, 0
	v_cndmask_b32_e32 v0, v5, v0, vcc
	s_waitcnt lgkmcnt(0)
	v_lshl_add_u64 v[6:7], v[6:7], 1, s[12:13]
	global_store_short v[6:7], v0, off
	s_or_b64 exec, exec, s[6:7]
	s_and_saveexec_b64 s[0:1], s[2:3]
	s_cbranch_execz .LBB168_66
.LBB168_89:
	v_bfe_u32 v0, v19, 16, 1
	s_movk_i32 s2, 0x7fff
	v_add3_u32 v0, v19, v0, s2
	v_lshrrev_b32_e32 v0, 16, v0
	v_mov_b32_e32 v2, 0x7fc0
	v_cmp_o_f32_e32 vcc, v19, v19
	s_nop 1
	v_cndmask_b32_e32 v0, v2, v0, vcc
	v_add_u32_e32 v2, v1, v3
	v_mov_b32_e32 v3, 0
	s_waitcnt lgkmcnt(0)
	v_lshl_add_u64 v[2:3], v[2:3], 1, s[12:13]
	global_store_short v[2:3], v0, off
	s_or_b64 exec, exec, s[0:1]
	s_and_b64 exec, exec, s[4:5]
	s_cbranch_execnz .LBB168_67
	s_branch .LBB168_68
	.section	.rodata,"a",@progbits
	.p2align	6, 0x0
	.amdhsa_kernel _ZL12mul_mat_q2_KIN3c108BFloat16ELb1EEvPKvS3_PT_iiiii
		.amdhsa_group_segment_fixed_size 31392
		.amdhsa_private_segment_fixed_size 0
		.amdhsa_kernarg_size 44
		.amdhsa_user_sgpr_count 2
		.amdhsa_user_sgpr_dispatch_ptr 0
		.amdhsa_user_sgpr_queue_ptr 0
		.amdhsa_user_sgpr_kernarg_segment_ptr 1
		.amdhsa_user_sgpr_dispatch_id 0
		.amdhsa_user_sgpr_kernarg_preload_length 0
		.amdhsa_user_sgpr_kernarg_preload_offset 0
		.amdhsa_user_sgpr_private_segment_size 0
		.amdhsa_uses_dynamic_stack 0
		.amdhsa_enable_private_segment 0
		.amdhsa_system_sgpr_workgroup_id_x 1
		.amdhsa_system_sgpr_workgroup_id_y 1
		.amdhsa_system_sgpr_workgroup_id_z 0
		.amdhsa_system_sgpr_workgroup_info 0
		.amdhsa_system_vgpr_workitem_id 1
		.amdhsa_next_free_vgpr 225
		.amdhsa_next_free_sgpr 22
		.amdhsa_accum_offset 228
		.amdhsa_reserve_vcc 1
		.amdhsa_float_round_mode_32 0
		.amdhsa_float_round_mode_16_64 0
		.amdhsa_float_denorm_mode_32 3
		.amdhsa_float_denorm_mode_16_64 3
		.amdhsa_dx10_clamp 1
		.amdhsa_ieee_mode 1
		.amdhsa_fp16_overflow 0
		.amdhsa_tg_split 0
		.amdhsa_exception_fp_ieee_invalid_op 0
		.amdhsa_exception_fp_denorm_src 0
		.amdhsa_exception_fp_ieee_div_zero 0
		.amdhsa_exception_fp_ieee_overflow 0
		.amdhsa_exception_fp_ieee_underflow 0
		.amdhsa_exception_fp_ieee_inexact 0
		.amdhsa_exception_int_div_zero 0
	.end_amdhsa_kernel
	.section	.text._ZL12mul_mat_q2_KIN3c108BFloat16ELb1EEvPKvS3_PT_iiiii,"axG",@progbits,_ZL12mul_mat_q2_KIN3c108BFloat16ELb1EEvPKvS3_PT_iiiii,comdat
.Lfunc_end168:
	.size	_ZL12mul_mat_q2_KIN3c108BFloat16ELb1EEvPKvS3_PT_iiiii, .Lfunc_end168-_ZL12mul_mat_q2_KIN3c108BFloat16ELb1EEvPKvS3_PT_iiiii
                                        ; -- End function
	.section	.AMDGPU.csdata,"",@progbits
; Kernel info:
; codeLenInByte = 26708
; NumSgprs: 28
; NumVgprs: 225
; NumAgprs: 0
; TotalNumVgprs: 225
; ScratchSize: 0
; MemoryBound: 0
; FloatMode: 240
; IeeeMode: 1
; LDSByteSize: 31392 bytes/workgroup (compile time only)
; SGPRBlocks: 3
; VGPRBlocks: 28
; NumSGPRsForWavesPerEU: 28
; NumVGPRsForWavesPerEU: 225
; AccumOffset: 228
; Occupancy: 2
; WaveLimiterHint : 0
; COMPUTE_PGM_RSRC2:SCRATCH_EN: 0
; COMPUTE_PGM_RSRC2:USER_SGPR: 2
; COMPUTE_PGM_RSRC2:TRAP_HANDLER: 0
; COMPUTE_PGM_RSRC2:TGID_X_EN: 1
; COMPUTE_PGM_RSRC2:TGID_Y_EN: 1
; COMPUTE_PGM_RSRC2:TGID_Z_EN: 0
; COMPUTE_PGM_RSRC2:TIDIG_COMP_CNT: 1
; COMPUTE_PGM_RSRC3_GFX90A:ACCUM_OFFSET: 56
; COMPUTE_PGM_RSRC3_GFX90A:TG_SPLIT: 0
	.section	.text._ZL12mul_mat_q3_KIN3c108BFloat16ELb0EEvPKvS3_PT_iiiii,"axG",@progbits,_ZL12mul_mat_q3_KIN3c108BFloat16ELb0EEvPKvS3_PT_iiiii,comdat
	.globl	_ZL12mul_mat_q3_KIN3c108BFloat16ELb0EEvPKvS3_PT_iiiii ; -- Begin function _ZL12mul_mat_q3_KIN3c108BFloat16ELb0EEvPKvS3_PT_iiiii
	.p2align	8
	.type	_ZL12mul_mat_q3_KIN3c108BFloat16ELb0EEvPKvS3_PT_iiiii,@function
_ZL12mul_mat_q3_KIN3c108BFloat16ELb0EEvPKvS3_PT_iiiii: ; @_ZL12mul_mat_q3_KIN3c108BFloat16ELb0EEvPKvS3_PT_iiiii
; %bb.0:
	s_load_dword s7, s[0:1], 0x18
	s_load_dwordx4 s[8:11], s[0:1], 0x20
	s_waitcnt lgkmcnt(0)
	s_lshl_b32 s11, s3, 6
	v_bfe_u32 v45, v0, 10, 10
	s_cmpk_gt_i32 s7, 0xff
	s_cbranch_scc1 .LBB169_2
; %bb.1:
	v_bfe_u32 v1, v0, 10, 10
	v_and_b32_e32 v43, 0x3ff, v0
	v_add_u32_e32 v90, s11, v1
	s_mov_b64 s[4:5], 0
	s_mov_b32 s3, 0
	s_branch .LBB169_3
.LBB169_2:
	s_mov_b64 s[4:5], -1
                                        ; implicit-def: $sgpr3
                                        ; implicit-def: $vgpr1
                                        ; implicit-def: $vgpr43
                                        ; implicit-def: $vgpr90
.LBB169_3:
	s_load_dwordx2 s[12:13], s[0:1], 0x10
	s_lshl_b32 s6, s2, 7
	s_andn2_b64 vcc, exec, s[4:5]
	v_mov_b32_e32 v9, s3
	v_mov_b32_e32 v19, s3
	;; [unrolled: 1-line block ×32, first 2 shown]
	s_cbranch_vccnz .LBB169_17
; %bb.4:
	s_ashr_i32 s4, s7, 31
	s_load_dwordx4 s[0:3], s[0:1], 0x0
	s_lshr_b32 s4, s4, 24
	s_add_i32 s7, s7, s4
	s_ashr_i32 s5, s9, 31
	s_ashr_i32 s4, s7, 8
	s_lshr_b32 s5, s5, 27
	s_add_i32 s5, s9, s5
	s_mul_i32 s7, s4, s6
	s_ashr_i32 s15, s5, 5
	s_mul_hi_i32 s9, s7, 0x6e
	s_mulk_i32 s7, 0x6e
	s_waitcnt lgkmcnt(0)
	s_add_u32 s7, s0, s7
	s_addc_u32 s9, s1, s9
	s_lshl_b32 s1, s4, 3
	v_mov_b32_e32 v2, s1
	v_mad_i32_i24 v14, s4, v45, v2
	v_add_u32_e32 v16, s1, v14
	v_add_u32_e32 v18, s1, v16
	;; [unrolled: 1-line block ×9, first 2 shown]
	v_and_b32_e32 v43, 0x3ff, v0
	v_add_u32_e32 v34, s1, v32
	v_add_u32_e32 v36, s1, v34
	v_lshlrev_b32_e32 v97, 4, v45
	v_lshrrev_b32_e32 v6, 1, v43
	v_add_u32_e32 v38, s1, v36
	v_and_b32_e32 v44, 1, v43
	v_add_u32_e32 v2, v6, v97
	v_add_u32_e32 v40, s1, v38
	v_and_b32_e32 v3, 0x7f, v2
	v_lshlrev_b32_e32 v4, 2, v44
	v_lshrrev_b32_e32 v2, 2, v2
	v_add_u32_e32 v42, s1, v40
	v_mul_i32_i24_e32 v46, s4, v3
	v_lshl_or_b32 v3, v3, 3, v4
	v_and_b32_e32 v2, 28, v2
	s_mov_b32 s1, 0x9380
	v_lshrrev_b32_e32 v8, 4, v43
	v_add3_u32 v98, v3, v2, s1
	v_lshlrev_b32_e32 v2, 1, v45
	v_add_u32_e32 v3, v8, v2
	v_add_u16_e32 v2, v8, v2
	v_and_b32_e32 v0, 15, v43
	v_lshrrev_b16_e32 v2, 1, v2
	v_lshlrev_b32_e32 v10, 2, v0
	v_lshlrev_b32_e32 v2, 2, v2
	s_movk_i32 s16, 0x4200
	s_lshl_b32 s17, s4, 4
	v_add3_u32 v7, v2, v10, s16
	v_add_u32_e32 v2, 16, v3
	v_mov_b32_e32 v4, s17
	v_mad_i32_i24 v54, s4, v3, v4
	v_lshlrev_b32_e32 v4, 1, v2
	v_and_b32_e32 v4, 0xffc, v4
	v_lshlrev_b32_e32 v15, 6, v2
	v_add_u32_e32 v2, 32, v3
	v_add3_u32 v13, v4, v10, s16
	v_lshlrev_b32_e32 v4, 1, v2
	v_and_b32_e32 v4, 0xffc, v4
	v_lshlrev_b32_e32 v19, 6, v2
	v_add_u32_e32 v2, 48, v3
	v_add3_u32 v17, v4, v10, s16
	;; [unrolled: 5-line block ×5, first 2 shown]
	v_lshlrev_b32_e32 v4, 1, v2
	v_lshlrev_b32_e32 v35, 6, v2
	v_add_u32_e32 v2, 0x70, v3
	v_cmp_lt_u32_e32 vcc, 7, v0
	v_and_b32_e32 v0, 7, v43
	v_mul_i32_i24_e32 v52, s4, v3
	v_lshlrev_b32_e32 v9, 6, v3
	v_lshlrev_b32_e32 v3, 1, v2
	v_cndmask_b32_e64 v48, 0, 1, vcc
	v_lshlrev_b32_e32 v50, 2, v0
	v_add_u32_e32 v56, s17, v54
	v_and_b32_e32 v3, 0xffc, v3
	v_cmp_lt_u32_e32 vcc, 3, v0
	v_and_b32_e32 v0, 3, v43
	v_add_u32_e32 v58, s17, v56
	v_add3_u32 v37, v3, v10, s16
	v_cndmask_b32_e64 v68, 0, 1, vcc
	v_add_u16_e32 v3, -2, v0
	v_cmp_gt_u32_e32 vcc, 2, v0
	v_add_u32_e32 v60, s17, v58
	v_and_b32_e32 v4, 0xffc, v4
	v_cndmask_b32_e32 v3, v3, v0, vcc
	v_cmp_lt_u32_e32 vcc, 1, v0
	v_add_u32_e32 v62, s17, v60
	v_add3_u32 v33, v4, v10, s16
	v_lshrrev_b32_e32 v102, 3, v43
	v_cndmask_b32_e64 v4, 0, 1, vcc
	v_add_u32_e32 v64, s17, v62
	v_lshlrev_b32_e32 v39, 6, v2
	v_lshl_add_u32 v2, v45, 2, v102
	v_lshlrev_b32_e32 v104, 2, v4
	v_mov_b32_e32 v4, 2
	v_add_u32_e32 v66, s17, v64
	v_lshlrev_b32_sdwa v70, v4, v3 dst_sel:DWORD dst_unused:UNUSED_PAD src0_sel:DWORD src1_sel:BYTE_0
	v_and_b32_e32 v3, 0x7fc, v2
	s_mov_b32 s16, 0x8300
	s_lshl_b32 s17, s4, 5
	v_add3_u32 v41, v3, v50, s16
	v_add_u32_e32 v3, 32, v2
	v_mov_b32_e32 v4, s17
	v_mad_i32_i24 v74, s4, v2, v4
	v_and_b32_e32 v4, 0xffc, v3
	v_lshlrev_b32_e32 v53, 5, v3
	v_add_u32_e32 v3, 64, v2
	v_lshlrev_b32_e32 v1, 2, v43
	s_movk_i32 s0, 0x84
	v_add3_u32 v49, v4, v50, s16
	v_and_b32_e32 v4, 0xffc, v3
	v_mad_u32_u24 v61, v45, s0, v1
	v_add3_u32 v55, v4, v50, s16
	v_and_b32_e32 v4, 28, v1
	v_lshrrev_b32_e32 v1, 2, v43
	v_mov_b32_e32 v11, 0
	v_mul_i32_i24_e32 v72, s4, v2
	v_lshlrev_b32_e32 v47, 5, v2
	v_add_u32_e32 v2, 0x60, v2
	v_lshl_add_u32 v1, v45, 3, v1
	v_lshlrev_b32_e32 v57, 5, v3
	v_and_b32_e32 v3, 0xffc, v2
	v_mov_b32_e32 v5, v11
	v_and_b32_e32 v1, 63, v1
	v_add3_u32 v59, v3, v50, s16
	s_add_i32 s16, s8, -1
	v_lshl_add_u64 v[80:81], s[2:3], 0, v[4:5]
	v_or_b32_e32 v4, s11, v1
	v_add_u32_e32 v76, s17, v74
	v_min_i32_e32 v4, s16, v4
	v_lshlrev_b32_e32 v105, 1, v0
	v_add_u32_e32 v78, s17, v76
	v_lshlrev_b32_e32 v67, 5, v2
	v_cvt_f64_i32_e32 v[2:3], s16
	v_mad_u64_u32 v[82:83], s[16:17], v4, s15, v[0:1]
	v_lshlrev_b32_e32 v0, 2, v0
	v_add_u32_e32 v90, s11, v45
	v_lshl_or_b32 v0, v1, 4, v0
	v_add_u32_e32 v108, 0x97a0, v0
	v_cvt_f64_u32_e32 v[0:1], v90
	v_min_f64 v[0:1], v[0:1], v[2:3]
	v_cvt_i32_f64_e32 v0, v[0:1]
	v_mul_lo_u32 v109, s15, v0
	v_add_u32_e32 v0, 8, v90
	v_cvt_f64_u32_e32 v[0:1], v0
	v_min_f64 v[0:1], v[0:1], v[2:3]
	v_cvt_i32_f64_e32 v0, v[0:1]
	v_mul_lo_u32 v112, s15, v0
	;; [unrolled: 5-line block ×8, first 2 shown]
	v_add_u32_e32 v0, 32, v43
	v_lshrrev_b32_e32 v1, 1, v0
	v_lshl_add_u32 v132, v0, 4, v1
	v_mov_b32_e32 v1, 0x1080
	v_lshl_add_u32 v129, v43, 4, v6
	v_lshlrev_b32_e32 v6, 2, v8
	v_lshlrev_b32_e32 v83, 3, v43
	v_mad_u32_u24 v133, v43, s0, v1
	v_lshrrev_b32_e32 v1, 2, v0
	v_add3_u32 v131, v6, v83, s1
	v_and_b32_e32 v1, 0x7c, v1
	v_lshlrev_b32_e32 v6, 3, v0
	v_add_u32_e32 v2, 64, v43
	v_add3_u32 v134, v6, v1, s1
	v_mov_b32_e32 v1, 0x2100
	v_and_b32_e32 v84, 31, v43
	v_lshlrev_b32_e32 v110, 7, v45
	v_lshrrev_b32_e32 v3, 1, v2
	v_mad_u32_u24 v136, v43, s0, v1
	v_lshrrev_b32_e32 v1, 2, v2
	v_lshl_or_b32 v4, v84, 2, v110
	v_lshl_add_u32 v135, v2, 4, v3
	v_and_b32_e32 v1, 0x7c, v1
	v_lshlrev_b32_e32 v3, 3, v2
	v_add_u32_e32 v111, 0x6300, v4
	v_add_u32_e32 v113, 0x6700, v4
	;; [unrolled: 1-line block ×9, first 2 shown]
	v_add3_u32 v137, v3, v1, s1
	v_mov_b32_e32 v1, 0x3180
	v_mad_u32_u24 v139, v43, s0, v1
	v_lshrrev_b32_e32 v1, 2, v4
	v_lshrrev_b32_e32 v5, 1, v4
	v_and_b32_e32 v1, 0x7c, v1
	v_lshlrev_b32_e32 v3, 3, v4
	v_and_b32_e32 v144, 0xfc, v43
	v_and_b32_e32 v146, 0x1fc, v0
	;; [unrolled: 1-line block ×4, first 2 shown]
	s_movk_i32 s5, 0x6e
	s_mov_b32 s14, 0
	v_mul_i32_i24_e32 v12, s4, v45
	v_add_u32_e32 v63, 0x420, v61
	v_add_u32_e32 v65, 0x840, v61
	;; [unrolled: 1-line block ×15, first 2 shown]
	v_mov_b32_e32 v51, v11
	v_mov_b32_e32 v71, v11
	v_lshlrev_b32_e32 v128, 5, v43
	v_mul_u32_u24_e32 v130, 0x84, v43
	v_lshl_add_u32 v138, v4, 4, v5
	v_add3_u32 v140, v3, v1, s1
	v_lshrrev_b32_e32 v141, 3, v0
	v_lshrrev_b32_e32 v142, 3, v2
	;; [unrolled: 1-line block ×3, first 2 shown]
	v_or_b32_e32 v145, 0x6300, v144
	v_add_u32_e32 v147, 0x6300, v146
	v_add_u32_e32 v149, 0x6300, v148
	;; [unrolled: 1-line block ×13, first 2 shown]
	s_mov_b64 s[0:1], 0x60
	s_mov_b32 s15, 0x30303030
	s_movk_i32 s16, 0x3f00
	s_movk_i32 s17, 0xe000
	v_add_u32_e32 v162, v41, v47
	v_add_u32_e32 v163, v49, v53
	v_add_u32_e32 v164, v55, v57
	v_add_u32_e32 v165, v59, v67
	v_mov_b32_e32 v166, 8
	v_mov_b32_e32 v124, v11
	;; [unrolled: 1-line block ×33, first 2 shown]
	s_branch .LBB169_6
.LBB169_5:                              ;   in Loop: Header=BB169_6 Depth=1
	s_add_i32 s14, s14, 2
	s_cmp_ge_i32 s14, s4
	s_cbranch_scc1 .LBB169_16
.LBB169_6:                              ; =>This Loop Header: Depth=1
                                        ;     Child Loop BB169_7 Depth 2
                                        ;     Child Loop BB169_9 Depth 2
	;; [unrolled: 1-line block ×4, first 2 shown]
	s_mul_i32 s18, s14, 0x6e
	s_mul_hi_u32 s19, s14, 0x6e
	s_add_u32 s18, s7, s18
	s_addc_u32 s19, s9, s19
	v_mov_b64_e32 v[0:1], s[18:19]
	v_mad_u64_u32 v[2:3], s[18:19], v8, s5, v[0:1]
	v_lshl_add_u64 v[2:3], v[2:3], 0, v[10:11]
	v_lshl_add_u64 v[2:3], v[2:3], 0, 32
	v_mad_u64_u32 v[4:5], s[18:19], v12, s5, v[2:3]
	v_mad_u64_u32 v[6:7], s[18:19], v14, s5, v[2:3]
	;; [unrolled: 1-line block ×8, first 2 shown]
	global_load_dword v167, v[4:5], off
	global_load_dword v176, v[6:7], off
	;; [unrolled: 1-line block ×7, first 2 shown]
	s_nop 0
	global_load_dword v174, v[174:175], off
	v_mad_u64_u32 v[4:5], s[18:19], v28, s5, v[2:3]
	v_mad_u64_u32 v[6:7], s[18:19], v30, s5, v[2:3]
	;; [unrolled: 1-line block ×8, first 2 shown]
	global_load_dword v175, v[4:5], off
	global_load_dword v182, v[6:7], off
	;; [unrolled: 1-line block ×4, first 2 shown]
	s_nop 0
	global_load_dword v168, v[168:169], off
	s_nop 0
	global_load_dword v169, v[170:171], off
	;; [unrolled: 2-line block ×3, first 2 shown]
	global_load_dword v171, v[2:3], off
	v_mad_u64_u32 v[2:3], s[18:19], v46, s5, v[0:1]
	v_mad_u64_u32 v[2:3], s[18:19], v44, s5, v[2:3]
	global_load_ushort v172, v[2:3], off offset:108
	v_mad_u64_u32 v[4:5], s[18:19], v48, s5, v[0:1]
	v_lshl_add_u64 v[4:5], v[4:5], 0, v[50:51]
	v_mad_u64_u32 v[6:7], s[18:19], v52, s5, v[4:5]
	v_mad_u64_u32 v[84:85], s[18:19], v54, s5, v[4:5]
	global_load_dword v173, v[6:7], off
	global_load_dword v185, v[84:85], off
	v_mad_u64_u32 v[2:3], s[18:19], v56, s5, v[4:5]
	v_mad_u64_u32 v[86:87], s[18:19], v58, s5, v[4:5]
	global_load_dword v186, v[2:3], off
	s_nop 0
	global_load_dword v86, v[86:87], off
	v_mad_u64_u32 v[6:7], s[18:19], v60, s5, v[4:5]
	v_mad_u64_u32 v[2:3], s[18:19], v62, s5, v[4:5]
	global_load_dword v87, v[6:7], off
	global_load_dword v187, v[2:3], off
	v_mad_u64_u32 v[2:3], s[18:19], v64, s5, v[4:5]
	v_mad_u64_u32 v[0:1], s[18:19], v68, s5, v[0:1]
	global_load_dword v188, v[2:3], off
	v_mad_u64_u32 v[2:3], s[18:19], v66, s5, v[4:5]
	v_lshl_add_u64 v[0:1], v[0:1], 0, s[0:1]
	global_load_dword v189, v[2:3], off
	v_mad_u64_u32 v[2:3], s[18:19], v72, s5, v[0:1]
	v_mad_u64_u32 v[6:7], s[18:19], v74, s5, v[0:1]
	;; [unrolled: 1-line block ×4, first 2 shown]
	v_lshl_add_u64 v[4:5], v[2:3], 0, v[70:71]
	global_load_dword v190, v[0:1], off offset:8
	global_load_dword v191, v[84:85], off offset:8
	;; [unrolled: 1-line block ×3, first 2 shown]
	global_load_dword v193, v[4:5], off
	global_load_dword v194, v[2:3], off offset:8
	v_lshl_add_u64 v[2:3], v[6:7], 0, v[70:71]
	global_load_dword v195, v[2:3], off
	v_lshl_add_u64 v[2:3], v[84:85], 0, v[70:71]
	global_load_dword v196, v[2:3], off
	s_waitcnt vmcnt(31)
	ds_write_b32 v61, v167
	s_waitcnt vmcnt(30)
	ds_write_b32 v63, v176
	;; [unrolled: 2-line block ×13, first 2 shown]
	v_lshl_add_u64 v[0:1], v[0:1], 0, v[70:71]
	s_lshl_b32 s18, s14, 3
	v_add_u32_e32 v167, s18, v82
	s_mov_b32 s19, 0
	s_mov_b32 s22, -2
	s_waitcnt vmcnt(15)
	v_cvt_f32_f16_e32 v2, v172
	ds_write_b32 v94, v169
	ds_write_b32 v95, v170
	ds_write_b32 v96, v171
	ds_write_b32 v98, v2
	global_load_dword v175, v[0:1], off
	v_add_u32_e32 v170, s18, v102
	v_add_u32_e32 v0, v170, v109
	;; [unrolled: 1-line block ×4, first 2 shown]
	s_waitcnt vmcnt(15)
	v_not_b32_e32 v2, v173
	ds_write_b32 v154, v2
	s_waitcnt vmcnt(14)
	v_not_b32_e32 v2, v185
	ds_write_b32 v155, v2
	v_add_u32_e32 v84, v170, v119
	s_waitcnt vmcnt(13)
	v_not_b32_e32 v2, v186
	ds_write_b32 v156, v2
	s_waitcnt vmcnt(12)
	v_not_b32_e32 v2, v86
	ds_write_b32 v157, v2
	v_mad_i64_i32 v[0:1], s[20:21], v0, 36, v[80:81]
	s_waitcnt vmcnt(11)
	v_not_b32_e32 v2, v87
	ds_write_b32 v158, v2
	s_waitcnt vmcnt(10)
	v_not_b32_e32 v2, v187
	ds_write_b32 v159, v2
	v_add_u32_e32 v2, v170, v112
	v_mad_i64_i32 v[2:3], s[20:21], v2, 36, v[80:81]
	v_mad_i64_i32 v[4:5], s[20:21], v4, 36, v[80:81]
	;; [unrolled: 1-line block ×4, first 2 shown]
	v_add_u32_e32 v86, v170, v121
	v_add_u32_e32 v168, v170, v123
	;; [unrolled: 1-line block ×3, first 2 shown]
	v_mad_i64_i32 v[86:87], s[20:21], v86, 36, v[80:81]
	v_mad_i64_i32 v[168:169], s[20:21], v168, 36, v[80:81]
	;; [unrolled: 1-line block ×3, first 2 shown]
	v_mad_u64_u32 v[172:173], s[20:21], v167, 36, s[2:3]
	global_load_dword v0, v[0:1], off offset:4
	s_nop 0
	global_load_dword v1, v[2:3], off offset:4
	s_nop 0
	global_load_dword v2, v[4:5], off offset:4
	global_load_dword v3, v[6:7], off offset:4
	s_nop 0
	global_load_dword v4, v[84:85], off offset:4
	global_load_dword v5, v[172:173], off
	global_load_dword v6, v[86:87], off offset:4
	global_load_dword v7, v[168:169], off offset:4
	s_nop 0
	global_load_dword v84, v[170:171], off offset:4
	s_waitcnt vmcnt(18)
	v_not_b32_e32 v174, v188
	s_waitcnt vmcnt(17)
	v_not_b32_e32 v85, v189
	ds_write_b32 v160, v174
	ds_write_b32 v161, v85
	s_waitcnt vmcnt(13)
	v_ashrrev_i32_e32 v85, v104, v193
	s_waitcnt vmcnt(12)
	v_ashrrev_i32_e32 v86, v105, v194
	v_and_b32_e32 v85, 0xf0f0f0f, v85
	v_lshlrev_b32_e32 v86, 4, v86
	v_and_or_b32 v85, v86, s15, v85
	v_lshlrev_b16_e32 v87, 8, v85
	v_and_b32_e32 v86, 0x3f00, v85
	v_add_u16_e32 v87, 0xe000, v87
	v_or_b32_sdwa v86, v86, v87 dst_sel:DWORD dst_unused:UNUSED_PAD src0_sel:DWORD src1_sel:BYTE_1
	v_and_b32_sdwa v87, v85, s16 dst_sel:DWORD dst_unused:UNUSED_PAD src0_sel:WORD_1 src1_sel:DWORD
	v_lshlrev_b16_sdwa v85, v166, v85 dst_sel:DWORD dst_unused:UNUSED_PAD src0_sel:DWORD src1_sel:WORD_1
	v_add_u16_e32 v85, 0xe000, v85
	v_or_b32_sdwa v85, v87, v85 dst_sel:DWORD dst_unused:UNUSED_PAD src0_sel:DWORD src1_sel:BYTE_1
	v_add_u16_e32 v86, 0xe000, v86
	v_add_u16_sdwa v85, v85, s17 dst_sel:WORD_1 dst_unused:UNUSED_PAD src0_sel:DWORD src1_sel:DWORD
	v_mov_b32_e32 v168, v110
	v_or_b32_e32 v85, v86, v85
	ds_write_b32 v162, v85
	s_waitcnt vmcnt(11)
	v_ashrrev_i32_e32 v85, v104, v195
	v_ashrrev_i32_e32 v86, v105, v192
	v_and_b32_e32 v85, 0xf0f0f0f, v85
	v_lshlrev_b32_e32 v86, 4, v86
	v_and_or_b32 v85, v86, s15, v85
	v_lshlrev_b16_e32 v87, 8, v85
	v_and_b32_e32 v86, 0x3f00, v85
	v_add_u16_e32 v87, 0xe000, v87
	v_or_b32_sdwa v86, v86, v87 dst_sel:DWORD dst_unused:UNUSED_PAD src0_sel:DWORD src1_sel:BYTE_1
	v_and_b32_sdwa v87, v85, s16 dst_sel:DWORD dst_unused:UNUSED_PAD src0_sel:WORD_1 src1_sel:DWORD
	v_lshlrev_b16_sdwa v85, v166, v85 dst_sel:DWORD dst_unused:UNUSED_PAD src0_sel:DWORD src1_sel:WORD_1
	v_add_u16_e32 v85, 0xe000, v85
	v_or_b32_sdwa v85, v87, v85 dst_sel:DWORD dst_unused:UNUSED_PAD src0_sel:DWORD src1_sel:BYTE_1
	v_add_u16_e32 v86, 0xe000, v86
	v_add_u16_sdwa v85, v85, s17 dst_sel:WORD_1 dst_unused:UNUSED_PAD src0_sel:DWORD src1_sel:DWORD
	v_mov_b32_e32 v169, v97
	v_or_b32_e32 v85, v86, v85
	ds_write_b32 v163, v85
	s_waitcnt vmcnt(10)
	v_ashrrev_i32_e32 v85, v104, v196
	v_ashrrev_i32_e32 v86, v105, v191
	v_and_b32_e32 v85, 0xf0f0f0f, v85
	v_lshlrev_b32_e32 v86, 4, v86
	v_and_or_b32 v85, v86, s15, v85
	v_lshlrev_b16_e32 v87, 8, v85
	v_and_b32_e32 v86, 0x3f00, v85
	v_add_u16_e32 v87, 0xe000, v87
	v_or_b32_sdwa v86, v86, v87 dst_sel:DWORD dst_unused:UNUSED_PAD src0_sel:DWORD src1_sel:BYTE_1
	v_and_b32_sdwa v87, v85, s16 dst_sel:DWORD dst_unused:UNUSED_PAD src0_sel:WORD_1 src1_sel:DWORD
	v_lshlrev_b16_sdwa v85, v166, v85 dst_sel:DWORD dst_unused:UNUSED_PAD src0_sel:DWORD src1_sel:WORD_1
	v_add_u16_e32 v85, 0xe000, v85
	v_or_b32_sdwa v85, v87, v85 dst_sel:DWORD dst_unused:UNUSED_PAD src0_sel:DWORD src1_sel:BYTE_1
	v_add_u16_e32 v86, 0xe000, v86
	v_add_u16_sdwa v85, v85, s17 dst_sel:WORD_1 dst_unused:UNUSED_PAD src0_sel:DWORD src1_sel:DWORD
	s_mov_b32 s20, 0
	v_or_b32_e32 v85, v86, v85
	ds_write_b32 v164, v85
	s_waitcnt vmcnt(9)
	v_ashrrev_i32_e32 v85, v104, v175
	v_ashrrev_i32_e32 v86, v105, v190
	v_and_b32_e32 v85, 0xf0f0f0f, v85
	v_lshlrev_b32_e32 v86, 4, v86
	v_and_or_b32 v85, v86, s15, v85
	v_lshlrev_b16_e32 v87, 8, v85
	v_and_b32_e32 v86, 0x3f00, v85
	v_add_u16_e32 v87, 0xe000, v87
	v_or_b32_sdwa v86, v86, v87 dst_sel:DWORD dst_unused:UNUSED_PAD src0_sel:DWORD src1_sel:BYTE_1
	v_and_b32_sdwa v87, v85, s16 dst_sel:DWORD dst_unused:UNUSED_PAD src0_sel:WORD_1 src1_sel:DWORD
	v_lshlrev_b16_sdwa v85, v166, v85 dst_sel:DWORD dst_unused:UNUSED_PAD src0_sel:DWORD src1_sel:WORD_1
	v_add_u16_e32 v85, 0xe000, v85
	v_or_b32_sdwa v85, v87, v85 dst_sel:DWORD dst_unused:UNUSED_PAD src0_sel:DWORD src1_sel:BYTE_1
	v_add_u16_e32 v86, 0xe000, v86
	v_add_u16_sdwa v85, v85, s17 dst_sel:WORD_1 dst_unused:UNUSED_PAD src0_sel:DWORD src1_sel:DWORD
	s_nop 0
	v_or_b32_e32 v85, v86, v85
	ds_write_b32 v165, v85
	s_waitcnt vmcnt(8)
	ds_write_b32 v111, v0
	s_waitcnt vmcnt(7)
	ds_write_b32 v113, v1
	s_waitcnt vmcnt(6)
	ds_write_b32 v116, v2
	s_waitcnt vmcnt(5)
	ds_write_b32 v118, v3
	s_waitcnt vmcnt(4)
	ds_write_b32 v120, v4
	s_waitcnt vmcnt(3)
	v_cvt_f32_f16_e32 v0, v5
	s_waitcnt vmcnt(2)
	ds_write_b32 v122, v6
	s_waitcnt vmcnt(1)
	ds_write_b32 v125, v7
	;; [unrolled: 2-line block ×3, first 2 shown]
	ds_write_b32 v108, v0
	s_waitcnt lgkmcnt(0)
	s_barrier
.LBB169_7:                              ;   Parent Loop BB169_6 Depth=1
                                        ; =>  This Inner Loop Header: Depth=2
	s_add_i32 s21, s22, 2
	s_and_b32 s23, s20, -16
	s_lshr_b32 s25, s21, 4
	v_add_u32_e32 v86, s23, v128
	s_and_b32 s24, s21, 0x3ffffff8
	s_lshl_b32 s23, s25, 3
	s_lshl_b32 s24, s24, 2
	v_add_lshl_u32 v180, v129, s23, 2
	v_add_u32_e32 v0, 0x9600, v169
	v_add_u32_e32 v87, s24, v130
	;; [unrolled: 1-line block ×3, first 2 shown]
	ds_read2_b32 v[84:85], v0 offset0:104 offset1:136
	ds_read_b128 v[4:7], v168 offset:25344
	ds_read_b128 v[0:3], v168 offset:25360
	ds_read2_b32 v[170:171], v87 offset1:1
	ds_read2_b32 v[172:173], v172 offset1:1
	s_lshl_b32 s25, s25, 2
	v_add_lshl_u32 v190, v132, s23, 2
	v_add_u32_e32 v183, 0x4200, v190
	s_waitcnt lgkmcnt(1)
	v_ashrrev_i32_e32 v170, s21, v170
	s_waitcnt lgkmcnt(0)
	v_ashrrev_i32_e32 v172, s19, v172
	v_lshlrev_b32_e32 v172, 2, v172
	v_and_b32_e32 v174, 0x3030303, v170
	v_bfe_u32 v170, v170, 24, 2
	v_and_b32_e32 v172, 0x4040404, v172
	v_ashrrev_i32_e32 v173, s19, v173
	v_sub_u16_e32 v175, v174, v172
	v_sub_u16_sdwa v176, v174, v172 dst_sel:BYTE_1 dst_unused:UNUSED_PAD src0_sel:BYTE_1 src1_sel:BYTE_1
	v_sub_u16_sdwa v170, v170, v172 dst_sel:BYTE_1 dst_unused:UNUSED_PAD src0_sel:DWORD src1_sel:BYTE_3
	v_sub_u16_sdwa v172, v174, v172 dst_sel:DWORD dst_unused:UNUSED_PAD src0_sel:WORD_1 src1_sel:WORD_1
	v_ashrrev_i32_e32 v171, s21, v171
	v_lshlrev_b32_e32 v173, 2, v173
	v_or_b32_sdwa v175, v175, v176 dst_sel:DWORD dst_unused:UNUSED_PAD src0_sel:BYTE_0 src1_sel:DWORD
	v_or_b32_sdwa v170, v172, v170 dst_sel:WORD_1 dst_unused:UNUSED_PAD src0_sel:BYTE_0 src1_sel:DWORD
	v_and_b32_e32 v172, 0x3030303, v171
	v_bfe_u32 v171, v171, 24, 2
	v_and_b32_e32 v173, 0x4040404, v173
	v_or_b32_sdwa v170, v175, v170 dst_sel:DWORD dst_unused:UNUSED_PAD src0_sel:WORD_0 src1_sel:DWORD
	v_sub_u16_e32 v174, v172, v173
	v_sub_u16_sdwa v175, v172, v173 dst_sel:BYTE_1 dst_unused:UNUSED_PAD src0_sel:BYTE_1 src1_sel:BYTE_1
	v_sub_u16_sdwa v171, v171, v173 dst_sel:BYTE_1 dst_unused:UNUSED_PAD src0_sel:DWORD src1_sel:BYTE_3
	v_sub_u16_sdwa v172, v172, v173 dst_sel:DWORD dst_unused:UNUSED_PAD src0_sel:WORD_1 src1_sel:WORD_1
	v_or_b32_sdwa v174, v174, v175 dst_sel:DWORD dst_unused:UNUSED_PAD src0_sel:BYTE_0 src1_sel:DWORD
	v_or_b32_sdwa v171, v172, v171 dst_sel:WORD_1 dst_unused:UNUSED_PAD src0_sel:BYTE_0 src1_sel:DWORD
	ds_read2_b32 v[172:173], v87 offset0:2 offset1:3
	v_or_b32_sdwa v171, v174, v171 dst_sel:DWORD dst_unused:UNUSED_PAD src0_sel:WORD_0 src1_sel:DWORD
	v_add_u32_e32 v174, 0x4208, v180
	ds_read2_b32 v[174:175], v174 offset1:1
	v_add_lshl_u32 v212, v138, s23, 2
	s_waitcnt lgkmcnt(1)
	v_ashrrev_i32_e32 v172, s21, v172
	v_and_b32_e32 v176, 0x3030303, v172
	v_bfe_u32 v172, v172, 24, 2
	s_waitcnt lgkmcnt(0)
	v_ashrrev_i32_e32 v174, s19, v174
	v_lshlrev_b32_e32 v174, 2, v174
	v_and_b32_e32 v174, 0x4040404, v174
	v_ashrrev_i32_e32 v175, s19, v175
	v_sub_u16_e32 v177, v176, v174
	v_sub_u16_sdwa v178, v176, v174 dst_sel:BYTE_1 dst_unused:UNUSED_PAD src0_sel:BYTE_1 src1_sel:BYTE_1
	v_sub_u16_sdwa v172, v172, v174 dst_sel:BYTE_1 dst_unused:UNUSED_PAD src0_sel:DWORD src1_sel:BYTE_3
	v_sub_u16_sdwa v174, v176, v174 dst_sel:DWORD dst_unused:UNUSED_PAD src0_sel:WORD_1 src1_sel:WORD_1
	v_ashrrev_i32_e32 v173, s21, v173
	v_lshlrev_b32_e32 v175, 2, v175
	v_or_b32_sdwa v177, v177, v178 dst_sel:DWORD dst_unused:UNUSED_PAD src0_sel:BYTE_0 src1_sel:DWORD
	v_or_b32_sdwa v172, v174, v172 dst_sel:WORD_1 dst_unused:UNUSED_PAD src0_sel:BYTE_0 src1_sel:DWORD
	v_and_b32_e32 v174, 0x3030303, v173
	v_bfe_u32 v173, v173, 24, 2
	v_and_b32_e32 v175, 0x4040404, v175
	v_or_b32_sdwa v172, v177, v172 dst_sel:DWORD dst_unused:UNUSED_PAD src0_sel:WORD_0 src1_sel:DWORD
	v_sub_u16_e32 v176, v174, v175
	v_sub_u16_sdwa v177, v174, v175 dst_sel:BYTE_1 dst_unused:UNUSED_PAD src0_sel:BYTE_1 src1_sel:BYTE_1
	v_sub_u16_sdwa v173, v173, v175 dst_sel:BYTE_1 dst_unused:UNUSED_PAD src0_sel:DWORD src1_sel:BYTE_3
	v_sub_u16_sdwa v174, v174, v175 dst_sel:DWORD dst_unused:UNUSED_PAD src0_sel:WORD_1 src1_sel:WORD_1
	v_or_b32_sdwa v176, v176, v177 dst_sel:DWORD dst_unused:UNUSED_PAD src0_sel:BYTE_0 src1_sel:DWORD
	v_or_b32_sdwa v173, v174, v173 dst_sel:WORD_1 dst_unused:UNUSED_PAD src0_sel:BYTE_0 src1_sel:DWORD
	ds_read2_b32 v[174:175], v87 offset0:4 offset1:5
	v_or_b32_sdwa v173, v176, v173 dst_sel:DWORD dst_unused:UNUSED_PAD src0_sel:WORD_0 src1_sel:DWORD
	v_add_u32_e32 v176, 0x4210, v180
	ds_read2_b32 v[176:177], v176 offset1:1
	ds_read2_b32 v[186:187], v183 offset1:1
	s_waitcnt lgkmcnt(2)
	v_ashrrev_i32_e32 v174, s21, v174
	v_and_b32_e32 v178, 0x3030303, v174
	v_bfe_u32 v174, v174, 24, 2
	s_waitcnt lgkmcnt(1)
	v_ashrrev_i32_e32 v176, s19, v176
	v_lshlrev_b32_e32 v176, 2, v176
	v_and_b32_e32 v176, 0x4040404, v176
	v_ashrrev_i32_e32 v177, s19, v177
	v_sub_u16_e32 v179, v178, v176
	v_sub_u16_sdwa v181, v178, v176 dst_sel:BYTE_1 dst_unused:UNUSED_PAD src0_sel:BYTE_1 src1_sel:BYTE_1
	v_sub_u16_sdwa v174, v174, v176 dst_sel:BYTE_1 dst_unused:UNUSED_PAD src0_sel:DWORD src1_sel:BYTE_3
	v_sub_u16_sdwa v176, v178, v176 dst_sel:DWORD dst_unused:UNUSED_PAD src0_sel:WORD_1 src1_sel:WORD_1
	v_ashrrev_i32_e32 v175, s21, v175
	v_lshlrev_b32_e32 v177, 2, v177
	v_or_b32_sdwa v179, v179, v181 dst_sel:DWORD dst_unused:UNUSED_PAD src0_sel:BYTE_0 src1_sel:DWORD
	v_or_b32_sdwa v174, v176, v174 dst_sel:WORD_1 dst_unused:UNUSED_PAD src0_sel:BYTE_0 src1_sel:DWORD
	v_and_b32_e32 v176, 0x3030303, v175
	v_bfe_u32 v175, v175, 24, 2
	v_and_b32_e32 v177, 0x4040404, v177
	v_or_b32_sdwa v174, v179, v174 dst_sel:DWORD dst_unused:UNUSED_PAD src0_sel:WORD_0 src1_sel:DWORD
	v_sub_u16_e32 v178, v176, v177
	v_sub_u16_sdwa v179, v176, v177 dst_sel:BYTE_1 dst_unused:UNUSED_PAD src0_sel:BYTE_1 src1_sel:BYTE_1
	v_sub_u16_sdwa v175, v175, v177 dst_sel:BYTE_1 dst_unused:UNUSED_PAD src0_sel:DWORD src1_sel:BYTE_3
	v_sub_u16_sdwa v176, v176, v177 dst_sel:DWORD dst_unused:UNUSED_PAD src0_sel:WORD_1 src1_sel:WORD_1
	v_or_b32_sdwa v178, v178, v179 dst_sel:DWORD dst_unused:UNUSED_PAD src0_sel:BYTE_0 src1_sel:DWORD
	v_or_b32_sdwa v175, v176, v175 dst_sel:WORD_1 dst_unused:UNUSED_PAD src0_sel:BYTE_0 src1_sel:DWORD
	v_add_u32_e32 v177, 0x4218, v180
	v_or_b32_sdwa v176, v178, v175 dst_sel:DWORD dst_unused:UNUSED_PAD src0_sel:WORD_0 src1_sel:DWORD
	ds_read2_b32 v[178:179], v87 offset0:6 offset1:7
	ds_read2_b32 v[180:181], v177 offset1:1
	s_waitcnt lgkmcnt(2)
	v_ashrrev_i32_e32 v183, s19, v186
	v_lshlrev_b32_e32 v183, 2, v183
	v_and_b32_e32 v183, 0x4040404, v183
	s_waitcnt lgkmcnt(1)
	v_ashrrev_i32_e32 v87, s21, v178
	s_waitcnt lgkmcnt(0)
	v_ashrrev_i32_e32 v177, s19, v180
	v_lshlrev_b32_e32 v177, 2, v177
	v_and_b32_e32 v175, 0x3030303, v87
	v_bfe_u32 v87, v87, 24, 2
	v_and_b32_e32 v177, 0x4040404, v177
	v_sub_u16_e32 v178, v175, v177
	v_sub_u16_sdwa v180, v175, v177 dst_sel:BYTE_1 dst_unused:UNUSED_PAD src0_sel:BYTE_1 src1_sel:BYTE_1
	v_sub_u16_sdwa v87, v87, v177 dst_sel:BYTE_1 dst_unused:UNUSED_PAD src0_sel:DWORD src1_sel:BYTE_3
	v_sub_u16_sdwa v175, v175, v177 dst_sel:DWORD dst_unused:UNUSED_PAD src0_sel:WORD_1 src1_sel:WORD_1
	v_or_b32_sdwa v178, v178, v180 dst_sel:DWORD dst_unused:UNUSED_PAD src0_sel:BYTE_0 src1_sel:DWORD
	v_or_b32_sdwa v87, v175, v87 dst_sel:WORD_1 dst_unused:UNUSED_PAD src0_sel:BYTE_0 src1_sel:DWORD
	v_add_lshl_u32 v202, v135, s23, 2
	v_or_b32_sdwa v177, v178, v87 dst_sel:DWORD dst_unused:UNUSED_PAD src0_sel:WORD_0 src1_sel:DWORD
	v_ashrrev_i32_e32 v178, s19, v181
	v_ashrrev_i32_e32 v87, s21, v179
	v_lshlrev_b32_e32 v178, 2, v178
	v_and_b32_e32 v175, 0x3030303, v87
	v_bfe_u32 v87, v87, 24, 2
	v_and_b32_e32 v178, 0x4040404, v178
	v_sub_u16_e32 v179, v175, v178
	v_sub_u16_sdwa v180, v175, v178 dst_sel:BYTE_1 dst_unused:UNUSED_PAD src0_sel:BYTE_1 src1_sel:BYTE_1
	v_sub_u16_sdwa v87, v87, v178 dst_sel:BYTE_1 dst_unused:UNUSED_PAD src0_sel:DWORD src1_sel:BYTE_3
	v_sub_u16_sdwa v175, v175, v178 dst_sel:DWORD dst_unused:UNUSED_PAD src0_sel:WORD_1 src1_sel:WORD_1
	v_or_b32_sdwa v179, v179, v180 dst_sel:DWORD dst_unused:UNUSED_PAD src0_sel:BYTE_0 src1_sel:DWORD
	v_or_b32_sdwa v87, v175, v87 dst_sel:WORD_1 dst_unused:UNUSED_PAD src0_sel:BYTE_0 src1_sel:DWORD
	v_add_u32_e32 v175, s25, v131
	v_or_b32_sdwa v178, v179, v87 dst_sel:DWORD dst_unused:UNUSED_PAD src0_sel:WORD_0 src1_sel:DWORD
	v_add3_u32 v87, v145, s22, v86
	ds_read_b32 v175, v175
	ds_read_u16 v87, v87 offset:8194
	v_mov_b32_e32 v179, 0
	v_dot4c_i32_i8_e32 v179, v170, v4
	v_dot4c_i32_i8_e32 v179, v171, v5
	;; [unrolled: 1-line block ×3, first 2 shown]
	s_waitcnt lgkmcnt(0)
	v_lshrrev_b16_e32 v181, 8, v87
	v_bfe_i32 v180, v87, 0, 8
	v_mov_b32_e32 v87, 0
	v_dot4c_i32_i8_e32 v87, v174, v0
	v_dot4c_i32_i8_e32 v87, v176, v1
	;; [unrolled: 1-line block ×5, first 2 shown]
	v_bfe_i32 v182, v181, 0, 8
	v_mul_lo_u32 v184, v179, v180
	v_add_u32_e32 v206, 0x4200, v212
	v_mad_u64_u32 v[184:185], s[26:27], v87, v182, v[184:185]
	v_cvt_f32_i32_e32 v179, v184
	v_mul_f32_e32 v87, v84, v175
	ds_read2_b32 v[206:207], v206 offset1:1
	s_add_i32 s20, s20, 2
	v_fmac_f32_e32 v124, v87, v179
	v_add_u32_e32 v87, s24, v133
	ds_read2_b32 v[184:185], v87 offset1:1
	s_waitcnt lgkmcnt(1)
	v_ashrrev_i32_e32 v206, s19, v206
	v_lshlrev_b32_e32 v206, 2, v206
	v_and_b32_e32 v206, 0x4040404, v206
	s_waitcnt lgkmcnt(0)
	v_ashrrev_i32_e32 v179, s21, v184
	v_and_b32_e32 v181, 0x3030303, v179
	v_bfe_u32 v179, v179, 24, 2
	v_sub_u16_e32 v184, v181, v183
	v_sub_u16_sdwa v186, v181, v183 dst_sel:BYTE_1 dst_unused:UNUSED_PAD src0_sel:BYTE_1 src1_sel:BYTE_1
	v_sub_u16_sdwa v179, v179, v183 dst_sel:BYTE_1 dst_unused:UNUSED_PAD src0_sel:DWORD src1_sel:BYTE_3
	v_sub_u16_sdwa v181, v181, v183 dst_sel:DWORD dst_unused:UNUSED_PAD src0_sel:WORD_1 src1_sel:WORD_1
	v_or_b32_sdwa v184, v184, v186 dst_sel:DWORD dst_unused:UNUSED_PAD src0_sel:BYTE_0 src1_sel:DWORD
	v_or_b32_sdwa v179, v181, v179 dst_sel:WORD_1 dst_unused:UNUSED_PAD src0_sel:BYTE_0 src1_sel:DWORD
	v_ashrrev_i32_e32 v181, s21, v185
	v_or_b32_sdwa v179, v184, v179 dst_sel:DWORD dst_unused:UNUSED_PAD src0_sel:WORD_0 src1_sel:DWORD
	v_ashrrev_i32_e32 v184, s19, v187
	v_lshlrev_b32_e32 v184, 2, v184
	v_and_b32_e32 v183, 0x3030303, v181
	v_bfe_u32 v181, v181, 24, 2
	v_and_b32_e32 v184, 0x4040404, v184
	v_sub_u16_e32 v185, v183, v184
	v_sub_u16_sdwa v186, v183, v184 dst_sel:BYTE_1 dst_unused:UNUSED_PAD src0_sel:BYTE_1 src1_sel:BYTE_1
	v_sub_u16_sdwa v181, v181, v184 dst_sel:BYTE_1 dst_unused:UNUSED_PAD src0_sel:DWORD src1_sel:BYTE_3
	v_sub_u16_sdwa v183, v183, v184 dst_sel:DWORD dst_unused:UNUSED_PAD src0_sel:WORD_1 src1_sel:WORD_1
	v_or_b32_sdwa v185, v185, v186 dst_sel:DWORD dst_unused:UNUSED_PAD src0_sel:BYTE_0 src1_sel:DWORD
	v_or_b32_sdwa v181, v183, v181 dst_sel:WORD_1 dst_unused:UNUSED_PAD src0_sel:BYTE_0 src1_sel:DWORD
	v_add_u32_e32 v186, 0x4208, v190
	v_or_b32_sdwa v181, v185, v181 dst_sel:DWORD dst_unused:UNUSED_PAD src0_sel:WORD_0 src1_sel:DWORD
	ds_read2_b32 v[184:185], v87 offset0:2 offset1:3
	ds_read2_b32 v[186:187], v186 offset1:1
	s_waitcnt lgkmcnt(1)
	v_ashrrev_i32_e32 v183, s21, v184
	s_waitcnt lgkmcnt(0)
	v_ashrrev_i32_e32 v186, s19, v186
	v_lshlrev_b32_e32 v186, 2, v186
	v_and_b32_e32 v184, 0x3030303, v183
	v_bfe_u32 v183, v183, 24, 2
	v_and_b32_e32 v186, 0x4040404, v186
	v_sub_u16_e32 v188, v184, v186
	v_sub_u16_sdwa v189, v184, v186 dst_sel:BYTE_1 dst_unused:UNUSED_PAD src0_sel:BYTE_1 src1_sel:BYTE_1
	v_sub_u16_sdwa v183, v183, v186 dst_sel:BYTE_1 dst_unused:UNUSED_PAD src0_sel:DWORD src1_sel:BYTE_3
	v_sub_u16_sdwa v184, v184, v186 dst_sel:DWORD dst_unused:UNUSED_PAD src0_sel:WORD_1 src1_sel:WORD_1
	v_ashrrev_i32_e32 v186, s19, v187
	v_or_b32_sdwa v183, v184, v183 dst_sel:WORD_1 dst_unused:UNUSED_PAD src0_sel:BYTE_0 src1_sel:DWORD
	v_ashrrev_i32_e32 v184, s21, v185
	v_lshlrev_b32_e32 v186, 2, v186
	v_or_b32_sdwa v188, v188, v189 dst_sel:DWORD dst_unused:UNUSED_PAD src0_sel:BYTE_0 src1_sel:DWORD
	v_and_b32_e32 v185, 0x3030303, v184
	v_bfe_u32 v184, v184, 24, 2
	v_and_b32_e32 v186, 0x4040404, v186
	v_or_b32_sdwa v183, v188, v183 dst_sel:DWORD dst_unused:UNUSED_PAD src0_sel:WORD_0 src1_sel:DWORD
	v_sub_u16_e32 v187, v185, v186
	v_sub_u16_sdwa v188, v185, v186 dst_sel:BYTE_1 dst_unused:UNUSED_PAD src0_sel:BYTE_1 src1_sel:BYTE_1
	v_sub_u16_sdwa v184, v184, v186 dst_sel:BYTE_1 dst_unused:UNUSED_PAD src0_sel:DWORD src1_sel:BYTE_3
	v_sub_u16_sdwa v185, v185, v186 dst_sel:DWORD dst_unused:UNUSED_PAD src0_sel:WORD_1 src1_sel:WORD_1
	v_or_b32_sdwa v187, v187, v188 dst_sel:DWORD dst_unused:UNUSED_PAD src0_sel:BYTE_0 src1_sel:DWORD
	v_or_b32_sdwa v184, v185, v184 dst_sel:WORD_1 dst_unused:UNUSED_PAD src0_sel:BYTE_0 src1_sel:DWORD
	v_add_u32_e32 v188, 0x4210, v190
	v_or_b32_sdwa v184, v187, v184 dst_sel:DWORD dst_unused:UNUSED_PAD src0_sel:WORD_0 src1_sel:DWORD
	ds_read2_b32 v[186:187], v87 offset0:4 offset1:5
	ds_read2_b32 v[188:189], v188 offset1:1
	s_waitcnt lgkmcnt(1)
	v_ashrrev_i32_e32 v185, s21, v186
	s_waitcnt lgkmcnt(0)
	v_ashrrev_i32_e32 v188, s19, v188
	v_lshlrev_b32_e32 v188, 2, v188
	v_and_b32_e32 v186, 0x3030303, v185
	v_bfe_u32 v185, v185, 24, 2
	v_and_b32_e32 v188, 0x4040404, v188
	v_sub_u16_e32 v191, v186, v188
	v_sub_u16_sdwa v192, v186, v188 dst_sel:BYTE_1 dst_unused:UNUSED_PAD src0_sel:BYTE_1 src1_sel:BYTE_1
	v_sub_u16_sdwa v185, v185, v188 dst_sel:BYTE_1 dst_unused:UNUSED_PAD src0_sel:DWORD src1_sel:BYTE_3
	v_sub_u16_sdwa v186, v186, v188 dst_sel:DWORD dst_unused:UNUSED_PAD src0_sel:WORD_1 src1_sel:WORD_1
	v_ashrrev_i32_e32 v188, s19, v189
	v_or_b32_sdwa v185, v186, v185 dst_sel:WORD_1 dst_unused:UNUSED_PAD src0_sel:BYTE_0 src1_sel:DWORD
	v_ashrrev_i32_e32 v186, s21, v187
	v_lshlrev_b32_e32 v188, 2, v188
	v_or_b32_sdwa v191, v191, v192 dst_sel:DWORD dst_unused:UNUSED_PAD src0_sel:BYTE_0 src1_sel:DWORD
	v_and_b32_e32 v187, 0x3030303, v186
	v_bfe_u32 v186, v186, 24, 2
	v_and_b32_e32 v188, 0x4040404, v188
	v_or_b32_sdwa v185, v191, v185 dst_sel:DWORD dst_unused:UNUSED_PAD src0_sel:WORD_0 src1_sel:DWORD
	v_sub_u16_e32 v189, v187, v188
	v_sub_u16_sdwa v191, v187, v188 dst_sel:BYTE_1 dst_unused:UNUSED_PAD src0_sel:BYTE_1 src1_sel:BYTE_1
	v_sub_u16_sdwa v186, v186, v188 dst_sel:BYTE_1 dst_unused:UNUSED_PAD src0_sel:DWORD src1_sel:BYTE_3
	v_sub_u16_sdwa v187, v187, v188 dst_sel:DWORD dst_unused:UNUSED_PAD src0_sel:WORD_1 src1_sel:WORD_1
	v_or_b32_sdwa v189, v189, v191 dst_sel:DWORD dst_unused:UNUSED_PAD src0_sel:BYTE_0 src1_sel:DWORD
	v_or_b32_sdwa v186, v187, v186 dst_sel:WORD_1 dst_unused:UNUSED_PAD src0_sel:BYTE_0 src1_sel:DWORD
	s_nop 0
	v_or_b32_sdwa v187, v189, v186 dst_sel:DWORD dst_unused:UNUSED_PAD src0_sel:WORD_0 src1_sel:DWORD
	ds_read2_b32 v[188:189], v87 offset0:6 offset1:7
	s_waitcnt lgkmcnt(0)
	v_ashrrev_i32_e32 v87, s21, v188
	v_add_u32_e32 v188, 0x4218, v190
	ds_read2_b32 v[190:191], v188 offset1:1
	v_and_b32_e32 v186, 0x3030303, v87
	v_bfe_u32 v87, v87, 24, 2
	s_waitcnt lgkmcnt(0)
	v_ashrrev_i32_e32 v188, s19, v190
	v_lshlrev_b32_e32 v188, 2, v188
	v_and_b32_e32 v188, 0x4040404, v188
	v_sub_u16_e32 v190, v186, v188
	v_sub_u16_sdwa v192, v186, v188 dst_sel:BYTE_1 dst_unused:UNUSED_PAD src0_sel:BYTE_1 src1_sel:BYTE_1
	v_sub_u16_sdwa v87, v87, v188 dst_sel:BYTE_1 dst_unused:UNUSED_PAD src0_sel:DWORD src1_sel:BYTE_3
	v_sub_u16_sdwa v186, v186, v188 dst_sel:DWORD dst_unused:UNUSED_PAD src0_sel:WORD_1 src1_sel:WORD_1
	v_or_b32_sdwa v190, v190, v192 dst_sel:DWORD dst_unused:UNUSED_PAD src0_sel:BYTE_0 src1_sel:DWORD
	v_or_b32_sdwa v87, v186, v87 dst_sel:WORD_1 dst_unused:UNUSED_PAD src0_sel:BYTE_0 src1_sel:DWORD
	s_nop 0
	v_or_b32_sdwa v188, v190, v87 dst_sel:DWORD dst_unused:UNUSED_PAD src0_sel:WORD_0 src1_sel:DWORD
	v_ashrrev_i32_e32 v87, s21, v189
	v_ashrrev_i32_e32 v189, s19, v191
	v_lshlrev_b32_e32 v189, 2, v189
	v_and_b32_e32 v186, 0x3030303, v87
	v_bfe_u32 v87, v87, 24, 2
	v_and_b32_e32 v189, 0x4040404, v189
	v_sub_u16_e32 v190, v186, v189
	v_sub_u16_sdwa v191, v186, v189 dst_sel:BYTE_1 dst_unused:UNUSED_PAD src0_sel:BYTE_1 src1_sel:BYTE_1
	v_sub_u16_sdwa v87, v87, v189 dst_sel:BYTE_1 dst_unused:UNUSED_PAD src0_sel:DWORD src1_sel:BYTE_3
	v_sub_u16_sdwa v186, v186, v189 dst_sel:DWORD dst_unused:UNUSED_PAD src0_sel:WORD_1 src1_sel:WORD_1
	v_or_b32_sdwa v190, v190, v191 dst_sel:DWORD dst_unused:UNUSED_PAD src0_sel:BYTE_0 src1_sel:DWORD
	v_or_b32_sdwa v87, v186, v87 dst_sel:WORD_1 dst_unused:UNUSED_PAD src0_sel:BYTE_0 src1_sel:DWORD
	v_add_u32_e32 v186, s25, v134
	v_or_b32_sdwa v189, v190, v87 dst_sel:DWORD dst_unused:UNUSED_PAD src0_sel:WORD_0 src1_sel:DWORD
	v_add3_u32 v87, v147, s22, v86
	ds_read_b32 v186, v186
	ds_read_u16 v87, v87 offset:9218
	v_mov_b32_e32 v191, 0
	v_dot4c_i32_i8_e32 v191, v179, v4
	v_dot4c_i32_i8_e32 v191, v181, v5
	;; [unrolled: 1-line block ×3, first 2 shown]
	s_waitcnt lgkmcnt(0)
	v_lshrrev_b16_e32 v193, 8, v87
	v_bfe_i32 v190, v87, 0, 8
	v_mov_b32_e32 v87, 0
	v_dot4c_i32_i8_e32 v87, v185, v0
	v_dot4c_i32_i8_e32 v87, v187, v1
	;; [unrolled: 1-line block ×5, first 2 shown]
	v_bfe_i32 v193, v193, 0, 8
	v_mul_lo_u32 v192, v191, v190
	s_nop 0
	v_mad_u64_u32 v[194:195], s[26:27], v87, v193, v[192:193]
	v_cvt_f32_i32_e32 v191, v194
	v_mul_f32_e32 v87, v84, v186
	v_fmac_f32_e32 v114, v87, v191
	v_add_u32_e32 v87, s24, v136
	ds_read2_b32 v[194:195], v87 offset1:1
	s_waitcnt lgkmcnt(0)
	v_ashrrev_i32_e32 v191, s21, v194
	v_add_u32_e32 v194, 0x4200, v202
	ds_read2_b32 v[196:197], v194 offset1:1
	v_and_b32_e32 v192, 0x3030303, v191
	v_bfe_u32 v191, v191, 24, 2
	s_waitcnt lgkmcnt(0)
	v_ashrrev_i32_e32 v194, s19, v196
	v_lshlrev_b32_e32 v194, 2, v194
	v_and_b32_e32 v194, 0x4040404, v194
	v_sub_u16_e32 v196, v192, v194
	v_sub_u16_sdwa v198, v192, v194 dst_sel:BYTE_1 dst_unused:UNUSED_PAD src0_sel:BYTE_1 src1_sel:BYTE_1
	v_sub_u16_sdwa v191, v191, v194 dst_sel:BYTE_1 dst_unused:UNUSED_PAD src0_sel:DWORD src1_sel:BYTE_3
	v_sub_u16_sdwa v192, v192, v194 dst_sel:DWORD dst_unused:UNUSED_PAD src0_sel:WORD_1 src1_sel:WORD_1
	v_or_b32_sdwa v191, v192, v191 dst_sel:WORD_1 dst_unused:UNUSED_PAD src0_sel:BYTE_0 src1_sel:DWORD
	v_ashrrev_i32_e32 v192, s21, v195
	v_ashrrev_i32_e32 v195, s19, v197
	v_lshlrev_b32_e32 v195, 2, v195
	v_or_b32_sdwa v196, v196, v198 dst_sel:DWORD dst_unused:UNUSED_PAD src0_sel:BYTE_0 src1_sel:DWORD
	v_and_b32_e32 v194, 0x3030303, v192
	v_bfe_u32 v192, v192, 24, 2
	v_and_b32_e32 v195, 0x4040404, v195
	v_or_b32_sdwa v191, v196, v191 dst_sel:DWORD dst_unused:UNUSED_PAD src0_sel:WORD_0 src1_sel:DWORD
	v_sub_u16_e32 v196, v194, v195
	v_sub_u16_sdwa v197, v194, v195 dst_sel:BYTE_1 dst_unused:UNUSED_PAD src0_sel:BYTE_1 src1_sel:BYTE_1
	v_sub_u16_sdwa v192, v192, v195 dst_sel:BYTE_1 dst_unused:UNUSED_PAD src0_sel:DWORD src1_sel:BYTE_3
	v_sub_u16_sdwa v194, v194, v195 dst_sel:DWORD dst_unused:UNUSED_PAD src0_sel:WORD_1 src1_sel:WORD_1
	v_or_b32_sdwa v196, v196, v197 dst_sel:DWORD dst_unused:UNUSED_PAD src0_sel:BYTE_0 src1_sel:DWORD
	v_or_b32_sdwa v192, v194, v192 dst_sel:WORD_1 dst_unused:UNUSED_PAD src0_sel:BYTE_0 src1_sel:DWORD
	ds_read2_b32 v[194:195], v87 offset0:2 offset1:3
	v_or_b32_sdwa v192, v196, v192 dst_sel:DWORD dst_unused:UNUSED_PAD src0_sel:WORD_0 src1_sel:DWORD
	v_add_u32_e32 v196, 0x4208, v202
	ds_read2_b32 v[196:197], v196 offset1:1
	s_waitcnt lgkmcnt(1)
	v_ashrrev_i32_e32 v194, s21, v194
	v_and_b32_e32 v198, 0x3030303, v194
	v_bfe_u32 v194, v194, 24, 2
	s_waitcnt lgkmcnt(0)
	v_ashrrev_i32_e32 v196, s19, v196
	v_lshlrev_b32_e32 v196, 2, v196
	v_and_b32_e32 v196, 0x4040404, v196
	v_ashrrev_i32_e32 v197, s19, v197
	v_sub_u16_e32 v199, v198, v196
	v_sub_u16_sdwa v200, v198, v196 dst_sel:BYTE_1 dst_unused:UNUSED_PAD src0_sel:BYTE_1 src1_sel:BYTE_1
	v_sub_u16_sdwa v194, v194, v196 dst_sel:BYTE_1 dst_unused:UNUSED_PAD src0_sel:DWORD src1_sel:BYTE_3
	v_sub_u16_sdwa v196, v198, v196 dst_sel:DWORD dst_unused:UNUSED_PAD src0_sel:WORD_1 src1_sel:WORD_1
	v_ashrrev_i32_e32 v195, s21, v195
	v_lshlrev_b32_e32 v197, 2, v197
	v_or_b32_sdwa v199, v199, v200 dst_sel:DWORD dst_unused:UNUSED_PAD src0_sel:BYTE_0 src1_sel:DWORD
	v_or_b32_sdwa v194, v196, v194 dst_sel:WORD_1 dst_unused:UNUSED_PAD src0_sel:BYTE_0 src1_sel:DWORD
	v_and_b32_e32 v196, 0x3030303, v195
	v_bfe_u32 v195, v195, 24, 2
	v_and_b32_e32 v197, 0x4040404, v197
	v_or_b32_sdwa v194, v199, v194 dst_sel:DWORD dst_unused:UNUSED_PAD src0_sel:WORD_0 src1_sel:DWORD
	v_sub_u16_e32 v198, v196, v197
	v_sub_u16_sdwa v199, v196, v197 dst_sel:BYTE_1 dst_unused:UNUSED_PAD src0_sel:BYTE_1 src1_sel:BYTE_1
	v_sub_u16_sdwa v195, v195, v197 dst_sel:BYTE_1 dst_unused:UNUSED_PAD src0_sel:DWORD src1_sel:BYTE_3
	v_sub_u16_sdwa v196, v196, v197 dst_sel:DWORD dst_unused:UNUSED_PAD src0_sel:WORD_1 src1_sel:WORD_1
	v_or_b32_sdwa v198, v198, v199 dst_sel:DWORD dst_unused:UNUSED_PAD src0_sel:BYTE_0 src1_sel:DWORD
	v_or_b32_sdwa v195, v196, v195 dst_sel:WORD_1 dst_unused:UNUSED_PAD src0_sel:BYTE_0 src1_sel:DWORD
	ds_read2_b32 v[196:197], v87 offset0:4 offset1:5
	v_or_b32_sdwa v195, v198, v195 dst_sel:DWORD dst_unused:UNUSED_PAD src0_sel:WORD_0 src1_sel:DWORD
	v_add_u32_e32 v198, 0x4210, v202
	ds_read2_b32 v[198:199], v198 offset1:1
	s_waitcnt lgkmcnt(1)
	v_ashrrev_i32_e32 v196, s21, v196
	v_and_b32_e32 v200, 0x3030303, v196
	v_bfe_u32 v196, v196, 24, 2
	s_waitcnt lgkmcnt(0)
	v_ashrrev_i32_e32 v198, s19, v198
	v_lshlrev_b32_e32 v198, 2, v198
	v_and_b32_e32 v198, 0x4040404, v198
	v_ashrrev_i32_e32 v199, s19, v199
	v_sub_u16_e32 v201, v200, v198
	v_sub_u16_sdwa v203, v200, v198 dst_sel:BYTE_1 dst_unused:UNUSED_PAD src0_sel:BYTE_1 src1_sel:BYTE_1
	v_sub_u16_sdwa v196, v196, v198 dst_sel:BYTE_1 dst_unused:UNUSED_PAD src0_sel:DWORD src1_sel:BYTE_3
	v_sub_u16_sdwa v198, v200, v198 dst_sel:DWORD dst_unused:UNUSED_PAD src0_sel:WORD_1 src1_sel:WORD_1
	v_ashrrev_i32_e32 v197, s21, v197
	v_lshlrev_b32_e32 v199, 2, v199
	v_or_b32_sdwa v201, v201, v203 dst_sel:DWORD dst_unused:UNUSED_PAD src0_sel:BYTE_0 src1_sel:DWORD
	v_or_b32_sdwa v196, v198, v196 dst_sel:WORD_1 dst_unused:UNUSED_PAD src0_sel:BYTE_0 src1_sel:DWORD
	v_and_b32_e32 v198, 0x3030303, v197
	v_bfe_u32 v197, v197, 24, 2
	v_and_b32_e32 v199, 0x4040404, v199
	v_or_b32_sdwa v196, v201, v196 dst_sel:DWORD dst_unused:UNUSED_PAD src0_sel:WORD_0 src1_sel:DWORD
	v_sub_u16_e32 v200, v198, v199
	v_sub_u16_sdwa v201, v198, v199 dst_sel:BYTE_1 dst_unused:UNUSED_PAD src0_sel:BYTE_1 src1_sel:BYTE_1
	v_sub_u16_sdwa v197, v197, v199 dst_sel:BYTE_1 dst_unused:UNUSED_PAD src0_sel:DWORD src1_sel:BYTE_3
	v_sub_u16_sdwa v198, v198, v199 dst_sel:DWORD dst_unused:UNUSED_PAD src0_sel:WORD_1 src1_sel:WORD_1
	v_or_b32_sdwa v200, v200, v201 dst_sel:DWORD dst_unused:UNUSED_PAD src0_sel:BYTE_0 src1_sel:DWORD
	v_or_b32_sdwa v197, v198, v197 dst_sel:WORD_1 dst_unused:UNUSED_PAD src0_sel:BYTE_0 src1_sel:DWORD
	v_add_u32_e32 v199, 0x4218, v202
	v_or_b32_sdwa v198, v200, v197 dst_sel:DWORD dst_unused:UNUSED_PAD src0_sel:WORD_0 src1_sel:DWORD
	ds_read2_b32 v[200:201], v87 offset0:6 offset1:7
	ds_read2_b32 v[202:203], v199 offset1:1
	s_waitcnt lgkmcnt(1)
	v_ashrrev_i32_e32 v87, s21, v200
	s_waitcnt lgkmcnt(0)
	v_ashrrev_i32_e32 v199, s19, v202
	v_lshlrev_b32_e32 v199, 2, v199
	v_and_b32_e32 v197, 0x3030303, v87
	v_bfe_u32 v87, v87, 24, 2
	v_and_b32_e32 v199, 0x4040404, v199
	v_sub_u16_e32 v200, v197, v199
	v_sub_u16_sdwa v202, v197, v199 dst_sel:BYTE_1 dst_unused:UNUSED_PAD src0_sel:BYTE_1 src1_sel:BYTE_1
	v_sub_u16_sdwa v87, v87, v199 dst_sel:BYTE_1 dst_unused:UNUSED_PAD src0_sel:DWORD src1_sel:BYTE_3
	v_sub_u16_sdwa v197, v197, v199 dst_sel:DWORD dst_unused:UNUSED_PAD src0_sel:WORD_1 src1_sel:WORD_1
	v_or_b32_sdwa v200, v200, v202 dst_sel:DWORD dst_unused:UNUSED_PAD src0_sel:BYTE_0 src1_sel:DWORD
	v_or_b32_sdwa v87, v197, v87 dst_sel:WORD_1 dst_unused:UNUSED_PAD src0_sel:BYTE_0 src1_sel:DWORD
	s_nop 0
	v_or_b32_sdwa v199, v200, v87 dst_sel:DWORD dst_unused:UNUSED_PAD src0_sel:WORD_0 src1_sel:DWORD
	v_ashrrev_i32_e32 v200, s19, v203
	v_ashrrev_i32_e32 v87, s21, v201
	v_lshlrev_b32_e32 v200, 2, v200
	v_and_b32_e32 v197, 0x3030303, v87
	v_bfe_u32 v87, v87, 24, 2
	v_and_b32_e32 v200, 0x4040404, v200
	v_sub_u16_e32 v201, v197, v200
	v_sub_u16_sdwa v202, v197, v200 dst_sel:BYTE_1 dst_unused:UNUSED_PAD src0_sel:BYTE_1 src1_sel:BYTE_1
	v_sub_u16_sdwa v87, v87, v200 dst_sel:BYTE_1 dst_unused:UNUSED_PAD src0_sel:DWORD src1_sel:BYTE_3
	v_sub_u16_sdwa v197, v197, v200 dst_sel:DWORD dst_unused:UNUSED_PAD src0_sel:WORD_1 src1_sel:WORD_1
	v_or_b32_sdwa v201, v201, v202 dst_sel:DWORD dst_unused:UNUSED_PAD src0_sel:BYTE_0 src1_sel:DWORD
	v_or_b32_sdwa v87, v197, v87 dst_sel:WORD_1 dst_unused:UNUSED_PAD src0_sel:BYTE_0 src1_sel:DWORD
	v_add_u32_e32 v197, s25, v137
	v_or_b32_sdwa v200, v201, v87 dst_sel:DWORD dst_unused:UNUSED_PAD src0_sel:WORD_0 src1_sel:DWORD
	v_add3_u32 v87, v149, s22, v86
	ds_read_b32 v197, v197
	ds_read_u16 v87, v87 offset:10242
	v_mov_b32_e32 v202, 0
	v_dot4c_i32_i8_e32 v202, v191, v4
	v_dot4c_i32_i8_e32 v202, v192, v5
	;; [unrolled: 1-line block ×3, first 2 shown]
	s_waitcnt lgkmcnt(0)
	v_lshrrev_b16_e32 v203, 8, v87
	v_bfe_i32 v201, v87, 0, 8
	v_mov_b32_e32 v87, 0
	v_dot4c_i32_i8_e32 v87, v196, v0
	v_dot4c_i32_i8_e32 v87, v198, v1
	;; [unrolled: 1-line block ×5, first 2 shown]
	v_bfe_i32 v204, v203, 0, 8
	v_mul_lo_u32 v202, v202, v201
	v_add3_u32 v86, v151, s22, v86
	v_mad_u64_u32 v[202:203], s[26:27], v87, v204, v[202:203]
	v_cvt_f32_i32_e32 v202, v202
	v_mul_f32_e32 v87, v84, v197
	v_fmac_f32_e32 v107, v87, v202
	v_add_u32_e32 v87, s24, v139
	ds_read2_b32 v[202:203], v87 offset1:1
	s_waitcnt lgkmcnt(0)
	v_ashrrev_i32_e32 v202, s21, v202
	v_and_b32_e32 v205, 0x3030303, v202
	v_bfe_u32 v202, v202, 24, 2
	v_sub_u16_e32 v208, v205, v206
	v_sub_u16_sdwa v209, v205, v206 dst_sel:BYTE_1 dst_unused:UNUSED_PAD src0_sel:BYTE_1 src1_sel:BYTE_1
	v_sub_u16_sdwa v202, v202, v206 dst_sel:BYTE_1 dst_unused:UNUSED_PAD src0_sel:DWORD src1_sel:BYTE_3
	v_sub_u16_sdwa v205, v205, v206 dst_sel:DWORD dst_unused:UNUSED_PAD src0_sel:WORD_1 src1_sel:WORD_1
	v_ashrrev_i32_e32 v206, s19, v207
	v_ashrrev_i32_e32 v203, s21, v203
	v_lshlrev_b32_e32 v206, 2, v206
	v_or_b32_sdwa v208, v208, v209 dst_sel:DWORD dst_unused:UNUSED_PAD src0_sel:BYTE_0 src1_sel:DWORD
	v_or_b32_sdwa v202, v205, v202 dst_sel:WORD_1 dst_unused:UNUSED_PAD src0_sel:BYTE_0 src1_sel:DWORD
	v_and_b32_e32 v205, 0x3030303, v203
	v_bfe_u32 v203, v203, 24, 2
	v_and_b32_e32 v206, 0x4040404, v206
	v_or_b32_sdwa v202, v208, v202 dst_sel:DWORD dst_unused:UNUSED_PAD src0_sel:WORD_0 src1_sel:DWORD
	v_sub_u16_e32 v207, v205, v206
	v_sub_u16_sdwa v208, v205, v206 dst_sel:BYTE_1 dst_unused:UNUSED_PAD src0_sel:BYTE_1 src1_sel:BYTE_1
	v_sub_u16_sdwa v203, v203, v206 dst_sel:BYTE_1 dst_unused:UNUSED_PAD src0_sel:DWORD src1_sel:BYTE_3
	v_sub_u16_sdwa v205, v205, v206 dst_sel:DWORD dst_unused:UNUSED_PAD src0_sel:WORD_1 src1_sel:WORD_1
	v_or_b32_sdwa v207, v207, v208 dst_sel:DWORD dst_unused:UNUSED_PAD src0_sel:BYTE_0 src1_sel:DWORD
	v_or_b32_sdwa v203, v205, v203 dst_sel:WORD_1 dst_unused:UNUSED_PAD src0_sel:BYTE_0 src1_sel:DWORD
	v_add_u32_e32 v208, 0x4208, v212
	v_or_b32_sdwa v203, v207, v203 dst_sel:DWORD dst_unused:UNUSED_PAD src0_sel:WORD_0 src1_sel:DWORD
	ds_read2_b32 v[206:207], v87 offset0:2 offset1:3
	ds_read2_b32 v[208:209], v208 offset1:1
	s_waitcnt lgkmcnt(1)
	v_ashrrev_i32_e32 v205, s21, v206
	s_waitcnt lgkmcnt(0)
	v_ashrrev_i32_e32 v208, s19, v208
	v_lshlrev_b32_e32 v208, 2, v208
	v_and_b32_e32 v206, 0x3030303, v205
	v_bfe_u32 v205, v205, 24, 2
	v_and_b32_e32 v208, 0x4040404, v208
	v_sub_u16_e32 v210, v206, v208
	v_sub_u16_sdwa v211, v206, v208 dst_sel:BYTE_1 dst_unused:UNUSED_PAD src0_sel:BYTE_1 src1_sel:BYTE_1
	v_sub_u16_sdwa v205, v205, v208 dst_sel:BYTE_1 dst_unused:UNUSED_PAD src0_sel:DWORD src1_sel:BYTE_3
	v_sub_u16_sdwa v206, v206, v208 dst_sel:DWORD dst_unused:UNUSED_PAD src0_sel:WORD_1 src1_sel:WORD_1
	v_ashrrev_i32_e32 v208, s19, v209
	v_or_b32_sdwa v205, v206, v205 dst_sel:WORD_1 dst_unused:UNUSED_PAD src0_sel:BYTE_0 src1_sel:DWORD
	v_ashrrev_i32_e32 v206, s21, v207
	v_lshlrev_b32_e32 v208, 2, v208
	v_or_b32_sdwa v210, v210, v211 dst_sel:DWORD dst_unused:UNUSED_PAD src0_sel:BYTE_0 src1_sel:DWORD
	v_and_b32_e32 v207, 0x3030303, v206
	v_bfe_u32 v206, v206, 24, 2
	v_and_b32_e32 v208, 0x4040404, v208
	v_or_b32_sdwa v205, v210, v205 dst_sel:DWORD dst_unused:UNUSED_PAD src0_sel:WORD_0 src1_sel:DWORD
	v_sub_u16_e32 v209, v207, v208
	v_sub_u16_sdwa v210, v207, v208 dst_sel:BYTE_1 dst_unused:UNUSED_PAD src0_sel:BYTE_1 src1_sel:BYTE_1
	v_sub_u16_sdwa v206, v206, v208 dst_sel:BYTE_1 dst_unused:UNUSED_PAD src0_sel:DWORD src1_sel:BYTE_3
	v_sub_u16_sdwa v207, v207, v208 dst_sel:DWORD dst_unused:UNUSED_PAD src0_sel:WORD_1 src1_sel:WORD_1
	v_or_b32_sdwa v209, v209, v210 dst_sel:DWORD dst_unused:UNUSED_PAD src0_sel:BYTE_0 src1_sel:DWORD
	v_or_b32_sdwa v206, v207, v206 dst_sel:WORD_1 dst_unused:UNUSED_PAD src0_sel:BYTE_0 src1_sel:DWORD
	v_add_u32_e32 v210, 0x4210, v212
	v_or_b32_sdwa v206, v209, v206 dst_sel:DWORD dst_unused:UNUSED_PAD src0_sel:WORD_0 src1_sel:DWORD
	ds_read2_b32 v[208:209], v87 offset0:4 offset1:5
	ds_read2_b32 v[210:211], v210 offset1:1
	s_waitcnt lgkmcnt(1)
	v_ashrrev_i32_e32 v207, s21, v208
	s_waitcnt lgkmcnt(0)
	v_ashrrev_i32_e32 v210, s19, v210
	v_lshlrev_b32_e32 v210, 2, v210
	v_and_b32_e32 v208, 0x3030303, v207
	v_bfe_u32 v207, v207, 24, 2
	v_and_b32_e32 v210, 0x4040404, v210
	v_sub_u16_e32 v213, v208, v210
	v_sub_u16_sdwa v214, v208, v210 dst_sel:BYTE_1 dst_unused:UNUSED_PAD src0_sel:BYTE_1 src1_sel:BYTE_1
	v_sub_u16_sdwa v207, v207, v210 dst_sel:BYTE_1 dst_unused:UNUSED_PAD src0_sel:DWORD src1_sel:BYTE_3
	v_sub_u16_sdwa v208, v208, v210 dst_sel:DWORD dst_unused:UNUSED_PAD src0_sel:WORD_1 src1_sel:WORD_1
	v_ashrrev_i32_e32 v210, s19, v211
	v_or_b32_sdwa v207, v208, v207 dst_sel:WORD_1 dst_unused:UNUSED_PAD src0_sel:BYTE_0 src1_sel:DWORD
	v_ashrrev_i32_e32 v208, s21, v209
	v_lshlrev_b32_e32 v210, 2, v210
	v_or_b32_sdwa v213, v213, v214 dst_sel:DWORD dst_unused:UNUSED_PAD src0_sel:BYTE_0 src1_sel:DWORD
	v_and_b32_e32 v209, 0x3030303, v208
	v_bfe_u32 v208, v208, 24, 2
	v_and_b32_e32 v210, 0x4040404, v210
	v_or_b32_sdwa v207, v213, v207 dst_sel:DWORD dst_unused:UNUSED_PAD src0_sel:WORD_0 src1_sel:DWORD
	v_sub_u16_e32 v211, v209, v210
	v_sub_u16_sdwa v213, v209, v210 dst_sel:BYTE_1 dst_unused:UNUSED_PAD src0_sel:BYTE_1 src1_sel:BYTE_1
	v_sub_u16_sdwa v208, v208, v210 dst_sel:BYTE_1 dst_unused:UNUSED_PAD src0_sel:DWORD src1_sel:BYTE_3
	v_sub_u16_sdwa v209, v209, v210 dst_sel:DWORD dst_unused:UNUSED_PAD src0_sel:WORD_1 src1_sel:WORD_1
	v_or_b32_sdwa v211, v211, v213 dst_sel:DWORD dst_unused:UNUSED_PAD src0_sel:BYTE_0 src1_sel:DWORD
	v_or_b32_sdwa v208, v209, v208 dst_sel:WORD_1 dst_unused:UNUSED_PAD src0_sel:BYTE_0 src1_sel:DWORD
	s_nop 0
	v_or_b32_sdwa v209, v211, v208 dst_sel:DWORD dst_unused:UNUSED_PAD src0_sel:WORD_0 src1_sel:DWORD
	ds_read2_b32 v[210:211], v87 offset0:6 offset1:7
	s_waitcnt lgkmcnt(0)
	v_ashrrev_i32_e32 v87, s21, v210
	v_add_u32_e32 v210, 0x4218, v212
	ds_read2_b32 v[212:213], v210 offset1:1
	v_and_b32_e32 v208, 0x3030303, v87
	v_bfe_u32 v87, v87, 24, 2
	s_waitcnt lgkmcnt(0)
	v_ashrrev_i32_e32 v210, s19, v212
	v_lshlrev_b32_e32 v210, 2, v210
	v_and_b32_e32 v210, 0x4040404, v210
	v_sub_u16_e32 v212, v208, v210
	v_sub_u16_sdwa v214, v208, v210 dst_sel:BYTE_1 dst_unused:UNUSED_PAD src0_sel:BYTE_1 src1_sel:BYTE_1
	v_sub_u16_sdwa v87, v87, v210 dst_sel:BYTE_1 dst_unused:UNUSED_PAD src0_sel:DWORD src1_sel:BYTE_3
	v_sub_u16_sdwa v208, v208, v210 dst_sel:DWORD dst_unused:UNUSED_PAD src0_sel:WORD_1 src1_sel:WORD_1
	v_or_b32_sdwa v212, v212, v214 dst_sel:DWORD dst_unused:UNUSED_PAD src0_sel:BYTE_0 src1_sel:DWORD
	v_or_b32_sdwa v87, v208, v87 dst_sel:WORD_1 dst_unused:UNUSED_PAD src0_sel:BYTE_0 src1_sel:DWORD
	s_nop 0
	v_or_b32_sdwa v210, v212, v87 dst_sel:DWORD dst_unused:UNUSED_PAD src0_sel:WORD_0 src1_sel:DWORD
	v_ashrrev_i32_e32 v87, s21, v211
	v_ashrrev_i32_e32 v211, s19, v213
	v_lshlrev_b32_e32 v211, 2, v211
	v_and_b32_e32 v208, 0x3030303, v87
	v_bfe_u32 v87, v87, 24, 2
	v_and_b32_e32 v211, 0x4040404, v211
	v_sub_u16_e32 v212, v208, v211
	v_sub_u16_sdwa v213, v208, v211 dst_sel:BYTE_1 dst_unused:UNUSED_PAD src0_sel:BYTE_1 src1_sel:BYTE_1
	v_sub_u16_sdwa v87, v87, v211 dst_sel:BYTE_1 dst_unused:UNUSED_PAD src0_sel:DWORD src1_sel:BYTE_3
	v_sub_u16_sdwa v208, v208, v211 dst_sel:DWORD dst_unused:UNUSED_PAD src0_sel:WORD_1 src1_sel:WORD_1
	v_or_b32_sdwa v212, v212, v213 dst_sel:DWORD dst_unused:UNUSED_PAD src0_sel:BYTE_0 src1_sel:DWORD
	v_or_b32_sdwa v87, v208, v87 dst_sel:WORD_1 dst_unused:UNUSED_PAD src0_sel:BYTE_0 src1_sel:DWORD
	s_add_i32 s19, s19, 1
	v_or_b32_sdwa v211, v212, v87 dst_sel:DWORD dst_unused:UNUSED_PAD src0_sel:WORD_0 src1_sel:DWORD
	v_add_u32_e32 v87, s25, v140
	ds_read_b32 v208, v87
	v_mov_b32_e32 v87, 0
	v_dot4c_i32_i8_e32 v87, v202, v4
	ds_read_u16 v4, v86 offset:11266
	v_dot4c_i32_i8_e32 v87, v203, v5
	v_dot4c_i32_i8_e32 v87, v205, v6
	v_mov_b32_e32 v6, 0
	v_dot4c_i32_i8_e32 v6, v207, v0
	v_dot4c_i32_i8_e32 v6, v209, v1
	;; [unrolled: 1-line block ×3, first 2 shown]
	s_waitcnt lgkmcnt(0)
	v_lshrrev_b16_e32 v5, 8, v4
	v_bfe_i32 v212, v4, 0, 8
	v_dot4c_i32_i8_e32 v6, v210, v2
	v_mul_lo_u32 v4, v87, v212
	v_dot4c_i32_i8_e32 v6, v211, v3
	v_bfe_i32 v213, v5, 0, 8
	v_mov_b32_e32 v86, 0
	s_cmp_lt_u32 s21, 6
	v_mad_u64_u32 v[0:1], s[22:23], v6, v213, v[4:5]
	v_cvt_f32_i32_e32 v0, v0
	v_mul_f32_e32 v1, v84, v208
	v_mov_b32_e32 v84, 0
	v_fmac_f32_e32 v106, v1, v0
	ds_read_b128 v[0:3], v168 offset:26368
	ds_read_b128 v[4:7], v168 offset:26384
	s_waitcnt lgkmcnt(1)
	v_dot4c_i32_i8_e32 v84, v170, v0
	v_dot4c_i32_i8_e32 v84, v171, v1
	s_waitcnt lgkmcnt(0)
	v_dot4c_i32_i8_e32 v86, v174, v4
	v_dot4c_i32_i8_e32 v84, v172, v2
	;; [unrolled: 1-line block ×6, first 2 shown]
	s_nop 0
	v_mul_lo_u32 v84, v84, v180
	s_nop 0
	v_mad_u64_u32 v[86:87], s[22:23], v86, v182, v[84:85]
	v_cvt_f32_i32_e32 v86, v86
	v_mul_f32_e32 v84, v175, v85
	v_fmac_f32_e32 v103, v84, v86
	v_mov_b32_e32 v84, 0
	v_dot4c_i32_i8_e32 v84, v179, v0
	v_mov_b32_e32 v86, 0
	v_dot4c_i32_i8_e32 v84, v181, v1
	v_dot4c_i32_i8_e32 v86, v185, v4
	;; [unrolled: 1-line block ×7, first 2 shown]
	s_nop 0
	v_mul_lo_u32 v84, v84, v190
	s_nop 0
	v_mad_u64_u32 v[86:87], s[22:23], v86, v193, v[84:85]
	v_cvt_f32_i32_e32 v86, v86
	v_mul_f32_e32 v84, v186, v85
	v_fmac_f32_e32 v101, v84, v86
	v_mov_b32_e32 v84, 0
	v_dot4c_i32_i8_e32 v84, v191, v0
	v_mov_b32_e32 v86, 0
	v_dot4c_i32_i8_e32 v84, v192, v1
	v_dot4c_i32_i8_e32 v86, v196, v4
	;; [unrolled: 1-line block ×7, first 2 shown]
	s_nop 0
	v_mul_lo_u32 v84, v84, v201
	s_nop 0
	v_mad_u64_u32 v[86:87], s[22:23], v86, v204, v[84:85]
	v_cvt_f32_i32_e32 v86, v86
	v_mul_f32_e32 v84, v197, v85
	v_fmac_f32_e32 v100, v84, v86
	v_mov_b32_e32 v84, 0
	v_dot4c_i32_i8_e32 v84, v202, v0
	v_dot4c_i32_i8_e32 v84, v203, v1
	v_mov_b32_e32 v1, 0
	v_dot4c_i32_i8_e32 v1, v207, v4
	v_dot4c_i32_i8_e32 v84, v205, v2
	;; [unrolled: 1-line block ×6, first 2 shown]
	s_nop 0
	v_mul_lo_u32 v0, v84, v212
	s_nop 0
	v_mad_u64_u32 v[0:1], s[22:23], v1, v213, v[0:1]
	v_cvt_f32_i32_e32 v0, v0
	v_mul_f32_e32 v1, v208, v85
	v_fmac_f32_e32 v99, v1, v0
	v_add_u32_e32 v0, 0x9800, v169
	ds_read2_b32 v[6:7], v0 offset0:40 offset1:72
	ds_read_b128 v[2:5], v168 offset:27392
	ds_read_b128 v[84:87], v168 offset:27408
	v_mov_b32_e32 v1, 0
	v_add_u32_e32 v169, 4, v169
	s_waitcnt lgkmcnt(1)
	v_dot4c_i32_i8_e32 v1, v170, v2
	v_dot4c_i32_i8_e32 v1, v171, v3
	;; [unrolled: 1-line block ×4, first 2 shown]
	s_nop 2
	v_mul_lo_u32 v214, v1, v180
	v_mov_b32_e32 v1, 0
	s_waitcnt lgkmcnt(0)
	v_dot4c_i32_i8_e32 v1, v174, v84
	v_dot4c_i32_i8_e32 v1, v176, v85
	v_dot4c_i32_i8_e32 v1, v177, v86
	v_dot4c_i32_i8_e32 v1, v178, v87
	s_nop 2
	v_mad_u64_u32 v[214:215], s[22:23], v1, v182, v[214:215]
	v_cvt_f32_i32_e32 v214, v214
	v_mul_f32_e32 v1, v175, v6
	v_fmac_f32_e32 v83, v1, v214
	v_mov_b32_e32 v1, 0
	v_dot4c_i32_i8_e32 v1, v179, v2
	v_dot4c_i32_i8_e32 v1, v181, v3
	v_dot4c_i32_i8_e32 v1, v183, v4
	v_dot4c_i32_i8_e32 v1, v184, v5
	s_nop 2
	v_mul_lo_u32 v214, v1, v190
	v_mov_b32_e32 v1, 0
	v_dot4c_i32_i8_e32 v1, v185, v84
	v_dot4c_i32_i8_e32 v1, v187, v85
	v_dot4c_i32_i8_e32 v1, v188, v86
	v_dot4c_i32_i8_e32 v1, v189, v87
	s_nop 2
	v_mad_u64_u32 v[214:215], s[22:23], v1, v193, v[214:215]
	v_cvt_f32_i32_e32 v214, v214
	v_mul_f32_e32 v1, v186, v6
	v_fmac_f32_e32 v67, v1, v214
	v_mov_b32_e32 v1, 0
	v_dot4c_i32_i8_e32 v1, v191, v2
	v_dot4c_i32_i8_e32 v1, v192, v3
	v_dot4c_i32_i8_e32 v1, v194, v4
	v_dot4c_i32_i8_e32 v1, v195, v5
	s_nop 2
	v_mul_lo_u32 v214, v1, v201
	v_mov_b32_e32 v1, 0
	;; [unrolled: 17-line block ×3, first 2 shown]
	v_dot4c_i32_i8_e32 v1, v207, v84
	v_dot4c_i32_i8_e32 v1, v209, v85
	;; [unrolled: 1-line block ×4, first 2 shown]
	s_nop 2
	v_mad_u64_u32 v[2:3], s[22:23], v1, v213, v[2:3]
	v_cvt_f32_i32_e32 v2, v2
	v_mul_f32_e32 v1, v208, v6
	v_fmac_f32_e32 v57, v1, v2
	ds_read_b128 v[2:5], v168 offset:28416
	ds_read_b128 v[84:87], v168 offset:28432
	v_mov_b32_e32 v1, 0
	s_waitcnt lgkmcnt(1)
	v_dot4c_i32_i8_e32 v1, v170, v2
	v_dot4c_i32_i8_e32 v1, v171, v3
	;; [unrolled: 1-line block ×4, first 2 shown]
	s_nop 2
	v_mul_lo_u32 v6, v1, v180
	v_mov_b32_e32 v1, 0
	s_waitcnt lgkmcnt(0)
	v_dot4c_i32_i8_e32 v1, v174, v84
	v_dot4c_i32_i8_e32 v1, v176, v85
	v_dot4c_i32_i8_e32 v1, v177, v86
	v_dot4c_i32_i8_e32 v1, v178, v87
	s_nop 2
	v_mad_u64_u32 v[214:215], s[22:23], v1, v182, v[6:7]
	v_cvt_f32_i32_e32 v6, v214
	v_mul_f32_e32 v1, v175, v7
	v_fmac_f32_e32 v55, v1, v6
	v_mov_b32_e32 v1, 0
	v_dot4c_i32_i8_e32 v1, v179, v2
	v_dot4c_i32_i8_e32 v1, v181, v3
	v_dot4c_i32_i8_e32 v1, v183, v4
	v_dot4c_i32_i8_e32 v1, v184, v5
	s_nop 2
	v_mul_lo_u32 v6, v1, v190
	v_mov_b32_e32 v1, 0
	v_dot4c_i32_i8_e32 v1, v185, v84
	v_dot4c_i32_i8_e32 v1, v187, v85
	v_dot4c_i32_i8_e32 v1, v188, v86
	v_dot4c_i32_i8_e32 v1, v189, v87
	s_nop 2
	v_mad_u64_u32 v[214:215], s[22:23], v1, v193, v[6:7]
	v_cvt_f32_i32_e32 v6, v214
	v_mul_f32_e32 v1, v186, v7
	v_fmac_f32_e32 v53, v1, v6
	v_mov_b32_e32 v1, 0
	v_dot4c_i32_i8_e32 v1, v191, v2
	v_dot4c_i32_i8_e32 v1, v192, v3
	v_dot4c_i32_i8_e32 v1, v194, v4
	v_dot4c_i32_i8_e32 v1, v195, v5
	s_nop 2
	v_mul_lo_u32 v6, v1, v201
	v_mov_b32_e32 v1, 0
	;; [unrolled: 17-line block ×3, first 2 shown]
	v_dot4c_i32_i8_e32 v1, v207, v84
	v_dot4c_i32_i8_e32 v1, v209, v85
	;; [unrolled: 1-line block ×4, first 2 shown]
	s_nop 2
	v_mad_u64_u32 v[2:3], s[22:23], v1, v213, v[2:3]
	v_cvt_f32_i32_e32 v2, v2
	v_mul_f32_e32 v1, v208, v7
	v_fmac_f32_e32 v47, v1, v2
	ds_read2_b32 v[6:7], v0 offset0:104 offset1:136
	ds_read_b128 v[2:5], v168 offset:29440
	ds_read_b128 v[84:87], v168 offset:29456
	v_mov_b32_e32 v1, 0
	s_waitcnt lgkmcnt(1)
	v_dot4c_i32_i8_e32 v1, v170, v2
	v_dot4c_i32_i8_e32 v1, v171, v3
	;; [unrolled: 1-line block ×4, first 2 shown]
	s_nop 2
	v_mul_lo_u32 v214, v1, v180
	v_mov_b32_e32 v1, 0
	s_waitcnt lgkmcnt(0)
	v_dot4c_i32_i8_e32 v1, v174, v84
	v_dot4c_i32_i8_e32 v1, v176, v85
	v_dot4c_i32_i8_e32 v1, v177, v86
	v_dot4c_i32_i8_e32 v1, v178, v87
	s_nop 2
	v_mad_u64_u32 v[214:215], s[22:23], v1, v182, v[214:215]
	v_cvt_f32_i32_e32 v214, v214
	v_mul_f32_e32 v1, v175, v6
	v_fmac_f32_e32 v41, v1, v214
	v_mov_b32_e32 v1, 0
	v_dot4c_i32_i8_e32 v1, v179, v2
	v_dot4c_i32_i8_e32 v1, v181, v3
	v_dot4c_i32_i8_e32 v1, v183, v4
	v_dot4c_i32_i8_e32 v1, v184, v5
	s_nop 2
	v_mul_lo_u32 v214, v1, v190
	v_mov_b32_e32 v1, 0
	v_dot4c_i32_i8_e32 v1, v185, v84
	v_dot4c_i32_i8_e32 v1, v187, v85
	v_dot4c_i32_i8_e32 v1, v188, v86
	v_dot4c_i32_i8_e32 v1, v189, v87
	s_nop 2
	v_mad_u64_u32 v[214:215], s[22:23], v1, v193, v[214:215]
	v_cvt_f32_i32_e32 v214, v214
	v_mul_f32_e32 v1, v186, v6
	v_fmac_f32_e32 v39, v1, v214
	v_mov_b32_e32 v1, 0
	v_dot4c_i32_i8_e32 v1, v191, v2
	v_dot4c_i32_i8_e32 v1, v192, v3
	v_dot4c_i32_i8_e32 v1, v194, v4
	v_dot4c_i32_i8_e32 v1, v195, v5
	s_nop 2
	v_mul_lo_u32 v214, v1, v201
	v_mov_b32_e32 v1, 0
	;; [unrolled: 17-line block ×3, first 2 shown]
	v_dot4c_i32_i8_e32 v1, v207, v84
	v_dot4c_i32_i8_e32 v1, v209, v85
	;; [unrolled: 1-line block ×4, first 2 shown]
	s_nop 2
	v_mad_u64_u32 v[2:3], s[22:23], v1, v213, v[2:3]
	v_cvt_f32_i32_e32 v2, v2
	v_mul_f32_e32 v1, v208, v6
	v_fmac_f32_e32 v35, v1, v2
	ds_read_b128 v[2:5], v168 offset:30464
	ds_read_b128 v[84:87], v168 offset:30480
	v_mov_b32_e32 v1, 0
	s_waitcnt lgkmcnt(1)
	v_dot4c_i32_i8_e32 v1, v170, v2
	v_dot4c_i32_i8_e32 v1, v171, v3
	;; [unrolled: 1-line block ×4, first 2 shown]
	s_nop 2
	v_mul_lo_u32 v6, v1, v180
	v_mov_b32_e32 v1, 0
	s_waitcnt lgkmcnt(0)
	v_dot4c_i32_i8_e32 v1, v174, v84
	v_dot4c_i32_i8_e32 v1, v176, v85
	v_dot4c_i32_i8_e32 v1, v177, v86
	v_dot4c_i32_i8_e32 v1, v178, v87
	s_nop 2
	v_mad_u64_u32 v[214:215], s[22:23], v1, v182, v[6:7]
	v_cvt_f32_i32_e32 v6, v214
	v_mul_f32_e32 v1, v175, v7
	v_fmac_f32_e32 v33, v1, v6
	v_mov_b32_e32 v1, 0
	v_dot4c_i32_i8_e32 v1, v179, v2
	v_dot4c_i32_i8_e32 v1, v181, v3
	v_dot4c_i32_i8_e32 v1, v183, v4
	v_dot4c_i32_i8_e32 v1, v184, v5
	s_nop 2
	v_mul_lo_u32 v6, v1, v190
	v_mov_b32_e32 v1, 0
	v_dot4c_i32_i8_e32 v1, v185, v84
	v_dot4c_i32_i8_e32 v1, v187, v85
	v_dot4c_i32_i8_e32 v1, v188, v86
	v_dot4c_i32_i8_e32 v1, v189, v87
	s_nop 2
	v_mad_u64_u32 v[214:215], s[22:23], v1, v193, v[6:7]
	v_cvt_f32_i32_e32 v6, v214
	v_mul_f32_e32 v1, v186, v7
	v_fmac_f32_e32 v31, v1, v6
	v_mov_b32_e32 v1, 0
	v_dot4c_i32_i8_e32 v1, v191, v2
	v_dot4c_i32_i8_e32 v1, v192, v3
	v_dot4c_i32_i8_e32 v1, v194, v4
	v_dot4c_i32_i8_e32 v1, v195, v5
	s_nop 2
	v_mul_lo_u32 v6, v1, v201
	v_mov_b32_e32 v1, 0
	;; [unrolled: 17-line block ×3, first 2 shown]
	v_dot4c_i32_i8_e32 v1, v207, v84
	v_dot4c_i32_i8_e32 v1, v209, v85
	v_dot4c_i32_i8_e32 v1, v210, v86
	v_dot4c_i32_i8_e32 v1, v211, v87
	v_mov_b32_e32 v86, 0
	v_mov_b32_e32 v87, 0
	s_nop 0
	v_mad_u64_u32 v[2:3], s[22:23], v1, v213, v[2:3]
	v_cvt_f32_i32_e32 v2, v2
	v_mul_f32_e32 v1, v208, v7
	v_fmac_f32_e32 v27, v1, v2
	ds_read2_b32 v[84:85], v0 offset0:168 offset1:200
	ds_read_b128 v[4:7], v168 offset:31488
	ds_read_b128 v[0:3], v168 offset:31504
	s_waitcnt lgkmcnt(1)
	v_dot4c_i32_i8_e32 v86, v170, v4
	v_dot4c_i32_i8_e32 v86, v171, v5
	s_waitcnt lgkmcnt(0)
	v_dot4c_i32_i8_e32 v87, v174, v0
	v_dot4c_i32_i8_e32 v86, v172, v6
	v_dot4c_i32_i8_e32 v87, v176, v1
	v_dot4c_i32_i8_e32 v86, v173, v7
	v_dot4c_i32_i8_e32 v87, v177, v2
	v_dot4c_i32_i8_e32 v87, v178, v3
	s_nop 0
	v_mul_lo_u32 v86, v86, v180
	s_nop 0
	v_mad_u64_u32 v[86:87], s[22:23], v87, v182, v[86:87]
	v_cvt_f32_i32_e32 v86, v86
	v_mul_f32_e32 v87, v175, v84
	v_fmac_f32_e32 v25, v87, v86
	v_mov_b32_e32 v86, 0
	v_dot4c_i32_i8_e32 v86, v179, v4
	v_mov_b32_e32 v87, 0
	v_dot4c_i32_i8_e32 v86, v181, v5
	v_dot4c_i32_i8_e32 v87, v185, v0
	v_dot4c_i32_i8_e32 v86, v183, v6
	v_dot4c_i32_i8_e32 v87, v187, v1
	v_dot4c_i32_i8_e32 v86, v184, v7
	v_dot4c_i32_i8_e32 v87, v188, v2
	v_dot4c_i32_i8_e32 v87, v189, v3
	s_nop 0
	v_mul_lo_u32 v86, v86, v190
	s_nop 0
	v_mad_u64_u32 v[86:87], s[22:23], v87, v193, v[86:87]
	v_cvt_f32_i32_e32 v86, v86
	v_mul_f32_e32 v87, v186, v84
	v_fmac_f32_e32 v23, v87, v86
	v_mov_b32_e32 v86, 0
	v_dot4c_i32_i8_e32 v86, v191, v4
	v_mov_b32_e32 v87, 0
	v_dot4c_i32_i8_e32 v86, v192, v5
	v_dot4c_i32_i8_e32 v87, v196, v0
	;; [unrolled: 1-line block ×7, first 2 shown]
	s_nop 0
	v_mul_lo_u32 v86, v86, v201
	s_nop 0
	v_mad_u64_u32 v[86:87], s[22:23], v87, v204, v[86:87]
	v_cvt_f32_i32_e32 v86, v86
	v_mul_f32_e32 v87, v197, v84
	v_fmac_f32_e32 v21, v87, v86
	v_mov_b32_e32 v86, 0
	v_dot4c_i32_i8_e32 v86, v202, v4
	v_dot4c_i32_i8_e32 v86, v203, v5
	v_mov_b32_e32 v5, 0
	v_dot4c_i32_i8_e32 v5, v207, v0
	v_dot4c_i32_i8_e32 v86, v205, v6
	;; [unrolled: 1-line block ×6, first 2 shown]
	s_nop 0
	v_mul_lo_u32 v4, v86, v212
	v_mov_b32_e32 v86, 0
	v_mad_u64_u32 v[0:1], s[22:23], v5, v213, v[4:5]
	v_cvt_f32_i32_e32 v0, v0
	v_mul_f32_e32 v1, v208, v84
	v_mov_b32_e32 v84, 0
	v_fmac_f32_e32 v19, v1, v0
	ds_read_b128 v[0:3], v168 offset:32512
	ds_read_b128 v[4:7], v168 offset:32528
	v_add_u32_e32 v168, 32, v168
	s_waitcnt lgkmcnt(1)
	v_dot4c_i32_i8_e32 v84, v170, v0
	v_dot4c_i32_i8_e32 v84, v171, v1
	s_waitcnt lgkmcnt(0)
	v_dot4c_i32_i8_e32 v86, v174, v4
	v_dot4c_i32_i8_e32 v84, v172, v2
	;; [unrolled: 1-line block ×6, first 2 shown]
	s_nop 0
	v_mul_lo_u32 v84, v84, v180
	s_nop 0
	v_mad_u64_u32 v[86:87], s[22:23], v86, v182, v[84:85]
	v_cvt_f32_i32_e32 v86, v86
	v_mul_f32_e32 v84, v175, v85
	v_fmac_f32_e32 v17, v84, v86
	v_mov_b32_e32 v84, 0
	v_dot4c_i32_i8_e32 v84, v179, v0
	v_mov_b32_e32 v86, 0
	v_dot4c_i32_i8_e32 v84, v181, v1
	v_dot4c_i32_i8_e32 v86, v185, v4
	;; [unrolled: 1-line block ×7, first 2 shown]
	s_nop 0
	v_mul_lo_u32 v84, v84, v190
	s_nop 0
	v_mad_u64_u32 v[86:87], s[22:23], v86, v193, v[84:85]
	v_cvt_f32_i32_e32 v86, v86
	v_mul_f32_e32 v84, v186, v85
	v_fmac_f32_e32 v15, v84, v86
	v_mov_b32_e32 v84, 0
	v_dot4c_i32_i8_e32 v84, v191, v0
	v_mov_b32_e32 v86, 0
	v_dot4c_i32_i8_e32 v84, v192, v1
	v_dot4c_i32_i8_e32 v86, v196, v4
	;; [unrolled: 1-line block ×7, first 2 shown]
	s_nop 0
	v_mul_lo_u32 v84, v84, v201
	s_nop 0
	v_mad_u64_u32 v[86:87], s[22:23], v86, v204, v[84:85]
	v_cvt_f32_i32_e32 v86, v86
	v_mul_f32_e32 v84, v197, v85
	v_fmac_f32_e32 v13, v84, v86
	v_mov_b32_e32 v84, 0
	v_dot4c_i32_i8_e32 v84, v202, v0
	v_dot4c_i32_i8_e32 v84, v203, v1
	v_mov_b32_e32 v1, 0
	v_dot4c_i32_i8_e32 v1, v207, v4
	v_dot4c_i32_i8_e32 v84, v205, v2
	;; [unrolled: 1-line block ×6, first 2 shown]
	s_nop 0
	v_mul_lo_u32 v0, v84, v212
	s_nop 0
	v_mad_u64_u32 v[0:1], s[22:23], v1, v213, v[0:1]
	v_cvt_f32_i32_e32 v0, v0
	v_mul_f32_e32 v1, v208, v85
	s_mov_b32 s22, s21
	v_fmac_f32_e32 v9, v1, v0
	s_cbranch_scc1 .LBB169_7
; %bb.8:                                ;   in Loop: Header=BB169_6 Depth=1
	v_add_u32_e32 v170, s18, v141
	v_add_u32_e32 v0, v170, v109
	;; [unrolled: 1-line block ×6, first 2 shown]
	v_mad_i64_i32 v[0:1], s[20:21], v0, 36, v[80:81]
	v_mad_i64_i32 v[2:3], s[20:21], v2, 36, v[80:81]
	;; [unrolled: 1-line block ×4, first 2 shown]
	v_add_u32_e32 v84, v170, v119
	v_add_u32_e32 v86, v170, v121
	;; [unrolled: 1-line block ×4, first 2 shown]
	v_mad_u64_u32 v[172:173], s[20:21], v172, 36, s[2:3]
	s_barrier
	v_mad_i64_i32 v[84:85], s[20:21], v84, 36, v[80:81]
	v_mad_i64_i32 v[86:87], s[20:21], v86, 36, v[80:81]
	;; [unrolled: 1-line block ×4, first 2 shown]
	global_load_dword v172, v[172:173], off
	s_nop 0
	global_load_dword v0, v[0:1], off offset:4
	s_nop 0
	global_load_dword v1, v[2:3], off offset:4
	;; [unrolled: 2-line block ×3, first 2 shown]
	global_load_dword v3, v[6:7], off offset:4
	s_nop 0
	global_load_dword v4, v[84:85], off offset:4
	global_load_dword v5, v[86:87], off offset:4
	;; [unrolled: 1-line block ×4, first 2 shown]
	s_mov_b32 s19, 4
	s_mov_b32 s20, 8
	;; [unrolled: 1-line block ×3, first 2 shown]
	v_mov_b32_e32 v168, v110
	v_mov_b32_e32 v169, v97
	s_waitcnt vmcnt(8)
	v_cvt_f32_f16_e32 v84, v172
	s_waitcnt vmcnt(7)
	ds_write_b32 v111, v0
	s_waitcnt vmcnt(6)
	ds_write_b32 v113, v1
	;; [unrolled: 2-line block ×8, first 2 shown]
	ds_write_b32 v108, v84
	s_waitcnt lgkmcnt(0)
	s_barrier
.LBB169_9:                              ;   Parent Loop BB169_6 Depth=1
                                        ; =>  This Inner Loop Header: Depth=2
	s_and_b32 s21, s20, -16
	v_add_u32_e32 v86, s21, v128
	s_add_i32 s21, s22, 2
	s_lshr_b32 s26, s21, 4
	s_and_b32 s25, s21, 0x3ffffff8
	s_lshl_b32 s24, s26, 3
	s_lshl_b32 s25, s25, 2
	v_add_lshl_u32 v180, v129, s24, 2
	v_add_u32_e32 v0, 0x9600, v169
	v_add_u32_e32 v87, s25, v130
	;; [unrolled: 1-line block ×3, first 2 shown]
	ds_read2_b32 v[84:85], v0 offset0:104 offset1:136
	ds_read_b128 v[4:7], v168 offset:25344
	ds_read_b128 v[0:3], v168 offset:25360
	ds_read2_b32 v[170:171], v87 offset1:1
	ds_read2_b32 v[172:173], v172 offset1:1
	s_add_i32 s23, s22, -6
	s_lshl_b32 s26, s26, 2
	v_add_lshl_u32 v190, v132, s24, 2
	s_waitcnt lgkmcnt(1)
	v_ashrrev_i32_e32 v170, s23, v170
	s_waitcnt lgkmcnt(0)
	v_ashrrev_i32_e32 v172, s19, v172
	v_lshlrev_b32_e32 v172, 2, v172
	v_and_b32_e32 v174, 0x3030303, v170
	v_bfe_u32 v170, v170, 24, 2
	v_and_b32_e32 v172, 0x4040404, v172
	v_ashrrev_i32_e32 v173, s19, v173
	v_sub_u16_e32 v175, v174, v172
	v_sub_u16_sdwa v176, v174, v172 dst_sel:BYTE_1 dst_unused:UNUSED_PAD src0_sel:BYTE_1 src1_sel:BYTE_1
	v_sub_u16_sdwa v170, v170, v172 dst_sel:BYTE_1 dst_unused:UNUSED_PAD src0_sel:DWORD src1_sel:BYTE_3
	v_sub_u16_sdwa v172, v174, v172 dst_sel:DWORD dst_unused:UNUSED_PAD src0_sel:WORD_1 src1_sel:WORD_1
	v_ashrrev_i32_e32 v171, s23, v171
	v_lshlrev_b32_e32 v173, 2, v173
	v_or_b32_sdwa v175, v175, v176 dst_sel:DWORD dst_unused:UNUSED_PAD src0_sel:BYTE_0 src1_sel:DWORD
	v_or_b32_sdwa v170, v172, v170 dst_sel:WORD_1 dst_unused:UNUSED_PAD src0_sel:BYTE_0 src1_sel:DWORD
	v_and_b32_e32 v172, 0x3030303, v171
	v_bfe_u32 v171, v171, 24, 2
	v_and_b32_e32 v173, 0x4040404, v173
	v_or_b32_sdwa v170, v175, v170 dst_sel:DWORD dst_unused:UNUSED_PAD src0_sel:WORD_0 src1_sel:DWORD
	v_sub_u16_e32 v174, v172, v173
	v_sub_u16_sdwa v175, v172, v173 dst_sel:BYTE_1 dst_unused:UNUSED_PAD src0_sel:BYTE_1 src1_sel:BYTE_1
	v_sub_u16_sdwa v171, v171, v173 dst_sel:BYTE_1 dst_unused:UNUSED_PAD src0_sel:DWORD src1_sel:BYTE_3
	v_sub_u16_sdwa v172, v172, v173 dst_sel:DWORD dst_unused:UNUSED_PAD src0_sel:WORD_1 src1_sel:WORD_1
	v_or_b32_sdwa v174, v174, v175 dst_sel:DWORD dst_unused:UNUSED_PAD src0_sel:BYTE_0 src1_sel:DWORD
	v_or_b32_sdwa v171, v172, v171 dst_sel:WORD_1 dst_unused:UNUSED_PAD src0_sel:BYTE_0 src1_sel:DWORD
	ds_read2_b32 v[172:173], v87 offset0:2 offset1:3
	v_or_b32_sdwa v171, v174, v171 dst_sel:DWORD dst_unused:UNUSED_PAD src0_sel:WORD_0 src1_sel:DWORD
	v_add_u32_e32 v174, 0x4208, v180
	ds_read2_b32 v[174:175], v174 offset1:1
	v_add_u32_e32 v184, 0x4200, v190
	s_waitcnt lgkmcnt(1)
	v_ashrrev_i32_e32 v172, s23, v172
	v_and_b32_e32 v176, 0x3030303, v172
	v_bfe_u32 v172, v172, 24, 2
	s_waitcnt lgkmcnt(0)
	v_ashrrev_i32_e32 v174, s19, v174
	v_lshlrev_b32_e32 v174, 2, v174
	v_and_b32_e32 v174, 0x4040404, v174
	v_ashrrev_i32_e32 v175, s19, v175
	v_sub_u16_e32 v177, v176, v174
	v_sub_u16_sdwa v178, v176, v174 dst_sel:BYTE_1 dst_unused:UNUSED_PAD src0_sel:BYTE_1 src1_sel:BYTE_1
	v_sub_u16_sdwa v172, v172, v174 dst_sel:BYTE_1 dst_unused:UNUSED_PAD src0_sel:DWORD src1_sel:BYTE_3
	v_sub_u16_sdwa v174, v176, v174 dst_sel:DWORD dst_unused:UNUSED_PAD src0_sel:WORD_1 src1_sel:WORD_1
	v_ashrrev_i32_e32 v173, s23, v173
	v_lshlrev_b32_e32 v175, 2, v175
	v_or_b32_sdwa v177, v177, v178 dst_sel:DWORD dst_unused:UNUSED_PAD src0_sel:BYTE_0 src1_sel:DWORD
	v_or_b32_sdwa v172, v174, v172 dst_sel:WORD_1 dst_unused:UNUSED_PAD src0_sel:BYTE_0 src1_sel:DWORD
	v_and_b32_e32 v174, 0x3030303, v173
	v_bfe_u32 v173, v173, 24, 2
	v_and_b32_e32 v175, 0x4040404, v175
	v_or_b32_sdwa v172, v177, v172 dst_sel:DWORD dst_unused:UNUSED_PAD src0_sel:WORD_0 src1_sel:DWORD
	v_sub_u16_e32 v176, v174, v175
	v_sub_u16_sdwa v177, v174, v175 dst_sel:BYTE_1 dst_unused:UNUSED_PAD src0_sel:BYTE_1 src1_sel:BYTE_1
	v_sub_u16_sdwa v173, v173, v175 dst_sel:BYTE_1 dst_unused:UNUSED_PAD src0_sel:DWORD src1_sel:BYTE_3
	v_sub_u16_sdwa v174, v174, v175 dst_sel:DWORD dst_unused:UNUSED_PAD src0_sel:WORD_1 src1_sel:WORD_1
	v_or_b32_sdwa v176, v176, v177 dst_sel:DWORD dst_unused:UNUSED_PAD src0_sel:BYTE_0 src1_sel:DWORD
	v_or_b32_sdwa v173, v174, v173 dst_sel:WORD_1 dst_unused:UNUSED_PAD src0_sel:BYTE_0 src1_sel:DWORD
	v_add_lshl_u32 v212, v138, s24, 2
	v_or_b32_sdwa v173, v176, v173 dst_sel:DWORD dst_unused:UNUSED_PAD src0_sel:WORD_0 src1_sel:DWORD
	ds_read2_b32 v[176:177], v87 offset0:4 offset1:5
	v_add_lshl_u32 v202, v135, s24, 2
	v_add_u32_e32 v206, 0x4200, v212
                                        ; kill: def $vgpr215 killed $sgpr0 killed $exec
	s_add_i32 s20, s20, 2
	ds_read2_b32 v[184:185], v184 offset1:1
	s_waitcnt lgkmcnt(1)
	v_ashrrev_i32_e32 v174, s23, v176
	v_add_u32_e32 v176, 0x4210, v180
	ds_read2_b32 v[178:179], v176 offset1:1
	v_and_b32_e32 v175, 0x3030303, v174
	v_bfe_u32 v174, v174, 24, 2
	s_waitcnt lgkmcnt(1)
	v_ashrrev_i32_e32 v184, s19, v184
	v_lshlrev_b32_e32 v184, 2, v184
	s_waitcnt lgkmcnt(0)
	v_ashrrev_i32_e32 v176, s19, v178
	v_lshlrev_b32_e32 v176, 2, v176
	v_and_b32_e32 v176, 0x4040404, v176
	v_sub_u16_e32 v178, v175, v176
	v_sub_u16_sdwa v181, v175, v176 dst_sel:BYTE_1 dst_unused:UNUSED_PAD src0_sel:BYTE_1 src1_sel:BYTE_1
	v_sub_u16_sdwa v174, v174, v176 dst_sel:BYTE_1 dst_unused:UNUSED_PAD src0_sel:DWORD src1_sel:BYTE_3
	v_sub_u16_sdwa v175, v175, v176 dst_sel:DWORD dst_unused:UNUSED_PAD src0_sel:WORD_1 src1_sel:WORD_1
	v_or_b32_sdwa v178, v178, v181 dst_sel:DWORD dst_unused:UNUSED_PAD src0_sel:BYTE_0 src1_sel:DWORD
	v_or_b32_sdwa v174, v175, v174 dst_sel:WORD_1 dst_unused:UNUSED_PAD src0_sel:BYTE_0 src1_sel:DWORD
	v_and_b32_e32 v184, 0x4040404, v184
	v_or_b32_sdwa v175, v178, v174 dst_sel:DWORD dst_unused:UNUSED_PAD src0_sel:WORD_0 src1_sel:DWORD
	v_ashrrev_i32_e32 v174, s23, v177
	v_ashrrev_i32_e32 v177, s19, v179
	v_lshlrev_b32_e32 v177, 2, v177
	v_and_b32_e32 v176, 0x3030303, v174
	v_bfe_u32 v174, v174, 24, 2
	v_and_b32_e32 v177, 0x4040404, v177
	v_sub_u16_e32 v178, v176, v177
	v_sub_u16_sdwa v179, v176, v177 dst_sel:BYTE_1 dst_unused:UNUSED_PAD src0_sel:BYTE_1 src1_sel:BYTE_1
	v_sub_u16_sdwa v174, v174, v177 dst_sel:BYTE_1 dst_unused:UNUSED_PAD src0_sel:DWORD src1_sel:BYTE_3
	v_sub_u16_sdwa v176, v176, v177 dst_sel:DWORD dst_unused:UNUSED_PAD src0_sel:WORD_1 src1_sel:WORD_1
	v_or_b32_sdwa v178, v178, v179 dst_sel:DWORD dst_unused:UNUSED_PAD src0_sel:BYTE_0 src1_sel:DWORD
	v_or_b32_sdwa v174, v176, v174 dst_sel:WORD_1 dst_unused:UNUSED_PAD src0_sel:BYTE_0 src1_sel:DWORD
	v_add_u32_e32 v177, 0x4218, v180
	v_or_b32_sdwa v176, v178, v174 dst_sel:DWORD dst_unused:UNUSED_PAD src0_sel:WORD_0 src1_sel:DWORD
	ds_read2_b32 v[178:179], v87 offset0:6 offset1:7
	ds_read2_b32 v[180:181], v177 offset1:1
	ds_read2_b32 v[206:207], v206 offset1:1
	s_waitcnt lgkmcnt(2)
	v_ashrrev_i32_e32 v87, s23, v178
	s_waitcnt lgkmcnt(1)
	v_ashrrev_i32_e32 v177, s19, v180
	v_lshlrev_b32_e32 v177, 2, v177
	v_and_b32_e32 v174, 0x3030303, v87
	v_bfe_u32 v87, v87, 24, 2
	v_and_b32_e32 v177, 0x4040404, v177
	v_sub_u16_e32 v178, v174, v177
	v_sub_u16_sdwa v180, v174, v177 dst_sel:BYTE_1 dst_unused:UNUSED_PAD src0_sel:BYTE_1 src1_sel:BYTE_1
	v_sub_u16_sdwa v87, v87, v177 dst_sel:BYTE_1 dst_unused:UNUSED_PAD src0_sel:DWORD src1_sel:BYTE_3
	v_sub_u16_sdwa v174, v174, v177 dst_sel:DWORD dst_unused:UNUSED_PAD src0_sel:WORD_1 src1_sel:WORD_1
	v_or_b32_sdwa v178, v178, v180 dst_sel:DWORD dst_unused:UNUSED_PAD src0_sel:BYTE_0 src1_sel:DWORD
	v_or_b32_sdwa v87, v174, v87 dst_sel:WORD_1 dst_unused:UNUSED_PAD src0_sel:BYTE_0 src1_sel:DWORD
	s_waitcnt lgkmcnt(0)
	v_ashrrev_i32_e32 v206, s19, v206
	v_or_b32_sdwa v177, v178, v87 dst_sel:DWORD dst_unused:UNUSED_PAD src0_sel:WORD_0 src1_sel:DWORD
	v_ashrrev_i32_e32 v178, s19, v181
	v_ashrrev_i32_e32 v87, s23, v179
	v_lshlrev_b32_e32 v178, 2, v178
	v_and_b32_e32 v174, 0x3030303, v87
	v_bfe_u32 v87, v87, 24, 2
	v_and_b32_e32 v178, 0x4040404, v178
	v_sub_u16_e32 v179, v174, v178
	v_sub_u16_sdwa v180, v174, v178 dst_sel:BYTE_1 dst_unused:UNUSED_PAD src0_sel:BYTE_1 src1_sel:BYTE_1
	v_sub_u16_sdwa v87, v87, v178 dst_sel:BYTE_1 dst_unused:UNUSED_PAD src0_sel:DWORD src1_sel:BYTE_3
	v_sub_u16_sdwa v174, v174, v178 dst_sel:DWORD dst_unused:UNUSED_PAD src0_sel:WORD_1 src1_sel:WORD_1
	v_or_b32_sdwa v179, v179, v180 dst_sel:DWORD dst_unused:UNUSED_PAD src0_sel:BYTE_0 src1_sel:DWORD
	v_or_b32_sdwa v87, v174, v87 dst_sel:WORD_1 dst_unused:UNUSED_PAD src0_sel:BYTE_0 src1_sel:DWORD
	v_add_u32_e32 v174, s26, v131
	v_or_b32_sdwa v178, v179, v87 dst_sel:DWORD dst_unused:UNUSED_PAD src0_sel:WORD_0 src1_sel:DWORD
	v_add3_u32 v87, v145, s22, v86
	ds_read_b32 v174, v174
	ds_read_u16 v87, v87 offset:8194
	v_mov_b32_e32 v180, 0
	v_dot4c_i32_i8_e32 v180, v170, v4
	v_dot4c_i32_i8_e32 v180, v171, v5
	;; [unrolled: 1-line block ×3, first 2 shown]
	s_waitcnt lgkmcnt(0)
	v_lshrrev_b16_e32 v181, 8, v87
	v_bfe_i32 v179, v87, 0, 8
	v_mov_b32_e32 v87, 0
	v_dot4c_i32_i8_e32 v87, v175, v0
	v_dot4c_i32_i8_e32 v87, v176, v1
	;; [unrolled: 1-line block ×5, first 2 shown]
	v_bfe_i32 v181, v181, 0, 8
	v_mul_lo_u32 v180, v180, v179
	v_lshlrev_b32_e32 v206, 2, v206
	v_mad_u64_u32 v[182:183], s[28:29], v87, v181, v[180:181]
	v_cvt_f32_i32_e32 v180, v182
	v_mul_f32_e32 v87, v84, v174
	v_and_b32_e32 v206, 0x4040404, v206
	v_fmac_f32_e32 v124, v87, v180
	v_add_u32_e32 v87, s25, v133
	ds_read2_b32 v[182:183], v87 offset1:1
	s_waitcnt lgkmcnt(0)
	v_ashrrev_i32_e32 v180, s23, v182
	v_and_b32_e32 v182, 0x3030303, v180
	v_bfe_u32 v180, v180, 24, 2
	v_sub_u16_e32 v186, v182, v184
	v_sub_u16_sdwa v187, v182, v184 dst_sel:BYTE_1 dst_unused:UNUSED_PAD src0_sel:BYTE_1 src1_sel:BYTE_1
	v_sub_u16_sdwa v180, v180, v184 dst_sel:BYTE_1 dst_unused:UNUSED_PAD src0_sel:DWORD src1_sel:BYTE_3
	v_sub_u16_sdwa v182, v182, v184 dst_sel:DWORD dst_unused:UNUSED_PAD src0_sel:WORD_1 src1_sel:WORD_1
	v_ashrrev_i32_e32 v184, s19, v185
	v_or_b32_sdwa v180, v182, v180 dst_sel:WORD_1 dst_unused:UNUSED_PAD src0_sel:BYTE_0 src1_sel:DWORD
	v_ashrrev_i32_e32 v182, s23, v183
	v_lshlrev_b32_e32 v184, 2, v184
	v_or_b32_sdwa v186, v186, v187 dst_sel:DWORD dst_unused:UNUSED_PAD src0_sel:BYTE_0 src1_sel:DWORD
	v_and_b32_e32 v183, 0x3030303, v182
	v_bfe_u32 v182, v182, 24, 2
	v_and_b32_e32 v184, 0x4040404, v184
	v_or_b32_sdwa v180, v186, v180 dst_sel:DWORD dst_unused:UNUSED_PAD src0_sel:WORD_0 src1_sel:DWORD
	v_sub_u16_e32 v185, v183, v184
	v_sub_u16_sdwa v186, v183, v184 dst_sel:BYTE_1 dst_unused:UNUSED_PAD src0_sel:BYTE_1 src1_sel:BYTE_1
	v_sub_u16_sdwa v182, v182, v184 dst_sel:BYTE_1 dst_unused:UNUSED_PAD src0_sel:DWORD src1_sel:BYTE_3
	v_sub_u16_sdwa v183, v183, v184 dst_sel:DWORD dst_unused:UNUSED_PAD src0_sel:WORD_1 src1_sel:WORD_1
	v_or_b32_sdwa v185, v185, v186 dst_sel:DWORD dst_unused:UNUSED_PAD src0_sel:BYTE_0 src1_sel:DWORD
	v_or_b32_sdwa v182, v183, v182 dst_sel:WORD_1 dst_unused:UNUSED_PAD src0_sel:BYTE_0 src1_sel:DWORD
	v_add_u32_e32 v186, 0x4208, v190
	v_or_b32_sdwa v182, v185, v182 dst_sel:DWORD dst_unused:UNUSED_PAD src0_sel:WORD_0 src1_sel:DWORD
	ds_read2_b32 v[184:185], v87 offset0:2 offset1:3
	ds_read2_b32 v[186:187], v186 offset1:1
	s_waitcnt lgkmcnt(1)
	v_ashrrev_i32_e32 v183, s23, v184
	s_waitcnt lgkmcnt(0)
	v_ashrrev_i32_e32 v186, s19, v186
	v_lshlrev_b32_e32 v186, 2, v186
	v_and_b32_e32 v184, 0x3030303, v183
	v_bfe_u32 v183, v183, 24, 2
	v_and_b32_e32 v186, 0x4040404, v186
	v_sub_u16_e32 v188, v184, v186
	v_sub_u16_sdwa v189, v184, v186 dst_sel:BYTE_1 dst_unused:UNUSED_PAD src0_sel:BYTE_1 src1_sel:BYTE_1
	v_sub_u16_sdwa v183, v183, v186 dst_sel:BYTE_1 dst_unused:UNUSED_PAD src0_sel:DWORD src1_sel:BYTE_3
	v_sub_u16_sdwa v184, v184, v186 dst_sel:DWORD dst_unused:UNUSED_PAD src0_sel:WORD_1 src1_sel:WORD_1
	v_ashrrev_i32_e32 v186, s19, v187
	v_or_b32_sdwa v183, v184, v183 dst_sel:WORD_1 dst_unused:UNUSED_PAD src0_sel:BYTE_0 src1_sel:DWORD
	v_ashrrev_i32_e32 v184, s23, v185
	v_lshlrev_b32_e32 v186, 2, v186
	v_or_b32_sdwa v188, v188, v189 dst_sel:DWORD dst_unused:UNUSED_PAD src0_sel:BYTE_0 src1_sel:DWORD
	v_and_b32_e32 v185, 0x3030303, v184
	v_bfe_u32 v184, v184, 24, 2
	v_and_b32_e32 v186, 0x4040404, v186
	v_or_b32_sdwa v183, v188, v183 dst_sel:DWORD dst_unused:UNUSED_PAD src0_sel:WORD_0 src1_sel:DWORD
	v_sub_u16_e32 v187, v185, v186
	v_sub_u16_sdwa v188, v185, v186 dst_sel:BYTE_1 dst_unused:UNUSED_PAD src0_sel:BYTE_1 src1_sel:BYTE_1
	v_sub_u16_sdwa v184, v184, v186 dst_sel:BYTE_1 dst_unused:UNUSED_PAD src0_sel:DWORD src1_sel:BYTE_3
	v_sub_u16_sdwa v185, v185, v186 dst_sel:DWORD dst_unused:UNUSED_PAD src0_sel:WORD_1 src1_sel:WORD_1
	v_or_b32_sdwa v187, v187, v188 dst_sel:DWORD dst_unused:UNUSED_PAD src0_sel:BYTE_0 src1_sel:DWORD
	v_or_b32_sdwa v184, v185, v184 dst_sel:WORD_1 dst_unused:UNUSED_PAD src0_sel:BYTE_0 src1_sel:DWORD
	v_add_u32_e32 v188, 0x4210, v190
	v_or_b32_sdwa v184, v187, v184 dst_sel:DWORD dst_unused:UNUSED_PAD src0_sel:WORD_0 src1_sel:DWORD
	ds_read2_b32 v[186:187], v87 offset0:4 offset1:5
	ds_read2_b32 v[188:189], v188 offset1:1
	s_waitcnt lgkmcnt(1)
	v_ashrrev_i32_e32 v185, s23, v186
	s_waitcnt lgkmcnt(0)
	v_ashrrev_i32_e32 v188, s19, v188
	v_lshlrev_b32_e32 v188, 2, v188
	v_and_b32_e32 v186, 0x3030303, v185
	v_bfe_u32 v185, v185, 24, 2
	v_and_b32_e32 v188, 0x4040404, v188
	v_sub_u16_e32 v191, v186, v188
	v_sub_u16_sdwa v192, v186, v188 dst_sel:BYTE_1 dst_unused:UNUSED_PAD src0_sel:BYTE_1 src1_sel:BYTE_1
	v_sub_u16_sdwa v185, v185, v188 dst_sel:BYTE_1 dst_unused:UNUSED_PAD src0_sel:DWORD src1_sel:BYTE_3
	v_sub_u16_sdwa v186, v186, v188 dst_sel:DWORD dst_unused:UNUSED_PAD src0_sel:WORD_1 src1_sel:WORD_1
	v_ashrrev_i32_e32 v188, s19, v189
	v_or_b32_sdwa v185, v186, v185 dst_sel:WORD_1 dst_unused:UNUSED_PAD src0_sel:BYTE_0 src1_sel:DWORD
	v_ashrrev_i32_e32 v186, s23, v187
	v_lshlrev_b32_e32 v188, 2, v188
	v_or_b32_sdwa v191, v191, v192 dst_sel:DWORD dst_unused:UNUSED_PAD src0_sel:BYTE_0 src1_sel:DWORD
	v_and_b32_e32 v187, 0x3030303, v186
	v_bfe_u32 v186, v186, 24, 2
	v_and_b32_e32 v188, 0x4040404, v188
	v_or_b32_sdwa v185, v191, v185 dst_sel:DWORD dst_unused:UNUSED_PAD src0_sel:WORD_0 src1_sel:DWORD
	v_sub_u16_e32 v189, v187, v188
	v_sub_u16_sdwa v191, v187, v188 dst_sel:BYTE_1 dst_unused:UNUSED_PAD src0_sel:BYTE_1 src1_sel:BYTE_1
	v_sub_u16_sdwa v186, v186, v188 dst_sel:BYTE_1 dst_unused:UNUSED_PAD src0_sel:DWORD src1_sel:BYTE_3
	v_sub_u16_sdwa v187, v187, v188 dst_sel:DWORD dst_unused:UNUSED_PAD src0_sel:WORD_1 src1_sel:WORD_1
	v_or_b32_sdwa v189, v189, v191 dst_sel:DWORD dst_unused:UNUSED_PAD src0_sel:BYTE_0 src1_sel:DWORD
	v_or_b32_sdwa v186, v187, v186 dst_sel:WORD_1 dst_unused:UNUSED_PAD src0_sel:BYTE_0 src1_sel:DWORD
	s_nop 0
	v_or_b32_sdwa v187, v189, v186 dst_sel:DWORD dst_unused:UNUSED_PAD src0_sel:WORD_0 src1_sel:DWORD
	ds_read2_b32 v[188:189], v87 offset0:6 offset1:7
	s_waitcnt lgkmcnt(0)
	v_ashrrev_i32_e32 v87, s23, v188
	v_add_u32_e32 v188, 0x4218, v190
	ds_read2_b32 v[190:191], v188 offset1:1
	v_and_b32_e32 v186, 0x3030303, v87
	v_bfe_u32 v87, v87, 24, 2
	s_waitcnt lgkmcnt(0)
	v_ashrrev_i32_e32 v188, s19, v190
	v_lshlrev_b32_e32 v188, 2, v188
	v_and_b32_e32 v188, 0x4040404, v188
	v_sub_u16_e32 v190, v186, v188
	v_sub_u16_sdwa v192, v186, v188 dst_sel:BYTE_1 dst_unused:UNUSED_PAD src0_sel:BYTE_1 src1_sel:BYTE_1
	v_sub_u16_sdwa v87, v87, v188 dst_sel:BYTE_1 dst_unused:UNUSED_PAD src0_sel:DWORD src1_sel:BYTE_3
	v_sub_u16_sdwa v186, v186, v188 dst_sel:DWORD dst_unused:UNUSED_PAD src0_sel:WORD_1 src1_sel:WORD_1
	v_or_b32_sdwa v190, v190, v192 dst_sel:DWORD dst_unused:UNUSED_PAD src0_sel:BYTE_0 src1_sel:DWORD
	v_or_b32_sdwa v87, v186, v87 dst_sel:WORD_1 dst_unused:UNUSED_PAD src0_sel:BYTE_0 src1_sel:DWORD
	s_nop 0
	v_or_b32_sdwa v188, v190, v87 dst_sel:DWORD dst_unused:UNUSED_PAD src0_sel:WORD_0 src1_sel:DWORD
	v_ashrrev_i32_e32 v87, s23, v189
	v_ashrrev_i32_e32 v189, s19, v191
	v_lshlrev_b32_e32 v189, 2, v189
	v_and_b32_e32 v186, 0x3030303, v87
	v_bfe_u32 v87, v87, 24, 2
	v_and_b32_e32 v189, 0x4040404, v189
	v_sub_u16_e32 v190, v186, v189
	v_sub_u16_sdwa v191, v186, v189 dst_sel:BYTE_1 dst_unused:UNUSED_PAD src0_sel:BYTE_1 src1_sel:BYTE_1
	v_sub_u16_sdwa v87, v87, v189 dst_sel:BYTE_1 dst_unused:UNUSED_PAD src0_sel:DWORD src1_sel:BYTE_3
	v_sub_u16_sdwa v186, v186, v189 dst_sel:DWORD dst_unused:UNUSED_PAD src0_sel:WORD_1 src1_sel:WORD_1
	v_or_b32_sdwa v190, v190, v191 dst_sel:DWORD dst_unused:UNUSED_PAD src0_sel:BYTE_0 src1_sel:DWORD
	v_or_b32_sdwa v87, v186, v87 dst_sel:WORD_1 dst_unused:UNUSED_PAD src0_sel:BYTE_0 src1_sel:DWORD
	v_add_u32_e32 v186, s26, v134
	v_or_b32_sdwa v189, v190, v87 dst_sel:DWORD dst_unused:UNUSED_PAD src0_sel:WORD_0 src1_sel:DWORD
	v_add3_u32 v87, v147, s22, v86
	ds_read_b32 v186, v186
	ds_read_u16 v87, v87 offset:9218
	v_mov_b32_e32 v191, 0
	v_dot4c_i32_i8_e32 v191, v180, v4
	v_dot4c_i32_i8_e32 v191, v182, v5
	;; [unrolled: 1-line block ×3, first 2 shown]
	s_waitcnt lgkmcnt(0)
	v_lshrrev_b16_e32 v192, 8, v87
	v_bfe_i32 v190, v87, 0, 8
	v_mov_b32_e32 v87, 0
	v_dot4c_i32_i8_e32 v87, v185, v0
	v_dot4c_i32_i8_e32 v87, v187, v1
	;; [unrolled: 1-line block ×5, first 2 shown]
	v_bfe_i32 v192, v192, 0, 8
	v_mul_lo_u32 v194, v191, v190
	s_nop 0
	v_mad_u64_u32 v[194:195], s[28:29], v87, v192, v[194:195]
	v_cvt_f32_i32_e32 v191, v194
	v_mul_f32_e32 v87, v84, v186
	v_fmac_f32_e32 v114, v87, v191
	v_add_u32_e32 v87, s25, v136
	ds_read2_b32 v[194:195], v87 offset1:1
	s_waitcnt lgkmcnt(0)
	v_ashrrev_i32_e32 v191, s23, v194
	v_add_u32_e32 v194, 0x4200, v202
	ds_read2_b32 v[196:197], v194 offset1:1
	v_and_b32_e32 v193, 0x3030303, v191
	v_bfe_u32 v191, v191, 24, 2
	s_waitcnt lgkmcnt(0)
	v_ashrrev_i32_e32 v194, s19, v196
	v_lshlrev_b32_e32 v194, 2, v194
	v_and_b32_e32 v194, 0x4040404, v194
	v_sub_u16_e32 v196, v193, v194
	v_sub_u16_sdwa v198, v193, v194 dst_sel:BYTE_1 dst_unused:UNUSED_PAD src0_sel:BYTE_1 src1_sel:BYTE_1
	v_sub_u16_sdwa v191, v191, v194 dst_sel:BYTE_1 dst_unused:UNUSED_PAD src0_sel:DWORD src1_sel:BYTE_3
	v_sub_u16_sdwa v193, v193, v194 dst_sel:DWORD dst_unused:UNUSED_PAD src0_sel:WORD_1 src1_sel:WORD_1
	v_or_b32_sdwa v191, v193, v191 dst_sel:WORD_1 dst_unused:UNUSED_PAD src0_sel:BYTE_0 src1_sel:DWORD
	v_ashrrev_i32_e32 v193, s23, v195
	v_ashrrev_i32_e32 v195, s19, v197
	v_lshlrev_b32_e32 v195, 2, v195
	v_or_b32_sdwa v196, v196, v198 dst_sel:DWORD dst_unused:UNUSED_PAD src0_sel:BYTE_0 src1_sel:DWORD
	v_and_b32_e32 v194, 0x3030303, v193
	v_bfe_u32 v193, v193, 24, 2
	v_and_b32_e32 v195, 0x4040404, v195
	v_or_b32_sdwa v191, v196, v191 dst_sel:DWORD dst_unused:UNUSED_PAD src0_sel:WORD_0 src1_sel:DWORD
	v_sub_u16_e32 v196, v194, v195
	v_sub_u16_sdwa v197, v194, v195 dst_sel:BYTE_1 dst_unused:UNUSED_PAD src0_sel:BYTE_1 src1_sel:BYTE_1
	v_sub_u16_sdwa v193, v193, v195 dst_sel:BYTE_1 dst_unused:UNUSED_PAD src0_sel:DWORD src1_sel:BYTE_3
	v_sub_u16_sdwa v194, v194, v195 dst_sel:DWORD dst_unused:UNUSED_PAD src0_sel:WORD_1 src1_sel:WORD_1
	v_or_b32_sdwa v196, v196, v197 dst_sel:DWORD dst_unused:UNUSED_PAD src0_sel:BYTE_0 src1_sel:DWORD
	v_or_b32_sdwa v193, v194, v193 dst_sel:WORD_1 dst_unused:UNUSED_PAD src0_sel:BYTE_0 src1_sel:DWORD
	ds_read2_b32 v[194:195], v87 offset0:2 offset1:3
	v_or_b32_sdwa v193, v196, v193 dst_sel:DWORD dst_unused:UNUSED_PAD src0_sel:WORD_0 src1_sel:DWORD
	v_add_u32_e32 v196, 0x4208, v202
	ds_read2_b32 v[196:197], v196 offset1:1
	s_waitcnt lgkmcnt(1)
	v_ashrrev_i32_e32 v194, s23, v194
	v_and_b32_e32 v198, 0x3030303, v194
	v_bfe_u32 v194, v194, 24, 2
	s_waitcnt lgkmcnt(0)
	v_ashrrev_i32_e32 v196, s19, v196
	v_lshlrev_b32_e32 v196, 2, v196
	v_and_b32_e32 v196, 0x4040404, v196
	v_ashrrev_i32_e32 v197, s19, v197
	v_sub_u16_e32 v199, v198, v196
	v_sub_u16_sdwa v200, v198, v196 dst_sel:BYTE_1 dst_unused:UNUSED_PAD src0_sel:BYTE_1 src1_sel:BYTE_1
	v_sub_u16_sdwa v194, v194, v196 dst_sel:BYTE_1 dst_unused:UNUSED_PAD src0_sel:DWORD src1_sel:BYTE_3
	v_sub_u16_sdwa v196, v198, v196 dst_sel:DWORD dst_unused:UNUSED_PAD src0_sel:WORD_1 src1_sel:WORD_1
	v_ashrrev_i32_e32 v195, s23, v195
	v_lshlrev_b32_e32 v197, 2, v197
	v_or_b32_sdwa v199, v199, v200 dst_sel:DWORD dst_unused:UNUSED_PAD src0_sel:BYTE_0 src1_sel:DWORD
	v_or_b32_sdwa v194, v196, v194 dst_sel:WORD_1 dst_unused:UNUSED_PAD src0_sel:BYTE_0 src1_sel:DWORD
	v_and_b32_e32 v196, 0x3030303, v195
	v_bfe_u32 v195, v195, 24, 2
	v_and_b32_e32 v197, 0x4040404, v197
	v_or_b32_sdwa v194, v199, v194 dst_sel:DWORD dst_unused:UNUSED_PAD src0_sel:WORD_0 src1_sel:DWORD
	v_sub_u16_e32 v198, v196, v197
	v_sub_u16_sdwa v199, v196, v197 dst_sel:BYTE_1 dst_unused:UNUSED_PAD src0_sel:BYTE_1 src1_sel:BYTE_1
	v_sub_u16_sdwa v195, v195, v197 dst_sel:BYTE_1 dst_unused:UNUSED_PAD src0_sel:DWORD src1_sel:BYTE_3
	v_sub_u16_sdwa v196, v196, v197 dst_sel:DWORD dst_unused:UNUSED_PAD src0_sel:WORD_1 src1_sel:WORD_1
	v_or_b32_sdwa v198, v198, v199 dst_sel:DWORD dst_unused:UNUSED_PAD src0_sel:BYTE_0 src1_sel:DWORD
	v_or_b32_sdwa v195, v196, v195 dst_sel:WORD_1 dst_unused:UNUSED_PAD src0_sel:BYTE_0 src1_sel:DWORD
	ds_read2_b32 v[196:197], v87 offset0:4 offset1:5
	v_or_b32_sdwa v195, v198, v195 dst_sel:DWORD dst_unused:UNUSED_PAD src0_sel:WORD_0 src1_sel:DWORD
	v_add_u32_e32 v198, 0x4210, v202
	ds_read2_b32 v[198:199], v198 offset1:1
	s_waitcnt lgkmcnt(1)
	v_ashrrev_i32_e32 v196, s23, v196
	v_and_b32_e32 v200, 0x3030303, v196
	v_bfe_u32 v196, v196, 24, 2
	s_waitcnt lgkmcnt(0)
	v_ashrrev_i32_e32 v198, s19, v198
	v_lshlrev_b32_e32 v198, 2, v198
	v_and_b32_e32 v198, 0x4040404, v198
	v_ashrrev_i32_e32 v199, s19, v199
	v_sub_u16_e32 v201, v200, v198
	v_sub_u16_sdwa v203, v200, v198 dst_sel:BYTE_1 dst_unused:UNUSED_PAD src0_sel:BYTE_1 src1_sel:BYTE_1
	v_sub_u16_sdwa v196, v196, v198 dst_sel:BYTE_1 dst_unused:UNUSED_PAD src0_sel:DWORD src1_sel:BYTE_3
	v_sub_u16_sdwa v198, v200, v198 dst_sel:DWORD dst_unused:UNUSED_PAD src0_sel:WORD_1 src1_sel:WORD_1
	v_ashrrev_i32_e32 v197, s23, v197
	v_lshlrev_b32_e32 v199, 2, v199
	v_or_b32_sdwa v201, v201, v203 dst_sel:DWORD dst_unused:UNUSED_PAD src0_sel:BYTE_0 src1_sel:DWORD
	v_or_b32_sdwa v196, v198, v196 dst_sel:WORD_1 dst_unused:UNUSED_PAD src0_sel:BYTE_0 src1_sel:DWORD
	v_and_b32_e32 v198, 0x3030303, v197
	v_bfe_u32 v197, v197, 24, 2
	v_and_b32_e32 v199, 0x4040404, v199
	v_or_b32_sdwa v196, v201, v196 dst_sel:DWORD dst_unused:UNUSED_PAD src0_sel:WORD_0 src1_sel:DWORD
	v_sub_u16_e32 v200, v198, v199
	v_sub_u16_sdwa v201, v198, v199 dst_sel:BYTE_1 dst_unused:UNUSED_PAD src0_sel:BYTE_1 src1_sel:BYTE_1
	v_sub_u16_sdwa v197, v197, v199 dst_sel:BYTE_1 dst_unused:UNUSED_PAD src0_sel:DWORD src1_sel:BYTE_3
	v_sub_u16_sdwa v198, v198, v199 dst_sel:DWORD dst_unused:UNUSED_PAD src0_sel:WORD_1 src1_sel:WORD_1
	v_or_b32_sdwa v200, v200, v201 dst_sel:DWORD dst_unused:UNUSED_PAD src0_sel:BYTE_0 src1_sel:DWORD
	v_or_b32_sdwa v197, v198, v197 dst_sel:WORD_1 dst_unused:UNUSED_PAD src0_sel:BYTE_0 src1_sel:DWORD
	v_add_u32_e32 v199, 0x4218, v202
	v_or_b32_sdwa v198, v200, v197 dst_sel:DWORD dst_unused:UNUSED_PAD src0_sel:WORD_0 src1_sel:DWORD
	ds_read2_b32 v[200:201], v87 offset0:6 offset1:7
	ds_read2_b32 v[202:203], v199 offset1:1
	s_waitcnt lgkmcnt(1)
	v_ashrrev_i32_e32 v87, s23, v200
	s_waitcnt lgkmcnt(0)
	v_ashrrev_i32_e32 v199, s19, v202
	v_lshlrev_b32_e32 v199, 2, v199
	v_and_b32_e32 v197, 0x3030303, v87
	v_bfe_u32 v87, v87, 24, 2
	v_and_b32_e32 v199, 0x4040404, v199
	v_sub_u16_e32 v200, v197, v199
	v_sub_u16_sdwa v202, v197, v199 dst_sel:BYTE_1 dst_unused:UNUSED_PAD src0_sel:BYTE_1 src1_sel:BYTE_1
	v_sub_u16_sdwa v87, v87, v199 dst_sel:BYTE_1 dst_unused:UNUSED_PAD src0_sel:DWORD src1_sel:BYTE_3
	v_sub_u16_sdwa v197, v197, v199 dst_sel:DWORD dst_unused:UNUSED_PAD src0_sel:WORD_1 src1_sel:WORD_1
	v_or_b32_sdwa v200, v200, v202 dst_sel:DWORD dst_unused:UNUSED_PAD src0_sel:BYTE_0 src1_sel:DWORD
	v_or_b32_sdwa v87, v197, v87 dst_sel:WORD_1 dst_unused:UNUSED_PAD src0_sel:BYTE_0 src1_sel:DWORD
	s_nop 0
	v_or_b32_sdwa v199, v200, v87 dst_sel:DWORD dst_unused:UNUSED_PAD src0_sel:WORD_0 src1_sel:DWORD
	v_ashrrev_i32_e32 v200, s19, v203
	v_ashrrev_i32_e32 v87, s23, v201
	v_lshlrev_b32_e32 v200, 2, v200
	v_and_b32_e32 v197, 0x3030303, v87
	v_bfe_u32 v87, v87, 24, 2
	v_and_b32_e32 v200, 0x4040404, v200
	v_sub_u16_e32 v201, v197, v200
	v_sub_u16_sdwa v202, v197, v200 dst_sel:BYTE_1 dst_unused:UNUSED_PAD src0_sel:BYTE_1 src1_sel:BYTE_1
	v_sub_u16_sdwa v87, v87, v200 dst_sel:BYTE_1 dst_unused:UNUSED_PAD src0_sel:DWORD src1_sel:BYTE_3
	v_sub_u16_sdwa v197, v197, v200 dst_sel:DWORD dst_unused:UNUSED_PAD src0_sel:WORD_1 src1_sel:WORD_1
	v_or_b32_sdwa v201, v201, v202 dst_sel:DWORD dst_unused:UNUSED_PAD src0_sel:BYTE_0 src1_sel:DWORD
	v_or_b32_sdwa v87, v197, v87 dst_sel:WORD_1 dst_unused:UNUSED_PAD src0_sel:BYTE_0 src1_sel:DWORD
	v_add_u32_e32 v197, s26, v137
	v_or_b32_sdwa v200, v201, v87 dst_sel:DWORD dst_unused:UNUSED_PAD src0_sel:WORD_0 src1_sel:DWORD
	v_add3_u32 v87, v149, s22, v86
	ds_read_b32 v197, v197
	ds_read_u16 v87, v87 offset:10242
	v_mov_b32_e32 v202, 0
	v_dot4c_i32_i8_e32 v202, v191, v4
	v_dot4c_i32_i8_e32 v202, v193, v5
	;; [unrolled: 1-line block ×3, first 2 shown]
	s_waitcnt lgkmcnt(0)
	v_lshrrev_b16_e32 v203, 8, v87
	v_bfe_i32 v201, v87, 0, 8
	v_mov_b32_e32 v87, 0
	v_dot4c_i32_i8_e32 v87, v196, v0
	v_dot4c_i32_i8_e32 v87, v198, v1
	v_dot4c_i32_i8_e32 v202, v195, v7
	v_dot4c_i32_i8_e32 v87, v199, v2
	v_dot4c_i32_i8_e32 v87, v200, v3
	v_bfe_i32 v203, v203, 0, 8
	v_mul_lo_u32 v202, v202, v201
	v_add3_u32 v86, v151, s22, v86
	v_mad_u64_u32 v[204:205], s[28:29], v87, v203, v[202:203]
	v_cvt_f32_i32_e32 v202, v204
	v_mul_f32_e32 v87, v84, v197
	v_fmac_f32_e32 v107, v87, v202
	v_add_u32_e32 v87, s25, v139
	ds_read2_b32 v[204:205], v87 offset1:1
	s_waitcnt lgkmcnt(0)
	v_ashrrev_i32_e32 v202, s23, v204
	v_and_b32_e32 v204, 0x3030303, v202
	v_bfe_u32 v202, v202, 24, 2
	v_sub_u16_e32 v208, v204, v206
	v_sub_u16_sdwa v209, v204, v206 dst_sel:BYTE_1 dst_unused:UNUSED_PAD src0_sel:BYTE_1 src1_sel:BYTE_1
	v_sub_u16_sdwa v202, v202, v206 dst_sel:BYTE_1 dst_unused:UNUSED_PAD src0_sel:DWORD src1_sel:BYTE_3
	v_sub_u16_sdwa v204, v204, v206 dst_sel:DWORD dst_unused:UNUSED_PAD src0_sel:WORD_1 src1_sel:WORD_1
	v_ashrrev_i32_e32 v206, s19, v207
	v_or_b32_sdwa v202, v204, v202 dst_sel:WORD_1 dst_unused:UNUSED_PAD src0_sel:BYTE_0 src1_sel:DWORD
	v_ashrrev_i32_e32 v204, s23, v205
	v_lshlrev_b32_e32 v206, 2, v206
	v_or_b32_sdwa v208, v208, v209 dst_sel:DWORD dst_unused:UNUSED_PAD src0_sel:BYTE_0 src1_sel:DWORD
	v_and_b32_e32 v205, 0x3030303, v204
	v_bfe_u32 v204, v204, 24, 2
	v_and_b32_e32 v206, 0x4040404, v206
	v_or_b32_sdwa v202, v208, v202 dst_sel:DWORD dst_unused:UNUSED_PAD src0_sel:WORD_0 src1_sel:DWORD
	v_sub_u16_e32 v207, v205, v206
	v_sub_u16_sdwa v208, v205, v206 dst_sel:BYTE_1 dst_unused:UNUSED_PAD src0_sel:BYTE_1 src1_sel:BYTE_1
	v_sub_u16_sdwa v204, v204, v206 dst_sel:BYTE_1 dst_unused:UNUSED_PAD src0_sel:DWORD src1_sel:BYTE_3
	v_sub_u16_sdwa v205, v205, v206 dst_sel:DWORD dst_unused:UNUSED_PAD src0_sel:WORD_1 src1_sel:WORD_1
	v_or_b32_sdwa v207, v207, v208 dst_sel:DWORD dst_unused:UNUSED_PAD src0_sel:BYTE_0 src1_sel:DWORD
	v_or_b32_sdwa v204, v205, v204 dst_sel:WORD_1 dst_unused:UNUSED_PAD src0_sel:BYTE_0 src1_sel:DWORD
	v_add_u32_e32 v208, 0x4208, v212
	v_or_b32_sdwa v204, v207, v204 dst_sel:DWORD dst_unused:UNUSED_PAD src0_sel:WORD_0 src1_sel:DWORD
	ds_read2_b32 v[206:207], v87 offset0:2 offset1:3
	ds_read2_b32 v[208:209], v208 offset1:1
	s_waitcnt lgkmcnt(1)
	v_ashrrev_i32_e32 v205, s23, v206
	s_waitcnt lgkmcnt(0)
	v_ashrrev_i32_e32 v208, s19, v208
	v_lshlrev_b32_e32 v208, 2, v208
	v_and_b32_e32 v206, 0x3030303, v205
	v_bfe_u32 v205, v205, 24, 2
	v_and_b32_e32 v208, 0x4040404, v208
	v_sub_u16_e32 v210, v206, v208
	v_sub_u16_sdwa v211, v206, v208 dst_sel:BYTE_1 dst_unused:UNUSED_PAD src0_sel:BYTE_1 src1_sel:BYTE_1
	v_sub_u16_sdwa v205, v205, v208 dst_sel:BYTE_1 dst_unused:UNUSED_PAD src0_sel:DWORD src1_sel:BYTE_3
	v_sub_u16_sdwa v206, v206, v208 dst_sel:DWORD dst_unused:UNUSED_PAD src0_sel:WORD_1 src1_sel:WORD_1
	v_ashrrev_i32_e32 v208, s19, v209
	v_or_b32_sdwa v205, v206, v205 dst_sel:WORD_1 dst_unused:UNUSED_PAD src0_sel:BYTE_0 src1_sel:DWORD
	v_ashrrev_i32_e32 v206, s23, v207
	v_lshlrev_b32_e32 v208, 2, v208
	v_or_b32_sdwa v210, v210, v211 dst_sel:DWORD dst_unused:UNUSED_PAD src0_sel:BYTE_0 src1_sel:DWORD
	v_and_b32_e32 v207, 0x3030303, v206
	v_bfe_u32 v206, v206, 24, 2
	v_and_b32_e32 v208, 0x4040404, v208
	v_or_b32_sdwa v205, v210, v205 dst_sel:DWORD dst_unused:UNUSED_PAD src0_sel:WORD_0 src1_sel:DWORD
	v_sub_u16_e32 v209, v207, v208
	v_sub_u16_sdwa v210, v207, v208 dst_sel:BYTE_1 dst_unused:UNUSED_PAD src0_sel:BYTE_1 src1_sel:BYTE_1
	v_sub_u16_sdwa v206, v206, v208 dst_sel:BYTE_1 dst_unused:UNUSED_PAD src0_sel:DWORD src1_sel:BYTE_3
	v_sub_u16_sdwa v207, v207, v208 dst_sel:DWORD dst_unused:UNUSED_PAD src0_sel:WORD_1 src1_sel:WORD_1
	v_or_b32_sdwa v209, v209, v210 dst_sel:DWORD dst_unused:UNUSED_PAD src0_sel:BYTE_0 src1_sel:DWORD
	v_or_b32_sdwa v206, v207, v206 dst_sel:WORD_1 dst_unused:UNUSED_PAD src0_sel:BYTE_0 src1_sel:DWORD
	v_add_u32_e32 v210, 0x4210, v212
	v_or_b32_sdwa v206, v209, v206 dst_sel:DWORD dst_unused:UNUSED_PAD src0_sel:WORD_0 src1_sel:DWORD
	ds_read2_b32 v[208:209], v87 offset0:4 offset1:5
	ds_read2_b32 v[210:211], v210 offset1:1
	s_waitcnt lgkmcnt(1)
	v_ashrrev_i32_e32 v207, s23, v208
	s_waitcnt lgkmcnt(0)
	v_ashrrev_i32_e32 v210, s19, v210
	v_lshlrev_b32_e32 v210, 2, v210
	v_and_b32_e32 v208, 0x3030303, v207
	v_bfe_u32 v207, v207, 24, 2
	v_and_b32_e32 v210, 0x4040404, v210
	v_sub_u16_e32 v213, v208, v210
	v_sub_u16_sdwa v214, v208, v210 dst_sel:BYTE_1 dst_unused:UNUSED_PAD src0_sel:BYTE_1 src1_sel:BYTE_1
	v_sub_u16_sdwa v207, v207, v210 dst_sel:BYTE_1 dst_unused:UNUSED_PAD src0_sel:DWORD src1_sel:BYTE_3
	v_sub_u16_sdwa v208, v208, v210 dst_sel:DWORD dst_unused:UNUSED_PAD src0_sel:WORD_1 src1_sel:WORD_1
	v_ashrrev_i32_e32 v210, s19, v211
	v_or_b32_sdwa v207, v208, v207 dst_sel:WORD_1 dst_unused:UNUSED_PAD src0_sel:BYTE_0 src1_sel:DWORD
	v_ashrrev_i32_e32 v208, s23, v209
	v_lshlrev_b32_e32 v210, 2, v210
	v_or_b32_sdwa v213, v213, v214 dst_sel:DWORD dst_unused:UNUSED_PAD src0_sel:BYTE_0 src1_sel:DWORD
	v_and_b32_e32 v209, 0x3030303, v208
	v_bfe_u32 v208, v208, 24, 2
	v_and_b32_e32 v210, 0x4040404, v210
	v_or_b32_sdwa v207, v213, v207 dst_sel:DWORD dst_unused:UNUSED_PAD src0_sel:WORD_0 src1_sel:DWORD
	v_sub_u16_e32 v211, v209, v210
	v_sub_u16_sdwa v213, v209, v210 dst_sel:BYTE_1 dst_unused:UNUSED_PAD src0_sel:BYTE_1 src1_sel:BYTE_1
	v_sub_u16_sdwa v208, v208, v210 dst_sel:BYTE_1 dst_unused:UNUSED_PAD src0_sel:DWORD src1_sel:BYTE_3
	v_sub_u16_sdwa v209, v209, v210 dst_sel:DWORD dst_unused:UNUSED_PAD src0_sel:WORD_1 src1_sel:WORD_1
	v_or_b32_sdwa v211, v211, v213 dst_sel:DWORD dst_unused:UNUSED_PAD src0_sel:BYTE_0 src1_sel:DWORD
	v_or_b32_sdwa v208, v209, v208 dst_sel:WORD_1 dst_unused:UNUSED_PAD src0_sel:BYTE_0 src1_sel:DWORD
	s_nop 0
	v_or_b32_sdwa v209, v211, v208 dst_sel:DWORD dst_unused:UNUSED_PAD src0_sel:WORD_0 src1_sel:DWORD
	ds_read2_b32 v[210:211], v87 offset0:6 offset1:7
	s_waitcnt lgkmcnt(0)
	v_ashrrev_i32_e32 v87, s23, v210
	v_add_u32_e32 v210, 0x4218, v212
	ds_read2_b32 v[212:213], v210 offset1:1
	v_and_b32_e32 v208, 0x3030303, v87
	v_bfe_u32 v87, v87, 24, 2
	s_waitcnt lgkmcnt(0)
	v_ashrrev_i32_e32 v210, s19, v212
	v_lshlrev_b32_e32 v210, 2, v210
	v_and_b32_e32 v210, 0x4040404, v210
	v_sub_u16_e32 v212, v208, v210
	v_sub_u16_sdwa v214, v208, v210 dst_sel:BYTE_1 dst_unused:UNUSED_PAD src0_sel:BYTE_1 src1_sel:BYTE_1
	v_sub_u16_sdwa v87, v87, v210 dst_sel:BYTE_1 dst_unused:UNUSED_PAD src0_sel:DWORD src1_sel:BYTE_3
	v_sub_u16_sdwa v208, v208, v210 dst_sel:DWORD dst_unused:UNUSED_PAD src0_sel:WORD_1 src1_sel:WORD_1
	v_or_b32_sdwa v212, v212, v214 dst_sel:DWORD dst_unused:UNUSED_PAD src0_sel:BYTE_0 src1_sel:DWORD
	v_or_b32_sdwa v87, v208, v87 dst_sel:WORD_1 dst_unused:UNUSED_PAD src0_sel:BYTE_0 src1_sel:DWORD
	s_nop 0
	v_or_b32_sdwa v210, v212, v87 dst_sel:DWORD dst_unused:UNUSED_PAD src0_sel:WORD_0 src1_sel:DWORD
	v_ashrrev_i32_e32 v87, s23, v211
	v_ashrrev_i32_e32 v211, s19, v213
	v_lshlrev_b32_e32 v211, 2, v211
	v_and_b32_e32 v208, 0x3030303, v87
	v_bfe_u32 v87, v87, 24, 2
	v_and_b32_e32 v211, 0x4040404, v211
	v_sub_u16_e32 v212, v208, v211
	v_sub_u16_sdwa v213, v208, v211 dst_sel:BYTE_1 dst_unused:UNUSED_PAD src0_sel:BYTE_1 src1_sel:BYTE_1
	v_sub_u16_sdwa v87, v87, v211 dst_sel:BYTE_1 dst_unused:UNUSED_PAD src0_sel:DWORD src1_sel:BYTE_3
	v_sub_u16_sdwa v208, v208, v211 dst_sel:DWORD dst_unused:UNUSED_PAD src0_sel:WORD_1 src1_sel:WORD_1
	v_or_b32_sdwa v212, v212, v213 dst_sel:DWORD dst_unused:UNUSED_PAD src0_sel:BYTE_0 src1_sel:DWORD
	v_or_b32_sdwa v87, v208, v87 dst_sel:WORD_1 dst_unused:UNUSED_PAD src0_sel:BYTE_0 src1_sel:DWORD
	s_add_i32 s19, s19, 1
	v_or_b32_sdwa v211, v212, v87 dst_sel:DWORD dst_unused:UNUSED_PAD src0_sel:WORD_0 src1_sel:DWORD
	v_add_u32_e32 v87, s26, v140
	ds_read_b32 v208, v87
	v_mov_b32_e32 v87, 0
	v_dot4c_i32_i8_e32 v87, v202, v4
	ds_read_u16 v4, v86 offset:11266
	v_dot4c_i32_i8_e32 v87, v204, v5
	v_dot4c_i32_i8_e32 v87, v205, v6
	v_mov_b32_e32 v6, 0
	v_dot4c_i32_i8_e32 v6, v207, v0
	v_dot4c_i32_i8_e32 v6, v209, v1
	;; [unrolled: 1-line block ×3, first 2 shown]
	s_waitcnt lgkmcnt(0)
	v_lshrrev_b16_e32 v5, 8, v4
	v_bfe_i32 v212, v4, 0, 8
	v_dot4c_i32_i8_e32 v6, v210, v2
	v_mul_lo_u32 v4, v87, v212
	v_dot4c_i32_i8_e32 v6, v211, v3
	v_bfe_i32 v213, v5, 0, 8
	v_mov_b32_e32 v86, 0
	s_cmp_lt_u32 s21, 14
	v_mad_u64_u32 v[0:1], s[22:23], v6, v213, v[4:5]
	v_cvt_f32_i32_e32 v0, v0
	v_mul_f32_e32 v1, v84, v208
	v_mov_b32_e32 v84, 0
	v_fmac_f32_e32 v106, v1, v0
	ds_read_b128 v[0:3], v168 offset:26368
	ds_read_b128 v[4:7], v168 offset:26384
	s_waitcnt lgkmcnt(1)
	v_dot4c_i32_i8_e32 v84, v170, v0
	v_dot4c_i32_i8_e32 v84, v171, v1
	s_waitcnt lgkmcnt(0)
	v_dot4c_i32_i8_e32 v86, v175, v4
	v_dot4c_i32_i8_e32 v84, v172, v2
	v_dot4c_i32_i8_e32 v86, v176, v5
	v_dot4c_i32_i8_e32 v84, v173, v3
	v_dot4c_i32_i8_e32 v86, v177, v6
	v_dot4c_i32_i8_e32 v86, v178, v7
	s_nop 0
	v_mul_lo_u32 v84, v84, v179
	s_nop 0
	v_mad_u64_u32 v[86:87], s[22:23], v86, v181, v[84:85]
	v_cvt_f32_i32_e32 v86, v86
	v_mul_f32_e32 v84, v174, v85
	v_fmac_f32_e32 v103, v84, v86
	v_mov_b32_e32 v84, 0
	v_dot4c_i32_i8_e32 v84, v180, v0
	v_mov_b32_e32 v86, 0
	v_dot4c_i32_i8_e32 v84, v182, v1
	v_dot4c_i32_i8_e32 v86, v185, v4
	;; [unrolled: 1-line block ×7, first 2 shown]
	s_nop 0
	v_mul_lo_u32 v84, v84, v190
	s_nop 0
	v_mad_u64_u32 v[86:87], s[22:23], v86, v192, v[84:85]
	v_cvt_f32_i32_e32 v86, v86
	v_mul_f32_e32 v84, v186, v85
	v_fmac_f32_e32 v101, v84, v86
	v_mov_b32_e32 v84, 0
	v_dot4c_i32_i8_e32 v84, v191, v0
	v_mov_b32_e32 v86, 0
	v_dot4c_i32_i8_e32 v84, v193, v1
	v_dot4c_i32_i8_e32 v86, v196, v4
	;; [unrolled: 1-line block ×7, first 2 shown]
	s_nop 0
	v_mul_lo_u32 v84, v84, v201
	s_nop 0
	v_mad_u64_u32 v[86:87], s[22:23], v86, v203, v[84:85]
	v_cvt_f32_i32_e32 v86, v86
	v_mul_f32_e32 v84, v197, v85
	v_fmac_f32_e32 v100, v84, v86
	v_mov_b32_e32 v84, 0
	v_dot4c_i32_i8_e32 v84, v202, v0
	v_dot4c_i32_i8_e32 v84, v204, v1
	v_mov_b32_e32 v1, 0
	v_dot4c_i32_i8_e32 v1, v207, v4
	v_dot4c_i32_i8_e32 v84, v205, v2
	v_dot4c_i32_i8_e32 v1, v209, v5
	v_dot4c_i32_i8_e32 v84, v206, v3
	v_dot4c_i32_i8_e32 v1, v210, v6
	v_dot4c_i32_i8_e32 v1, v211, v7
	s_nop 0
	v_mul_lo_u32 v0, v84, v212
	s_nop 0
	v_mad_u64_u32 v[0:1], s[22:23], v1, v213, v[0:1]
	v_cvt_f32_i32_e32 v0, v0
	v_mul_f32_e32 v1, v208, v85
	v_fmac_f32_e32 v99, v1, v0
	v_add_u32_e32 v0, 0x9800, v169
	ds_read2_b32 v[6:7], v0 offset0:40 offset1:72
	ds_read_b128 v[2:5], v168 offset:27392
	ds_read_b128 v[84:87], v168 offset:27408
	v_mov_b32_e32 v1, 0
	v_add_u32_e32 v169, 4, v169
	s_waitcnt lgkmcnt(1)
	v_dot4c_i32_i8_e32 v1, v170, v2
	v_dot4c_i32_i8_e32 v1, v171, v3
	;; [unrolled: 1-line block ×4, first 2 shown]
	s_nop 2
	v_mul_lo_u32 v214, v1, v179
	v_mov_b32_e32 v1, 0
	s_waitcnt lgkmcnt(0)
	v_dot4c_i32_i8_e32 v1, v175, v84
	v_dot4c_i32_i8_e32 v1, v176, v85
	;; [unrolled: 1-line block ×4, first 2 shown]
	s_nop 2
	v_mad_u64_u32 v[214:215], s[22:23], v1, v181, v[214:215]
	v_cvt_f32_i32_e32 v214, v214
	v_mul_f32_e32 v1, v174, v6
                                        ; kill: def $vgpr215 killed $sgpr0 killed $exec
	v_fmac_f32_e32 v83, v1, v214
	v_mov_b32_e32 v1, 0
	v_dot4c_i32_i8_e32 v1, v180, v2
	v_dot4c_i32_i8_e32 v1, v182, v3
	;; [unrolled: 1-line block ×4, first 2 shown]
	s_nop 2
	v_mul_lo_u32 v214, v1, v190
	v_mov_b32_e32 v1, 0
	v_dot4c_i32_i8_e32 v1, v185, v84
	v_dot4c_i32_i8_e32 v1, v187, v85
	v_dot4c_i32_i8_e32 v1, v188, v86
	v_dot4c_i32_i8_e32 v1, v189, v87
	s_nop 2
	v_mad_u64_u32 v[214:215], s[22:23], v1, v192, v[214:215]
	v_cvt_f32_i32_e32 v214, v214
	v_mul_f32_e32 v1, v186, v6
                                        ; kill: def $vgpr215 killed $sgpr0 killed $exec
	v_fmac_f32_e32 v67, v1, v214
	v_mov_b32_e32 v1, 0
	v_dot4c_i32_i8_e32 v1, v191, v2
	v_dot4c_i32_i8_e32 v1, v193, v3
	;; [unrolled: 1-line block ×4, first 2 shown]
	s_nop 2
	v_mul_lo_u32 v214, v1, v201
	v_mov_b32_e32 v1, 0
	v_dot4c_i32_i8_e32 v1, v196, v84
	v_dot4c_i32_i8_e32 v1, v198, v85
	v_dot4c_i32_i8_e32 v1, v199, v86
	v_dot4c_i32_i8_e32 v1, v200, v87
	s_nop 2
	v_mad_u64_u32 v[214:215], s[22:23], v1, v203, v[214:215]
	v_cvt_f32_i32_e32 v214, v214
	v_mul_f32_e32 v1, v197, v6
	v_fmac_f32_e32 v59, v1, v214
	v_mov_b32_e32 v1, 0
	v_dot4c_i32_i8_e32 v1, v202, v2
	v_dot4c_i32_i8_e32 v1, v204, v3
	;; [unrolled: 1-line block ×4, first 2 shown]
                                        ; kill: def $vgpr3 killed $sgpr0 killed $exec
	s_nop 2
	v_mul_lo_u32 v2, v1, v212
	v_mov_b32_e32 v1, 0
	v_dot4c_i32_i8_e32 v1, v207, v84
	v_dot4c_i32_i8_e32 v1, v209, v85
	;; [unrolled: 1-line block ×4, first 2 shown]
	s_nop 2
	v_mad_u64_u32 v[2:3], s[22:23], v1, v213, v[2:3]
	v_cvt_f32_i32_e32 v2, v2
	v_mul_f32_e32 v1, v208, v6
	v_fmac_f32_e32 v57, v1, v2
	ds_read_b128 v[2:5], v168 offset:28416
	ds_read_b128 v[84:87], v168 offset:28432
	v_mov_b32_e32 v1, 0
	s_waitcnt lgkmcnt(1)
	v_dot4c_i32_i8_e32 v1, v170, v2
	v_dot4c_i32_i8_e32 v1, v171, v3
	;; [unrolled: 1-line block ×4, first 2 shown]
	s_nop 2
	v_mul_lo_u32 v6, v1, v179
	v_mov_b32_e32 v1, 0
	s_waitcnt lgkmcnt(0)
	v_dot4c_i32_i8_e32 v1, v175, v84
	v_dot4c_i32_i8_e32 v1, v176, v85
	;; [unrolled: 1-line block ×4, first 2 shown]
	s_nop 2
	v_mad_u64_u32 v[214:215], s[22:23], v1, v181, v[6:7]
	v_cvt_f32_i32_e32 v6, v214
	v_mul_f32_e32 v1, v174, v7
	v_fmac_f32_e32 v55, v1, v6
	v_mov_b32_e32 v1, 0
	v_dot4c_i32_i8_e32 v1, v180, v2
	v_dot4c_i32_i8_e32 v1, v182, v3
	;; [unrolled: 1-line block ×4, first 2 shown]
	s_nop 2
	v_mul_lo_u32 v6, v1, v190
	v_mov_b32_e32 v1, 0
	v_dot4c_i32_i8_e32 v1, v185, v84
	v_dot4c_i32_i8_e32 v1, v187, v85
	;; [unrolled: 1-line block ×4, first 2 shown]
	s_nop 2
	v_mad_u64_u32 v[214:215], s[22:23], v1, v192, v[6:7]
	v_cvt_f32_i32_e32 v6, v214
	v_mul_f32_e32 v1, v186, v7
	v_fmac_f32_e32 v53, v1, v6
	v_mov_b32_e32 v1, 0
	v_dot4c_i32_i8_e32 v1, v191, v2
	v_dot4c_i32_i8_e32 v1, v193, v3
	;; [unrolled: 1-line block ×4, first 2 shown]
	s_nop 2
	v_mul_lo_u32 v6, v1, v201
	v_mov_b32_e32 v1, 0
	v_dot4c_i32_i8_e32 v1, v196, v84
	v_dot4c_i32_i8_e32 v1, v198, v85
	;; [unrolled: 1-line block ×4, first 2 shown]
	s_nop 2
	v_mad_u64_u32 v[214:215], s[22:23], v1, v203, v[6:7]
	v_cvt_f32_i32_e32 v6, v214
	v_mul_f32_e32 v1, v197, v7
                                        ; kill: def $vgpr215 killed $sgpr0 killed $exec
	v_fmac_f32_e32 v49, v1, v6
	v_mov_b32_e32 v1, 0
	v_dot4c_i32_i8_e32 v1, v202, v2
	v_dot4c_i32_i8_e32 v1, v204, v3
	;; [unrolled: 1-line block ×4, first 2 shown]
                                        ; kill: def $vgpr3 killed $sgpr0 killed $exec
	s_nop 2
	v_mul_lo_u32 v2, v1, v212
	v_mov_b32_e32 v1, 0
	v_dot4c_i32_i8_e32 v1, v207, v84
	v_dot4c_i32_i8_e32 v1, v209, v85
	;; [unrolled: 1-line block ×4, first 2 shown]
	s_nop 2
	v_mad_u64_u32 v[2:3], s[22:23], v1, v213, v[2:3]
	v_cvt_f32_i32_e32 v2, v2
	v_mul_f32_e32 v1, v208, v7
	v_fmac_f32_e32 v47, v1, v2
	ds_read2_b32 v[6:7], v0 offset0:104 offset1:136
	ds_read_b128 v[2:5], v168 offset:29440
	ds_read_b128 v[84:87], v168 offset:29456
	v_mov_b32_e32 v1, 0
	s_waitcnt lgkmcnt(1)
	v_dot4c_i32_i8_e32 v1, v170, v2
	v_dot4c_i32_i8_e32 v1, v171, v3
	;; [unrolled: 1-line block ×4, first 2 shown]
	s_nop 2
	v_mul_lo_u32 v214, v1, v179
	v_mov_b32_e32 v1, 0
	s_waitcnt lgkmcnt(0)
	v_dot4c_i32_i8_e32 v1, v175, v84
	v_dot4c_i32_i8_e32 v1, v176, v85
	;; [unrolled: 1-line block ×4, first 2 shown]
	s_nop 2
	v_mad_u64_u32 v[214:215], s[22:23], v1, v181, v[214:215]
	v_cvt_f32_i32_e32 v214, v214
	v_mul_f32_e32 v1, v174, v6
                                        ; kill: def $vgpr215 killed $sgpr0 killed $exec
	v_fmac_f32_e32 v41, v1, v214
	v_mov_b32_e32 v1, 0
	v_dot4c_i32_i8_e32 v1, v180, v2
	v_dot4c_i32_i8_e32 v1, v182, v3
	;; [unrolled: 1-line block ×4, first 2 shown]
	s_nop 2
	v_mul_lo_u32 v214, v1, v190
	v_mov_b32_e32 v1, 0
	v_dot4c_i32_i8_e32 v1, v185, v84
	v_dot4c_i32_i8_e32 v1, v187, v85
	;; [unrolled: 1-line block ×4, first 2 shown]
	s_nop 2
	v_mad_u64_u32 v[214:215], s[22:23], v1, v192, v[214:215]
	v_cvt_f32_i32_e32 v214, v214
	v_mul_f32_e32 v1, v186, v6
                                        ; kill: def $vgpr215 killed $sgpr0 killed $exec
	v_fmac_f32_e32 v39, v1, v214
	v_mov_b32_e32 v1, 0
	v_dot4c_i32_i8_e32 v1, v191, v2
	v_dot4c_i32_i8_e32 v1, v193, v3
	;; [unrolled: 1-line block ×4, first 2 shown]
	s_nop 2
	v_mul_lo_u32 v214, v1, v201
	v_mov_b32_e32 v1, 0
	v_dot4c_i32_i8_e32 v1, v196, v84
	v_dot4c_i32_i8_e32 v1, v198, v85
	;; [unrolled: 1-line block ×4, first 2 shown]
	s_nop 2
	v_mad_u64_u32 v[214:215], s[22:23], v1, v203, v[214:215]
	v_cvt_f32_i32_e32 v214, v214
	v_mul_f32_e32 v1, v197, v6
	v_fmac_f32_e32 v37, v1, v214
	v_mov_b32_e32 v1, 0
	v_dot4c_i32_i8_e32 v1, v202, v2
	v_dot4c_i32_i8_e32 v1, v204, v3
	;; [unrolled: 1-line block ×4, first 2 shown]
                                        ; kill: def $vgpr3 killed $sgpr0 killed $exec
	s_nop 2
	v_mul_lo_u32 v2, v1, v212
	v_mov_b32_e32 v1, 0
	v_dot4c_i32_i8_e32 v1, v207, v84
	v_dot4c_i32_i8_e32 v1, v209, v85
	;; [unrolled: 1-line block ×4, first 2 shown]
	s_nop 2
	v_mad_u64_u32 v[2:3], s[22:23], v1, v213, v[2:3]
	v_cvt_f32_i32_e32 v2, v2
	v_mul_f32_e32 v1, v208, v6
	v_fmac_f32_e32 v35, v1, v2
	ds_read_b128 v[2:5], v168 offset:30464
	ds_read_b128 v[84:87], v168 offset:30480
	v_mov_b32_e32 v1, 0
	s_waitcnt lgkmcnt(1)
	v_dot4c_i32_i8_e32 v1, v170, v2
	v_dot4c_i32_i8_e32 v1, v171, v3
	;; [unrolled: 1-line block ×4, first 2 shown]
	s_nop 2
	v_mul_lo_u32 v6, v1, v179
	v_mov_b32_e32 v1, 0
	s_waitcnt lgkmcnt(0)
	v_dot4c_i32_i8_e32 v1, v175, v84
	v_dot4c_i32_i8_e32 v1, v176, v85
	;; [unrolled: 1-line block ×4, first 2 shown]
	s_nop 2
	v_mad_u64_u32 v[214:215], s[22:23], v1, v181, v[6:7]
	v_cvt_f32_i32_e32 v6, v214
	v_mul_f32_e32 v1, v174, v7
	v_fmac_f32_e32 v33, v1, v6
	v_mov_b32_e32 v1, 0
	v_dot4c_i32_i8_e32 v1, v180, v2
	v_dot4c_i32_i8_e32 v1, v182, v3
	;; [unrolled: 1-line block ×4, first 2 shown]
	s_nop 2
	v_mul_lo_u32 v6, v1, v190
	v_mov_b32_e32 v1, 0
	v_dot4c_i32_i8_e32 v1, v185, v84
	v_dot4c_i32_i8_e32 v1, v187, v85
	;; [unrolled: 1-line block ×4, first 2 shown]
	s_nop 2
	v_mad_u64_u32 v[214:215], s[22:23], v1, v192, v[6:7]
	v_cvt_f32_i32_e32 v6, v214
	v_mul_f32_e32 v1, v186, v7
	v_fmac_f32_e32 v31, v1, v6
	v_mov_b32_e32 v1, 0
	v_dot4c_i32_i8_e32 v1, v191, v2
	v_dot4c_i32_i8_e32 v1, v193, v3
	;; [unrolled: 1-line block ×4, first 2 shown]
	s_nop 2
	v_mul_lo_u32 v6, v1, v201
	v_mov_b32_e32 v1, 0
	v_dot4c_i32_i8_e32 v1, v196, v84
	v_dot4c_i32_i8_e32 v1, v198, v85
	;; [unrolled: 1-line block ×4, first 2 shown]
	s_nop 2
	v_mad_u64_u32 v[214:215], s[22:23], v1, v203, v[6:7]
	v_cvt_f32_i32_e32 v6, v214
	v_mul_f32_e32 v1, v197, v7
	v_fmac_f32_e32 v29, v1, v6
	v_mov_b32_e32 v1, 0
	v_dot4c_i32_i8_e32 v1, v202, v2
	v_dot4c_i32_i8_e32 v1, v204, v3
	;; [unrolled: 1-line block ×4, first 2 shown]
                                        ; kill: def $vgpr3 killed $sgpr0 killed $exec
	s_nop 2
	v_mul_lo_u32 v2, v1, v212
	v_mov_b32_e32 v1, 0
	v_dot4c_i32_i8_e32 v1, v207, v84
	v_dot4c_i32_i8_e32 v1, v209, v85
	;; [unrolled: 1-line block ×4, first 2 shown]
	v_mov_b32_e32 v86, 0
	v_mov_b32_e32 v87, 0
	s_nop 0
	v_mad_u64_u32 v[2:3], s[22:23], v1, v213, v[2:3]
	v_cvt_f32_i32_e32 v2, v2
	v_mul_f32_e32 v1, v208, v7
	v_fmac_f32_e32 v27, v1, v2
	ds_read2_b32 v[84:85], v0 offset0:168 offset1:200
	ds_read_b128 v[4:7], v168 offset:31488
	ds_read_b128 v[0:3], v168 offset:31504
	s_waitcnt lgkmcnt(1)
	v_dot4c_i32_i8_e32 v86, v170, v4
	v_dot4c_i32_i8_e32 v86, v171, v5
	s_waitcnt lgkmcnt(0)
	v_dot4c_i32_i8_e32 v87, v175, v0
	v_dot4c_i32_i8_e32 v86, v172, v6
	;; [unrolled: 1-line block ×6, first 2 shown]
	s_nop 0
	v_mul_lo_u32 v86, v86, v179
	s_nop 0
	v_mad_u64_u32 v[86:87], s[22:23], v87, v181, v[86:87]
	v_cvt_f32_i32_e32 v86, v86
	v_mul_f32_e32 v87, v174, v84
	v_fmac_f32_e32 v25, v87, v86
	v_mov_b32_e32 v86, 0
	v_dot4c_i32_i8_e32 v86, v180, v4
	v_mov_b32_e32 v87, 0
	v_dot4c_i32_i8_e32 v86, v182, v5
	v_dot4c_i32_i8_e32 v87, v185, v0
	;; [unrolled: 1-line block ×7, first 2 shown]
	s_nop 0
	v_mul_lo_u32 v86, v86, v190
	s_nop 0
	v_mad_u64_u32 v[86:87], s[22:23], v87, v192, v[86:87]
	v_cvt_f32_i32_e32 v86, v86
	v_mul_f32_e32 v87, v186, v84
	v_fmac_f32_e32 v23, v87, v86
	v_mov_b32_e32 v86, 0
	v_dot4c_i32_i8_e32 v86, v191, v4
	v_mov_b32_e32 v87, 0
	v_dot4c_i32_i8_e32 v86, v193, v5
	v_dot4c_i32_i8_e32 v87, v196, v0
	;; [unrolled: 1-line block ×7, first 2 shown]
	s_nop 0
	v_mul_lo_u32 v86, v86, v201
	s_nop 0
	v_mad_u64_u32 v[86:87], s[22:23], v87, v203, v[86:87]
	v_cvt_f32_i32_e32 v86, v86
	v_mul_f32_e32 v87, v197, v84
	v_fmac_f32_e32 v21, v87, v86
	v_mov_b32_e32 v86, 0
	v_dot4c_i32_i8_e32 v86, v202, v4
	v_dot4c_i32_i8_e32 v86, v204, v5
	v_mov_b32_e32 v5, 0
	v_dot4c_i32_i8_e32 v5, v207, v0
	v_dot4c_i32_i8_e32 v86, v205, v6
	;; [unrolled: 1-line block ×6, first 2 shown]
	s_nop 0
	v_mul_lo_u32 v4, v86, v212
	v_mov_b32_e32 v86, 0
	v_mad_u64_u32 v[0:1], s[22:23], v5, v213, v[4:5]
	v_cvt_f32_i32_e32 v0, v0
	v_mul_f32_e32 v1, v208, v84
	v_mov_b32_e32 v84, 0
	v_fmac_f32_e32 v19, v1, v0
	ds_read_b128 v[0:3], v168 offset:32512
	ds_read_b128 v[4:7], v168 offset:32528
	v_add_u32_e32 v168, 32, v168
	s_waitcnt lgkmcnt(1)
	v_dot4c_i32_i8_e32 v84, v170, v0
	v_dot4c_i32_i8_e32 v84, v171, v1
	s_waitcnt lgkmcnt(0)
	v_dot4c_i32_i8_e32 v86, v175, v4
	v_dot4c_i32_i8_e32 v84, v172, v2
	;; [unrolled: 1-line block ×6, first 2 shown]
	s_nop 0
	v_mul_lo_u32 v84, v84, v179
	s_nop 0
	v_mad_u64_u32 v[86:87], s[22:23], v86, v181, v[84:85]
	v_cvt_f32_i32_e32 v86, v86
	v_mul_f32_e32 v84, v174, v85
	v_fmac_f32_e32 v17, v84, v86
	v_mov_b32_e32 v84, 0
	v_dot4c_i32_i8_e32 v84, v180, v0
	v_mov_b32_e32 v86, 0
	v_dot4c_i32_i8_e32 v84, v182, v1
	v_dot4c_i32_i8_e32 v86, v185, v4
	;; [unrolled: 1-line block ×7, first 2 shown]
	s_nop 0
	v_mul_lo_u32 v84, v84, v190
	s_nop 0
	v_mad_u64_u32 v[86:87], s[22:23], v86, v192, v[84:85]
	v_cvt_f32_i32_e32 v86, v86
	v_mul_f32_e32 v84, v186, v85
	v_fmac_f32_e32 v15, v84, v86
	v_mov_b32_e32 v84, 0
	v_dot4c_i32_i8_e32 v84, v191, v0
	v_mov_b32_e32 v86, 0
	v_dot4c_i32_i8_e32 v84, v193, v1
	v_dot4c_i32_i8_e32 v86, v196, v4
	;; [unrolled: 1-line block ×7, first 2 shown]
	s_nop 0
	v_mul_lo_u32 v84, v84, v201
	s_nop 0
	v_mad_u64_u32 v[86:87], s[22:23], v86, v203, v[84:85]
	v_cvt_f32_i32_e32 v86, v86
	v_mul_f32_e32 v84, v197, v85
	v_fmac_f32_e32 v13, v84, v86
	v_mov_b32_e32 v84, 0
	v_dot4c_i32_i8_e32 v84, v202, v0
	v_dot4c_i32_i8_e32 v84, v204, v1
	v_mov_b32_e32 v1, 0
	v_dot4c_i32_i8_e32 v1, v207, v4
	v_dot4c_i32_i8_e32 v84, v205, v2
	;; [unrolled: 1-line block ×6, first 2 shown]
	s_nop 0
	v_mul_lo_u32 v0, v84, v212
	s_nop 0
	v_mad_u64_u32 v[0:1], s[22:23], v1, v213, v[0:1]
	v_cvt_f32_i32_e32 v0, v0
	v_mul_f32_e32 v1, v208, v85
	s_mov_b32 s22, s21
	v_fmac_f32_e32 v9, v1, v0
	s_cbranch_scc1 .LBB169_9
; %bb.10:                               ;   in Loop: Header=BB169_6 Depth=1
	s_or_b32 s19, s14, 1
	s_cmp_ge_i32 s19, s4
	s_barrier
	s_cbranch_scc1 .LBB169_5
; %bb.11:                               ;   in Loop: Header=BB169_6 Depth=1
	v_add_u32_e32 v170, s18, v142
	v_add_u32_e32 v0, v170, v109
	v_add_u32_e32 v2, v170, v112
	v_add_u32_e32 v4, v170, v115
	v_add_u32_e32 v6, v170, v117
	v_add_u32_e32 v172, 8, v167
	v_mad_i64_i32 v[0:1], s[20:21], v0, 36, v[80:81]
	v_mad_i64_i32 v[2:3], s[20:21], v2, 36, v[80:81]
	;; [unrolled: 1-line block ×4, first 2 shown]
	v_add_u32_e32 v84, v170, v119
	v_add_u32_e32 v86, v170, v121
	;; [unrolled: 1-line block ×4, first 2 shown]
	v_mad_u64_u32 v[172:173], s[20:21], v172, 36, s[2:3]
	v_mad_i64_i32 v[84:85], s[20:21], v84, 36, v[80:81]
	v_mad_i64_i32 v[86:87], s[20:21], v86, 36, v[80:81]
	;; [unrolled: 1-line block ×4, first 2 shown]
	global_load_dword v172, v[172:173], off
	s_nop 0
	global_load_dword v0, v[0:1], off offset:4
	s_nop 0
	global_load_dword v1, v[2:3], off offset:4
	;; [unrolled: 2-line block ×3, first 2 shown]
	global_load_dword v3, v[6:7], off offset:4
	s_nop 0
	global_load_dword v4, v[84:85], off offset:4
	global_load_dword v5, v[86:87], off offset:4
	;; [unrolled: 1-line block ×4, first 2 shown]
	s_mov_b32 s19, 16
	s_mov_b32 s22, 14
	;; [unrolled: 1-line block ×3, first 2 shown]
	v_mov_b32_e32 v168, v153
	v_mov_b32_e32 v169, v152
	s_waitcnt vmcnt(8)
	v_cvt_f32_f16_e32 v84, v172
	s_waitcnt vmcnt(7)
	ds_write_b32 v111, v0
	s_waitcnt vmcnt(6)
	ds_write_b32 v113, v1
	;; [unrolled: 2-line block ×8, first 2 shown]
	ds_write_b32 v108, v84
	s_waitcnt lgkmcnt(0)
	s_barrier
.LBB169_12:                             ;   Parent Loop BB169_6 Depth=1
                                        ; =>  This Inner Loop Header: Depth=2
	s_add_i32 s21, s22, 2
	s_lshr_b32 s26, s21, 4
	s_and_b32 s25, s21, 0x3ffffff8
	s_lshl_b32 s24, s26, 3
	s_lshl_b32 s25, s25, 2
	v_add_lshl_u32 v180, v129, s24, 2
	v_add_u32_e32 v87, s25, v130
	v_add_u32_e32 v172, 0x4200, v180
	ds_read2_b32 v[84:85], v169 offset1:32
	ds_read_b128 v[4:7], v168
	ds_read_b128 v[0:3], v168 offset:16
	ds_read2_b32 v[170:171], v87 offset1:1
	ds_read2_b32 v[172:173], v172 offset1:1
	s_and_b32 s23, s19, -16
	v_add_u32_e32 v86, s23, v128
	s_add_i32 s23, s22, -14
	s_waitcnt lgkmcnt(1)
	v_ashrrev_i32_e32 v170, s23, v170
	s_waitcnt lgkmcnt(0)
	v_ashrrev_i32_e32 v172, s20, v172
	v_lshlrev_b32_e32 v172, 2, v172
	v_and_b32_e32 v174, 0x3030303, v170
	v_bfe_u32 v170, v170, 24, 2
	v_and_b32_e32 v172, 0x4040404, v172
	v_ashrrev_i32_e32 v173, s20, v173
	v_sub_u16_e32 v175, v174, v172
	v_sub_u16_sdwa v176, v174, v172 dst_sel:BYTE_1 dst_unused:UNUSED_PAD src0_sel:BYTE_1 src1_sel:BYTE_1
	v_sub_u16_sdwa v170, v170, v172 dst_sel:BYTE_1 dst_unused:UNUSED_PAD src0_sel:DWORD src1_sel:BYTE_3
	v_sub_u16_sdwa v172, v174, v172 dst_sel:DWORD dst_unused:UNUSED_PAD src0_sel:WORD_1 src1_sel:WORD_1
	v_ashrrev_i32_e32 v171, s23, v171
	v_lshlrev_b32_e32 v173, 2, v173
	v_or_b32_sdwa v175, v175, v176 dst_sel:DWORD dst_unused:UNUSED_PAD src0_sel:BYTE_0 src1_sel:DWORD
	v_or_b32_sdwa v170, v172, v170 dst_sel:WORD_1 dst_unused:UNUSED_PAD src0_sel:BYTE_0 src1_sel:DWORD
	v_and_b32_e32 v172, 0x3030303, v171
	v_bfe_u32 v171, v171, 24, 2
	v_and_b32_e32 v173, 0x4040404, v173
	v_or_b32_sdwa v170, v175, v170 dst_sel:DWORD dst_unused:UNUSED_PAD src0_sel:WORD_0 src1_sel:DWORD
	v_sub_u16_e32 v174, v172, v173
	v_sub_u16_sdwa v175, v172, v173 dst_sel:BYTE_1 dst_unused:UNUSED_PAD src0_sel:BYTE_1 src1_sel:BYTE_1
	v_sub_u16_sdwa v171, v171, v173 dst_sel:BYTE_1 dst_unused:UNUSED_PAD src0_sel:DWORD src1_sel:BYTE_3
	v_sub_u16_sdwa v172, v172, v173 dst_sel:DWORD dst_unused:UNUSED_PAD src0_sel:WORD_1 src1_sel:WORD_1
	v_or_b32_sdwa v174, v174, v175 dst_sel:DWORD dst_unused:UNUSED_PAD src0_sel:BYTE_0 src1_sel:DWORD
	v_or_b32_sdwa v171, v172, v171 dst_sel:WORD_1 dst_unused:UNUSED_PAD src0_sel:BYTE_0 src1_sel:DWORD
	ds_read2_b32 v[172:173], v87 offset0:2 offset1:3
	v_or_b32_sdwa v171, v174, v171 dst_sel:DWORD dst_unused:UNUSED_PAD src0_sel:WORD_0 src1_sel:DWORD
	v_add_u32_e32 v174, 0x4208, v180
	ds_read2_b32 v[174:175], v174 offset1:1
	s_lshl_b32 s26, s26, 2
	s_waitcnt lgkmcnt(1)
	v_ashrrev_i32_e32 v172, s23, v172
	v_and_b32_e32 v176, 0x3030303, v172
	v_bfe_u32 v172, v172, 24, 2
	s_waitcnt lgkmcnt(0)
	v_ashrrev_i32_e32 v174, s20, v174
	v_lshlrev_b32_e32 v174, 2, v174
	v_and_b32_e32 v174, 0x4040404, v174
	v_ashrrev_i32_e32 v175, s20, v175
	v_sub_u16_e32 v177, v176, v174
	v_sub_u16_sdwa v178, v176, v174 dst_sel:BYTE_1 dst_unused:UNUSED_PAD src0_sel:BYTE_1 src1_sel:BYTE_1
	v_sub_u16_sdwa v172, v172, v174 dst_sel:BYTE_1 dst_unused:UNUSED_PAD src0_sel:DWORD src1_sel:BYTE_3
	v_sub_u16_sdwa v174, v176, v174 dst_sel:DWORD dst_unused:UNUSED_PAD src0_sel:WORD_1 src1_sel:WORD_1
	v_ashrrev_i32_e32 v173, s23, v173
	v_lshlrev_b32_e32 v175, 2, v175
	v_or_b32_sdwa v177, v177, v178 dst_sel:DWORD dst_unused:UNUSED_PAD src0_sel:BYTE_0 src1_sel:DWORD
	v_or_b32_sdwa v172, v174, v172 dst_sel:WORD_1 dst_unused:UNUSED_PAD src0_sel:BYTE_0 src1_sel:DWORD
	v_and_b32_e32 v174, 0x3030303, v173
	v_bfe_u32 v173, v173, 24, 2
	v_and_b32_e32 v175, 0x4040404, v175
	v_or_b32_sdwa v172, v177, v172 dst_sel:DWORD dst_unused:UNUSED_PAD src0_sel:WORD_0 src1_sel:DWORD
	v_sub_u16_e32 v176, v174, v175
	v_sub_u16_sdwa v177, v174, v175 dst_sel:BYTE_1 dst_unused:UNUSED_PAD src0_sel:BYTE_1 src1_sel:BYTE_1
	v_sub_u16_sdwa v173, v173, v175 dst_sel:BYTE_1 dst_unused:UNUSED_PAD src0_sel:DWORD src1_sel:BYTE_3
	v_sub_u16_sdwa v174, v174, v175 dst_sel:DWORD dst_unused:UNUSED_PAD src0_sel:WORD_1 src1_sel:WORD_1
	v_or_b32_sdwa v176, v176, v177 dst_sel:DWORD dst_unused:UNUSED_PAD src0_sel:BYTE_0 src1_sel:DWORD
	v_or_b32_sdwa v173, v174, v173 dst_sel:WORD_1 dst_unused:UNUSED_PAD src0_sel:BYTE_0 src1_sel:DWORD
	v_add_lshl_u32 v190, v132, s24, 2
	v_or_b32_sdwa v173, v176, v173 dst_sel:DWORD dst_unused:UNUSED_PAD src0_sel:WORD_0 src1_sel:DWORD
	ds_read2_b32 v[176:177], v87 offset0:4 offset1:5
	v_add_u32_e32 v184, 0x4200, v190
	v_add_lshl_u32 v212, v138, s24, 2
	v_add_lshl_u32 v202, v135, s24, 2
	v_add_u32_e32 v206, 0x4200, v212
	s_waitcnt lgkmcnt(0)
	v_ashrrev_i32_e32 v174, s23, v176
	v_add_u32_e32 v176, 0x4210, v180
	ds_read2_b32 v[178:179], v176 offset1:1
	v_and_b32_e32 v175, 0x3030303, v174
	v_bfe_u32 v174, v174, 24, 2
	s_add_i32 s19, s19, 2
	ds_read2_b32 v[184:185], v184 offset1:1
	s_waitcnt lgkmcnt(1)
	v_ashrrev_i32_e32 v176, s20, v178
	v_lshlrev_b32_e32 v176, 2, v176
	v_and_b32_e32 v176, 0x4040404, v176
	v_sub_u16_e32 v178, v175, v176
	v_sub_u16_sdwa v181, v175, v176 dst_sel:BYTE_1 dst_unused:UNUSED_PAD src0_sel:BYTE_1 src1_sel:BYTE_1
	v_sub_u16_sdwa v174, v174, v176 dst_sel:BYTE_1 dst_unused:UNUSED_PAD src0_sel:DWORD src1_sel:BYTE_3
	v_sub_u16_sdwa v175, v175, v176 dst_sel:DWORD dst_unused:UNUSED_PAD src0_sel:WORD_1 src1_sel:WORD_1
	v_or_b32_sdwa v178, v178, v181 dst_sel:DWORD dst_unused:UNUSED_PAD src0_sel:BYTE_0 src1_sel:DWORD
	v_or_b32_sdwa v174, v175, v174 dst_sel:WORD_1 dst_unused:UNUSED_PAD src0_sel:BYTE_0 src1_sel:DWORD
	s_waitcnt lgkmcnt(0)
	v_ashrrev_i32_e32 v184, s20, v184
	v_or_b32_sdwa v175, v178, v174 dst_sel:DWORD dst_unused:UNUSED_PAD src0_sel:WORD_0 src1_sel:DWORD
	v_ashrrev_i32_e32 v174, s23, v177
	v_ashrrev_i32_e32 v177, s20, v179
	v_lshlrev_b32_e32 v177, 2, v177
	v_and_b32_e32 v176, 0x3030303, v174
	v_bfe_u32 v174, v174, 24, 2
	v_and_b32_e32 v177, 0x4040404, v177
	v_sub_u16_e32 v178, v176, v177
	v_sub_u16_sdwa v179, v176, v177 dst_sel:BYTE_1 dst_unused:UNUSED_PAD src0_sel:BYTE_1 src1_sel:BYTE_1
	v_sub_u16_sdwa v174, v174, v177 dst_sel:BYTE_1 dst_unused:UNUSED_PAD src0_sel:DWORD src1_sel:BYTE_3
	v_sub_u16_sdwa v176, v176, v177 dst_sel:DWORD dst_unused:UNUSED_PAD src0_sel:WORD_1 src1_sel:WORD_1
	v_or_b32_sdwa v178, v178, v179 dst_sel:DWORD dst_unused:UNUSED_PAD src0_sel:BYTE_0 src1_sel:DWORD
	v_or_b32_sdwa v174, v176, v174 dst_sel:WORD_1 dst_unused:UNUSED_PAD src0_sel:BYTE_0 src1_sel:DWORD
	v_add_u32_e32 v177, 0x4218, v180
	v_or_b32_sdwa v176, v178, v174 dst_sel:DWORD dst_unused:UNUSED_PAD src0_sel:WORD_0 src1_sel:DWORD
	ds_read2_b32 v[178:179], v87 offset0:6 offset1:7
	ds_read2_b32 v[180:181], v177 offset1:1
	v_lshlrev_b32_e32 v184, 2, v184
	v_and_b32_e32 v184, 0x4040404, v184
	ds_read2_b32 v[206:207], v206 offset1:1
	s_waitcnt lgkmcnt(2)
	v_ashrrev_i32_e32 v87, s23, v178
	s_waitcnt lgkmcnt(1)
	v_ashrrev_i32_e32 v177, s20, v180
	v_lshlrev_b32_e32 v177, 2, v177
	v_and_b32_e32 v174, 0x3030303, v87
	v_bfe_u32 v87, v87, 24, 2
	v_and_b32_e32 v177, 0x4040404, v177
	v_sub_u16_e32 v178, v174, v177
	v_sub_u16_sdwa v180, v174, v177 dst_sel:BYTE_1 dst_unused:UNUSED_PAD src0_sel:BYTE_1 src1_sel:BYTE_1
	v_sub_u16_sdwa v87, v87, v177 dst_sel:BYTE_1 dst_unused:UNUSED_PAD src0_sel:DWORD src1_sel:BYTE_3
	v_sub_u16_sdwa v174, v174, v177 dst_sel:DWORD dst_unused:UNUSED_PAD src0_sel:WORD_1 src1_sel:WORD_1
	v_or_b32_sdwa v178, v178, v180 dst_sel:DWORD dst_unused:UNUSED_PAD src0_sel:BYTE_0 src1_sel:DWORD
	v_or_b32_sdwa v87, v174, v87 dst_sel:WORD_1 dst_unused:UNUSED_PAD src0_sel:BYTE_0 src1_sel:DWORD
	s_waitcnt lgkmcnt(0)
	v_ashrrev_i32_e32 v206, s20, v206
	v_or_b32_sdwa v177, v178, v87 dst_sel:DWORD dst_unused:UNUSED_PAD src0_sel:WORD_0 src1_sel:DWORD
	v_ashrrev_i32_e32 v178, s20, v181
	v_ashrrev_i32_e32 v87, s23, v179
	v_lshlrev_b32_e32 v178, 2, v178
	v_and_b32_e32 v174, 0x3030303, v87
	v_bfe_u32 v87, v87, 24, 2
	v_and_b32_e32 v178, 0x4040404, v178
	v_sub_u16_e32 v179, v174, v178
	v_sub_u16_sdwa v180, v174, v178 dst_sel:BYTE_1 dst_unused:UNUSED_PAD src0_sel:BYTE_1 src1_sel:BYTE_1
	v_sub_u16_sdwa v87, v87, v178 dst_sel:BYTE_1 dst_unused:UNUSED_PAD src0_sel:DWORD src1_sel:BYTE_3
	v_sub_u16_sdwa v174, v174, v178 dst_sel:DWORD dst_unused:UNUSED_PAD src0_sel:WORD_1 src1_sel:WORD_1
	v_or_b32_sdwa v179, v179, v180 dst_sel:DWORD dst_unused:UNUSED_PAD src0_sel:BYTE_0 src1_sel:DWORD
	v_or_b32_sdwa v87, v174, v87 dst_sel:WORD_1 dst_unused:UNUSED_PAD src0_sel:BYTE_0 src1_sel:DWORD
	v_add_u32_e32 v174, s26, v131
	v_or_b32_sdwa v178, v179, v87 dst_sel:DWORD dst_unused:UNUSED_PAD src0_sel:WORD_0 src1_sel:DWORD
	v_add3_u32 v87, v144, s22, v86
	ds_read_b32 v174, v174
	ds_read_u16 v87, v87 offset:33522
	v_mov_b32_e32 v180, 0
	v_dot4c_i32_i8_e32 v180, v170, v4
	v_dot4c_i32_i8_e32 v180, v171, v5
	;; [unrolled: 1-line block ×3, first 2 shown]
	s_waitcnt lgkmcnt(0)
	v_lshrrev_b16_e32 v181, 8, v87
	v_bfe_i32 v179, v87, 0, 8
	v_mov_b32_e32 v87, 0
	v_dot4c_i32_i8_e32 v87, v175, v0
	v_dot4c_i32_i8_e32 v87, v176, v1
	v_dot4c_i32_i8_e32 v180, v173, v7
	v_dot4c_i32_i8_e32 v87, v177, v2
	v_dot4c_i32_i8_e32 v87, v178, v3
	v_bfe_i32 v181, v181, 0, 8
	v_mul_lo_u32 v180, v180, v179
	v_lshlrev_b32_e32 v206, 2, v206
	v_mad_u64_u32 v[182:183], s[28:29], v87, v181, v[180:181]
	v_cvt_f32_i32_e32 v180, v182
	v_mul_f32_e32 v87, v84, v174
	v_and_b32_e32 v206, 0x4040404, v206
	v_fmac_f32_e32 v124, v87, v180
	v_add_u32_e32 v87, s25, v133
	ds_read2_b32 v[182:183], v87 offset1:1
	s_waitcnt lgkmcnt(0)
	v_ashrrev_i32_e32 v180, s23, v182
	v_and_b32_e32 v182, 0x3030303, v180
	v_bfe_u32 v180, v180, 24, 2
	v_sub_u16_e32 v186, v182, v184
	v_sub_u16_sdwa v187, v182, v184 dst_sel:BYTE_1 dst_unused:UNUSED_PAD src0_sel:BYTE_1 src1_sel:BYTE_1
	v_sub_u16_sdwa v180, v180, v184 dst_sel:BYTE_1 dst_unused:UNUSED_PAD src0_sel:DWORD src1_sel:BYTE_3
	v_sub_u16_sdwa v182, v182, v184 dst_sel:DWORD dst_unused:UNUSED_PAD src0_sel:WORD_1 src1_sel:WORD_1
	v_ashrrev_i32_e32 v184, s20, v185
	v_or_b32_sdwa v180, v182, v180 dst_sel:WORD_1 dst_unused:UNUSED_PAD src0_sel:BYTE_0 src1_sel:DWORD
	v_ashrrev_i32_e32 v182, s23, v183
	v_lshlrev_b32_e32 v184, 2, v184
	v_or_b32_sdwa v186, v186, v187 dst_sel:DWORD dst_unused:UNUSED_PAD src0_sel:BYTE_0 src1_sel:DWORD
	v_and_b32_e32 v183, 0x3030303, v182
	v_bfe_u32 v182, v182, 24, 2
	v_and_b32_e32 v184, 0x4040404, v184
	v_or_b32_sdwa v180, v186, v180 dst_sel:DWORD dst_unused:UNUSED_PAD src0_sel:WORD_0 src1_sel:DWORD
	v_sub_u16_e32 v185, v183, v184
	v_sub_u16_sdwa v186, v183, v184 dst_sel:BYTE_1 dst_unused:UNUSED_PAD src0_sel:BYTE_1 src1_sel:BYTE_1
	v_sub_u16_sdwa v182, v182, v184 dst_sel:BYTE_1 dst_unused:UNUSED_PAD src0_sel:DWORD src1_sel:BYTE_3
	v_sub_u16_sdwa v183, v183, v184 dst_sel:DWORD dst_unused:UNUSED_PAD src0_sel:WORD_1 src1_sel:WORD_1
	v_or_b32_sdwa v185, v185, v186 dst_sel:DWORD dst_unused:UNUSED_PAD src0_sel:BYTE_0 src1_sel:DWORD
	v_or_b32_sdwa v182, v183, v182 dst_sel:WORD_1 dst_unused:UNUSED_PAD src0_sel:BYTE_0 src1_sel:DWORD
	v_add_u32_e32 v186, 0x4208, v190
	v_or_b32_sdwa v182, v185, v182 dst_sel:DWORD dst_unused:UNUSED_PAD src0_sel:WORD_0 src1_sel:DWORD
	ds_read2_b32 v[184:185], v87 offset0:2 offset1:3
	ds_read2_b32 v[186:187], v186 offset1:1
	s_waitcnt lgkmcnt(1)
	v_ashrrev_i32_e32 v183, s23, v184
	s_waitcnt lgkmcnt(0)
	v_ashrrev_i32_e32 v186, s20, v186
	v_lshlrev_b32_e32 v186, 2, v186
	v_and_b32_e32 v184, 0x3030303, v183
	v_bfe_u32 v183, v183, 24, 2
	v_and_b32_e32 v186, 0x4040404, v186
	v_sub_u16_e32 v188, v184, v186
	v_sub_u16_sdwa v189, v184, v186 dst_sel:BYTE_1 dst_unused:UNUSED_PAD src0_sel:BYTE_1 src1_sel:BYTE_1
	v_sub_u16_sdwa v183, v183, v186 dst_sel:BYTE_1 dst_unused:UNUSED_PAD src0_sel:DWORD src1_sel:BYTE_3
	v_sub_u16_sdwa v184, v184, v186 dst_sel:DWORD dst_unused:UNUSED_PAD src0_sel:WORD_1 src1_sel:WORD_1
	v_ashrrev_i32_e32 v186, s20, v187
	v_or_b32_sdwa v183, v184, v183 dst_sel:WORD_1 dst_unused:UNUSED_PAD src0_sel:BYTE_0 src1_sel:DWORD
	v_ashrrev_i32_e32 v184, s23, v185
	v_lshlrev_b32_e32 v186, 2, v186
	v_or_b32_sdwa v188, v188, v189 dst_sel:DWORD dst_unused:UNUSED_PAD src0_sel:BYTE_0 src1_sel:DWORD
	v_and_b32_e32 v185, 0x3030303, v184
	v_bfe_u32 v184, v184, 24, 2
	v_and_b32_e32 v186, 0x4040404, v186
	v_or_b32_sdwa v183, v188, v183 dst_sel:DWORD dst_unused:UNUSED_PAD src0_sel:WORD_0 src1_sel:DWORD
	v_sub_u16_e32 v187, v185, v186
	v_sub_u16_sdwa v188, v185, v186 dst_sel:BYTE_1 dst_unused:UNUSED_PAD src0_sel:BYTE_1 src1_sel:BYTE_1
	v_sub_u16_sdwa v184, v184, v186 dst_sel:BYTE_1 dst_unused:UNUSED_PAD src0_sel:DWORD src1_sel:BYTE_3
	v_sub_u16_sdwa v185, v185, v186 dst_sel:DWORD dst_unused:UNUSED_PAD src0_sel:WORD_1 src1_sel:WORD_1
	v_or_b32_sdwa v187, v187, v188 dst_sel:DWORD dst_unused:UNUSED_PAD src0_sel:BYTE_0 src1_sel:DWORD
	v_or_b32_sdwa v184, v185, v184 dst_sel:WORD_1 dst_unused:UNUSED_PAD src0_sel:BYTE_0 src1_sel:DWORD
	v_add_u32_e32 v188, 0x4210, v190
	v_or_b32_sdwa v184, v187, v184 dst_sel:DWORD dst_unused:UNUSED_PAD src0_sel:WORD_0 src1_sel:DWORD
	ds_read2_b32 v[186:187], v87 offset0:4 offset1:5
	ds_read2_b32 v[188:189], v188 offset1:1
	s_waitcnt lgkmcnt(1)
	v_ashrrev_i32_e32 v185, s23, v186
	s_waitcnt lgkmcnt(0)
	v_ashrrev_i32_e32 v188, s20, v188
	v_lshlrev_b32_e32 v188, 2, v188
	v_and_b32_e32 v186, 0x3030303, v185
	v_bfe_u32 v185, v185, 24, 2
	v_and_b32_e32 v188, 0x4040404, v188
	v_sub_u16_e32 v191, v186, v188
	v_sub_u16_sdwa v192, v186, v188 dst_sel:BYTE_1 dst_unused:UNUSED_PAD src0_sel:BYTE_1 src1_sel:BYTE_1
	v_sub_u16_sdwa v185, v185, v188 dst_sel:BYTE_1 dst_unused:UNUSED_PAD src0_sel:DWORD src1_sel:BYTE_3
	v_sub_u16_sdwa v186, v186, v188 dst_sel:DWORD dst_unused:UNUSED_PAD src0_sel:WORD_1 src1_sel:WORD_1
	v_ashrrev_i32_e32 v188, s20, v189
	v_or_b32_sdwa v185, v186, v185 dst_sel:WORD_1 dst_unused:UNUSED_PAD src0_sel:BYTE_0 src1_sel:DWORD
	v_ashrrev_i32_e32 v186, s23, v187
	v_lshlrev_b32_e32 v188, 2, v188
	v_or_b32_sdwa v191, v191, v192 dst_sel:DWORD dst_unused:UNUSED_PAD src0_sel:BYTE_0 src1_sel:DWORD
	v_and_b32_e32 v187, 0x3030303, v186
	v_bfe_u32 v186, v186, 24, 2
	v_and_b32_e32 v188, 0x4040404, v188
	v_or_b32_sdwa v185, v191, v185 dst_sel:DWORD dst_unused:UNUSED_PAD src0_sel:WORD_0 src1_sel:DWORD
	v_sub_u16_e32 v189, v187, v188
	v_sub_u16_sdwa v191, v187, v188 dst_sel:BYTE_1 dst_unused:UNUSED_PAD src0_sel:BYTE_1 src1_sel:BYTE_1
	v_sub_u16_sdwa v186, v186, v188 dst_sel:BYTE_1 dst_unused:UNUSED_PAD src0_sel:DWORD src1_sel:BYTE_3
	v_sub_u16_sdwa v187, v187, v188 dst_sel:DWORD dst_unused:UNUSED_PAD src0_sel:WORD_1 src1_sel:WORD_1
	v_or_b32_sdwa v189, v189, v191 dst_sel:DWORD dst_unused:UNUSED_PAD src0_sel:BYTE_0 src1_sel:DWORD
	v_or_b32_sdwa v186, v187, v186 dst_sel:WORD_1 dst_unused:UNUSED_PAD src0_sel:BYTE_0 src1_sel:DWORD
	s_nop 0
	v_or_b32_sdwa v187, v189, v186 dst_sel:DWORD dst_unused:UNUSED_PAD src0_sel:WORD_0 src1_sel:DWORD
	ds_read2_b32 v[188:189], v87 offset0:6 offset1:7
	s_waitcnt lgkmcnt(0)
	v_ashrrev_i32_e32 v87, s23, v188
	v_add_u32_e32 v188, 0x4218, v190
	ds_read2_b32 v[190:191], v188 offset1:1
	v_and_b32_e32 v186, 0x3030303, v87
	v_bfe_u32 v87, v87, 24, 2
	s_waitcnt lgkmcnt(0)
	v_ashrrev_i32_e32 v188, s20, v190
	v_lshlrev_b32_e32 v188, 2, v188
	v_and_b32_e32 v188, 0x4040404, v188
	v_sub_u16_e32 v190, v186, v188
	v_sub_u16_sdwa v192, v186, v188 dst_sel:BYTE_1 dst_unused:UNUSED_PAD src0_sel:BYTE_1 src1_sel:BYTE_1
	v_sub_u16_sdwa v87, v87, v188 dst_sel:BYTE_1 dst_unused:UNUSED_PAD src0_sel:DWORD src1_sel:BYTE_3
	v_sub_u16_sdwa v186, v186, v188 dst_sel:DWORD dst_unused:UNUSED_PAD src0_sel:WORD_1 src1_sel:WORD_1
	v_or_b32_sdwa v190, v190, v192 dst_sel:DWORD dst_unused:UNUSED_PAD src0_sel:BYTE_0 src1_sel:DWORD
	v_or_b32_sdwa v87, v186, v87 dst_sel:WORD_1 dst_unused:UNUSED_PAD src0_sel:BYTE_0 src1_sel:DWORD
	s_nop 0
	v_or_b32_sdwa v188, v190, v87 dst_sel:DWORD dst_unused:UNUSED_PAD src0_sel:WORD_0 src1_sel:DWORD
	v_ashrrev_i32_e32 v87, s23, v189
	v_ashrrev_i32_e32 v189, s20, v191
	v_lshlrev_b32_e32 v189, 2, v189
	v_and_b32_e32 v186, 0x3030303, v87
	v_bfe_u32 v87, v87, 24, 2
	v_and_b32_e32 v189, 0x4040404, v189
	v_sub_u16_e32 v190, v186, v189
	v_sub_u16_sdwa v191, v186, v189 dst_sel:BYTE_1 dst_unused:UNUSED_PAD src0_sel:BYTE_1 src1_sel:BYTE_1
	v_sub_u16_sdwa v87, v87, v189 dst_sel:BYTE_1 dst_unused:UNUSED_PAD src0_sel:DWORD src1_sel:BYTE_3
	v_sub_u16_sdwa v186, v186, v189 dst_sel:DWORD dst_unused:UNUSED_PAD src0_sel:WORD_1 src1_sel:WORD_1
	v_or_b32_sdwa v190, v190, v191 dst_sel:DWORD dst_unused:UNUSED_PAD src0_sel:BYTE_0 src1_sel:DWORD
	v_or_b32_sdwa v87, v186, v87 dst_sel:WORD_1 dst_unused:UNUSED_PAD src0_sel:BYTE_0 src1_sel:DWORD
	v_add_u32_e32 v186, s26, v134
	v_or_b32_sdwa v189, v190, v87 dst_sel:DWORD dst_unused:UNUSED_PAD src0_sel:WORD_0 src1_sel:DWORD
	v_add3_u32 v87, v146, s22, v86
	ds_read_b32 v186, v186
	ds_read_u16 v87, v87 offset:34546
	v_mov_b32_e32 v191, 0
	v_dot4c_i32_i8_e32 v191, v180, v4
	v_dot4c_i32_i8_e32 v191, v182, v5
	;; [unrolled: 1-line block ×3, first 2 shown]
	s_waitcnt lgkmcnt(0)
	v_lshrrev_b16_e32 v192, 8, v87
	v_bfe_i32 v190, v87, 0, 8
	v_mov_b32_e32 v87, 0
	v_dot4c_i32_i8_e32 v87, v185, v0
	v_dot4c_i32_i8_e32 v87, v187, v1
	;; [unrolled: 1-line block ×5, first 2 shown]
	v_bfe_i32 v192, v192, 0, 8
	v_mul_lo_u32 v194, v191, v190
	s_nop 0
	v_mad_u64_u32 v[194:195], s[28:29], v87, v192, v[194:195]
	v_cvt_f32_i32_e32 v191, v194
	v_mul_f32_e32 v87, v84, v186
	v_fmac_f32_e32 v114, v87, v191
	v_add_u32_e32 v87, s25, v136
	ds_read2_b32 v[194:195], v87 offset1:1
	s_waitcnt lgkmcnt(0)
	v_ashrrev_i32_e32 v191, s23, v194
	v_add_u32_e32 v194, 0x4200, v202
	ds_read2_b32 v[196:197], v194 offset1:1
	v_and_b32_e32 v193, 0x3030303, v191
	v_bfe_u32 v191, v191, 24, 2
	s_waitcnt lgkmcnt(0)
	v_ashrrev_i32_e32 v194, s20, v196
	v_lshlrev_b32_e32 v194, 2, v194
	v_and_b32_e32 v194, 0x4040404, v194
	v_sub_u16_e32 v196, v193, v194
	v_sub_u16_sdwa v198, v193, v194 dst_sel:BYTE_1 dst_unused:UNUSED_PAD src0_sel:BYTE_1 src1_sel:BYTE_1
	v_sub_u16_sdwa v191, v191, v194 dst_sel:BYTE_1 dst_unused:UNUSED_PAD src0_sel:DWORD src1_sel:BYTE_3
	v_sub_u16_sdwa v193, v193, v194 dst_sel:DWORD dst_unused:UNUSED_PAD src0_sel:WORD_1 src1_sel:WORD_1
	v_or_b32_sdwa v191, v193, v191 dst_sel:WORD_1 dst_unused:UNUSED_PAD src0_sel:BYTE_0 src1_sel:DWORD
	v_ashrrev_i32_e32 v193, s23, v195
	v_ashrrev_i32_e32 v195, s20, v197
	v_lshlrev_b32_e32 v195, 2, v195
	v_or_b32_sdwa v196, v196, v198 dst_sel:DWORD dst_unused:UNUSED_PAD src0_sel:BYTE_0 src1_sel:DWORD
	v_and_b32_e32 v194, 0x3030303, v193
	v_bfe_u32 v193, v193, 24, 2
	v_and_b32_e32 v195, 0x4040404, v195
	v_or_b32_sdwa v191, v196, v191 dst_sel:DWORD dst_unused:UNUSED_PAD src0_sel:WORD_0 src1_sel:DWORD
	v_sub_u16_e32 v196, v194, v195
	v_sub_u16_sdwa v197, v194, v195 dst_sel:BYTE_1 dst_unused:UNUSED_PAD src0_sel:BYTE_1 src1_sel:BYTE_1
	v_sub_u16_sdwa v193, v193, v195 dst_sel:BYTE_1 dst_unused:UNUSED_PAD src0_sel:DWORD src1_sel:BYTE_3
	v_sub_u16_sdwa v194, v194, v195 dst_sel:DWORD dst_unused:UNUSED_PAD src0_sel:WORD_1 src1_sel:WORD_1
	v_or_b32_sdwa v196, v196, v197 dst_sel:DWORD dst_unused:UNUSED_PAD src0_sel:BYTE_0 src1_sel:DWORD
	v_or_b32_sdwa v193, v194, v193 dst_sel:WORD_1 dst_unused:UNUSED_PAD src0_sel:BYTE_0 src1_sel:DWORD
	ds_read2_b32 v[194:195], v87 offset0:2 offset1:3
	v_or_b32_sdwa v193, v196, v193 dst_sel:DWORD dst_unused:UNUSED_PAD src0_sel:WORD_0 src1_sel:DWORD
	v_add_u32_e32 v196, 0x4208, v202
	ds_read2_b32 v[196:197], v196 offset1:1
	s_waitcnt lgkmcnt(1)
	v_ashrrev_i32_e32 v194, s23, v194
	v_and_b32_e32 v198, 0x3030303, v194
	v_bfe_u32 v194, v194, 24, 2
	s_waitcnt lgkmcnt(0)
	v_ashrrev_i32_e32 v196, s20, v196
	v_lshlrev_b32_e32 v196, 2, v196
	v_and_b32_e32 v196, 0x4040404, v196
	v_ashrrev_i32_e32 v197, s20, v197
	v_sub_u16_e32 v199, v198, v196
	v_sub_u16_sdwa v200, v198, v196 dst_sel:BYTE_1 dst_unused:UNUSED_PAD src0_sel:BYTE_1 src1_sel:BYTE_1
	v_sub_u16_sdwa v194, v194, v196 dst_sel:BYTE_1 dst_unused:UNUSED_PAD src0_sel:DWORD src1_sel:BYTE_3
	v_sub_u16_sdwa v196, v198, v196 dst_sel:DWORD dst_unused:UNUSED_PAD src0_sel:WORD_1 src1_sel:WORD_1
	v_ashrrev_i32_e32 v195, s23, v195
	v_lshlrev_b32_e32 v197, 2, v197
	v_or_b32_sdwa v199, v199, v200 dst_sel:DWORD dst_unused:UNUSED_PAD src0_sel:BYTE_0 src1_sel:DWORD
	v_or_b32_sdwa v194, v196, v194 dst_sel:WORD_1 dst_unused:UNUSED_PAD src0_sel:BYTE_0 src1_sel:DWORD
	v_and_b32_e32 v196, 0x3030303, v195
	v_bfe_u32 v195, v195, 24, 2
	v_and_b32_e32 v197, 0x4040404, v197
	v_or_b32_sdwa v194, v199, v194 dst_sel:DWORD dst_unused:UNUSED_PAD src0_sel:WORD_0 src1_sel:DWORD
	v_sub_u16_e32 v198, v196, v197
	v_sub_u16_sdwa v199, v196, v197 dst_sel:BYTE_1 dst_unused:UNUSED_PAD src0_sel:BYTE_1 src1_sel:BYTE_1
	v_sub_u16_sdwa v195, v195, v197 dst_sel:BYTE_1 dst_unused:UNUSED_PAD src0_sel:DWORD src1_sel:BYTE_3
	v_sub_u16_sdwa v196, v196, v197 dst_sel:DWORD dst_unused:UNUSED_PAD src0_sel:WORD_1 src1_sel:WORD_1
	v_or_b32_sdwa v198, v198, v199 dst_sel:DWORD dst_unused:UNUSED_PAD src0_sel:BYTE_0 src1_sel:DWORD
	v_or_b32_sdwa v195, v196, v195 dst_sel:WORD_1 dst_unused:UNUSED_PAD src0_sel:BYTE_0 src1_sel:DWORD
	ds_read2_b32 v[196:197], v87 offset0:4 offset1:5
	v_or_b32_sdwa v195, v198, v195 dst_sel:DWORD dst_unused:UNUSED_PAD src0_sel:WORD_0 src1_sel:DWORD
	v_add_u32_e32 v198, 0x4210, v202
	ds_read2_b32 v[198:199], v198 offset1:1
	s_waitcnt lgkmcnt(1)
	v_ashrrev_i32_e32 v196, s23, v196
	v_and_b32_e32 v200, 0x3030303, v196
	v_bfe_u32 v196, v196, 24, 2
	s_waitcnt lgkmcnt(0)
	v_ashrrev_i32_e32 v198, s20, v198
	v_lshlrev_b32_e32 v198, 2, v198
	v_and_b32_e32 v198, 0x4040404, v198
	v_ashrrev_i32_e32 v199, s20, v199
	v_sub_u16_e32 v201, v200, v198
	v_sub_u16_sdwa v203, v200, v198 dst_sel:BYTE_1 dst_unused:UNUSED_PAD src0_sel:BYTE_1 src1_sel:BYTE_1
	v_sub_u16_sdwa v196, v196, v198 dst_sel:BYTE_1 dst_unused:UNUSED_PAD src0_sel:DWORD src1_sel:BYTE_3
	v_sub_u16_sdwa v198, v200, v198 dst_sel:DWORD dst_unused:UNUSED_PAD src0_sel:WORD_1 src1_sel:WORD_1
	v_ashrrev_i32_e32 v197, s23, v197
	v_lshlrev_b32_e32 v199, 2, v199
	v_or_b32_sdwa v201, v201, v203 dst_sel:DWORD dst_unused:UNUSED_PAD src0_sel:BYTE_0 src1_sel:DWORD
	v_or_b32_sdwa v196, v198, v196 dst_sel:WORD_1 dst_unused:UNUSED_PAD src0_sel:BYTE_0 src1_sel:DWORD
	v_and_b32_e32 v198, 0x3030303, v197
	v_bfe_u32 v197, v197, 24, 2
	v_and_b32_e32 v199, 0x4040404, v199
	v_or_b32_sdwa v196, v201, v196 dst_sel:DWORD dst_unused:UNUSED_PAD src0_sel:WORD_0 src1_sel:DWORD
	v_sub_u16_e32 v200, v198, v199
	v_sub_u16_sdwa v201, v198, v199 dst_sel:BYTE_1 dst_unused:UNUSED_PAD src0_sel:BYTE_1 src1_sel:BYTE_1
	v_sub_u16_sdwa v197, v197, v199 dst_sel:BYTE_1 dst_unused:UNUSED_PAD src0_sel:DWORD src1_sel:BYTE_3
	v_sub_u16_sdwa v198, v198, v199 dst_sel:DWORD dst_unused:UNUSED_PAD src0_sel:WORD_1 src1_sel:WORD_1
	v_or_b32_sdwa v200, v200, v201 dst_sel:DWORD dst_unused:UNUSED_PAD src0_sel:BYTE_0 src1_sel:DWORD
	v_or_b32_sdwa v197, v198, v197 dst_sel:WORD_1 dst_unused:UNUSED_PAD src0_sel:BYTE_0 src1_sel:DWORD
	v_add_u32_e32 v199, 0x4218, v202
	v_or_b32_sdwa v198, v200, v197 dst_sel:DWORD dst_unused:UNUSED_PAD src0_sel:WORD_0 src1_sel:DWORD
	ds_read2_b32 v[200:201], v87 offset0:6 offset1:7
	ds_read2_b32 v[202:203], v199 offset1:1
	s_waitcnt lgkmcnt(1)
	v_ashrrev_i32_e32 v87, s23, v200
	s_waitcnt lgkmcnt(0)
	v_ashrrev_i32_e32 v199, s20, v202
	v_lshlrev_b32_e32 v199, 2, v199
	v_and_b32_e32 v197, 0x3030303, v87
	v_bfe_u32 v87, v87, 24, 2
	v_and_b32_e32 v199, 0x4040404, v199
	v_sub_u16_e32 v200, v197, v199
	v_sub_u16_sdwa v202, v197, v199 dst_sel:BYTE_1 dst_unused:UNUSED_PAD src0_sel:BYTE_1 src1_sel:BYTE_1
	v_sub_u16_sdwa v87, v87, v199 dst_sel:BYTE_1 dst_unused:UNUSED_PAD src0_sel:DWORD src1_sel:BYTE_3
	v_sub_u16_sdwa v197, v197, v199 dst_sel:DWORD dst_unused:UNUSED_PAD src0_sel:WORD_1 src1_sel:WORD_1
	v_or_b32_sdwa v200, v200, v202 dst_sel:DWORD dst_unused:UNUSED_PAD src0_sel:BYTE_0 src1_sel:DWORD
	v_or_b32_sdwa v87, v197, v87 dst_sel:WORD_1 dst_unused:UNUSED_PAD src0_sel:BYTE_0 src1_sel:DWORD
	s_nop 0
	v_or_b32_sdwa v199, v200, v87 dst_sel:DWORD dst_unused:UNUSED_PAD src0_sel:WORD_0 src1_sel:DWORD
	v_ashrrev_i32_e32 v200, s20, v203
	v_ashrrev_i32_e32 v87, s23, v201
	v_lshlrev_b32_e32 v200, 2, v200
	v_and_b32_e32 v197, 0x3030303, v87
	v_bfe_u32 v87, v87, 24, 2
	v_and_b32_e32 v200, 0x4040404, v200
	v_sub_u16_e32 v201, v197, v200
	v_sub_u16_sdwa v202, v197, v200 dst_sel:BYTE_1 dst_unused:UNUSED_PAD src0_sel:BYTE_1 src1_sel:BYTE_1
	v_sub_u16_sdwa v87, v87, v200 dst_sel:BYTE_1 dst_unused:UNUSED_PAD src0_sel:DWORD src1_sel:BYTE_3
	v_sub_u16_sdwa v197, v197, v200 dst_sel:DWORD dst_unused:UNUSED_PAD src0_sel:WORD_1 src1_sel:WORD_1
	v_or_b32_sdwa v201, v201, v202 dst_sel:DWORD dst_unused:UNUSED_PAD src0_sel:BYTE_0 src1_sel:DWORD
	v_or_b32_sdwa v87, v197, v87 dst_sel:WORD_1 dst_unused:UNUSED_PAD src0_sel:BYTE_0 src1_sel:DWORD
	v_add_u32_e32 v197, s26, v137
	v_or_b32_sdwa v200, v201, v87 dst_sel:DWORD dst_unused:UNUSED_PAD src0_sel:WORD_0 src1_sel:DWORD
	v_add3_u32 v87, v148, s22, v86
	ds_read_b32 v197, v197
	ds_read_u16 v87, v87 offset:35570
	v_mov_b32_e32 v202, 0
	v_dot4c_i32_i8_e32 v202, v191, v4
	v_dot4c_i32_i8_e32 v202, v193, v5
	;; [unrolled: 1-line block ×3, first 2 shown]
	s_waitcnt lgkmcnt(0)
	v_lshrrev_b16_e32 v203, 8, v87
	v_bfe_i32 v201, v87, 0, 8
	v_mov_b32_e32 v87, 0
	v_dot4c_i32_i8_e32 v87, v196, v0
	v_dot4c_i32_i8_e32 v87, v198, v1
	;; [unrolled: 1-line block ×5, first 2 shown]
	v_bfe_i32 v203, v203, 0, 8
	v_mul_lo_u32 v202, v202, v201
	v_add3_u32 v86, v150, s22, v86
	v_mad_u64_u32 v[204:205], s[28:29], v87, v203, v[202:203]
	v_cvt_f32_i32_e32 v202, v204
	v_mul_f32_e32 v87, v84, v197
	v_fmac_f32_e32 v107, v87, v202
	v_add_u32_e32 v87, s25, v139
	ds_read2_b32 v[204:205], v87 offset1:1
	s_waitcnt lgkmcnt(0)
	v_ashrrev_i32_e32 v202, s23, v204
	v_and_b32_e32 v204, 0x3030303, v202
	v_bfe_u32 v202, v202, 24, 2
	v_sub_u16_e32 v208, v204, v206
	v_sub_u16_sdwa v209, v204, v206 dst_sel:BYTE_1 dst_unused:UNUSED_PAD src0_sel:BYTE_1 src1_sel:BYTE_1
	v_sub_u16_sdwa v202, v202, v206 dst_sel:BYTE_1 dst_unused:UNUSED_PAD src0_sel:DWORD src1_sel:BYTE_3
	v_sub_u16_sdwa v204, v204, v206 dst_sel:DWORD dst_unused:UNUSED_PAD src0_sel:WORD_1 src1_sel:WORD_1
	v_ashrrev_i32_e32 v206, s20, v207
	v_or_b32_sdwa v202, v204, v202 dst_sel:WORD_1 dst_unused:UNUSED_PAD src0_sel:BYTE_0 src1_sel:DWORD
	v_ashrrev_i32_e32 v204, s23, v205
	v_lshlrev_b32_e32 v206, 2, v206
	v_or_b32_sdwa v208, v208, v209 dst_sel:DWORD dst_unused:UNUSED_PAD src0_sel:BYTE_0 src1_sel:DWORD
	v_and_b32_e32 v205, 0x3030303, v204
	v_bfe_u32 v204, v204, 24, 2
	v_and_b32_e32 v206, 0x4040404, v206
	v_or_b32_sdwa v202, v208, v202 dst_sel:DWORD dst_unused:UNUSED_PAD src0_sel:WORD_0 src1_sel:DWORD
	v_sub_u16_e32 v207, v205, v206
	v_sub_u16_sdwa v208, v205, v206 dst_sel:BYTE_1 dst_unused:UNUSED_PAD src0_sel:BYTE_1 src1_sel:BYTE_1
	v_sub_u16_sdwa v204, v204, v206 dst_sel:BYTE_1 dst_unused:UNUSED_PAD src0_sel:DWORD src1_sel:BYTE_3
	v_sub_u16_sdwa v205, v205, v206 dst_sel:DWORD dst_unused:UNUSED_PAD src0_sel:WORD_1 src1_sel:WORD_1
	v_or_b32_sdwa v207, v207, v208 dst_sel:DWORD dst_unused:UNUSED_PAD src0_sel:BYTE_0 src1_sel:DWORD
	v_or_b32_sdwa v204, v205, v204 dst_sel:WORD_1 dst_unused:UNUSED_PAD src0_sel:BYTE_0 src1_sel:DWORD
	v_add_u32_e32 v208, 0x4208, v212
	v_or_b32_sdwa v204, v207, v204 dst_sel:DWORD dst_unused:UNUSED_PAD src0_sel:WORD_0 src1_sel:DWORD
	ds_read2_b32 v[206:207], v87 offset0:2 offset1:3
	ds_read2_b32 v[208:209], v208 offset1:1
	s_waitcnt lgkmcnt(1)
	v_ashrrev_i32_e32 v205, s23, v206
	s_waitcnt lgkmcnt(0)
	v_ashrrev_i32_e32 v208, s20, v208
	v_lshlrev_b32_e32 v208, 2, v208
	v_and_b32_e32 v206, 0x3030303, v205
	v_bfe_u32 v205, v205, 24, 2
	v_and_b32_e32 v208, 0x4040404, v208
	v_sub_u16_e32 v210, v206, v208
	v_sub_u16_sdwa v211, v206, v208 dst_sel:BYTE_1 dst_unused:UNUSED_PAD src0_sel:BYTE_1 src1_sel:BYTE_1
	v_sub_u16_sdwa v205, v205, v208 dst_sel:BYTE_1 dst_unused:UNUSED_PAD src0_sel:DWORD src1_sel:BYTE_3
	v_sub_u16_sdwa v206, v206, v208 dst_sel:DWORD dst_unused:UNUSED_PAD src0_sel:WORD_1 src1_sel:WORD_1
	v_ashrrev_i32_e32 v208, s20, v209
	v_or_b32_sdwa v205, v206, v205 dst_sel:WORD_1 dst_unused:UNUSED_PAD src0_sel:BYTE_0 src1_sel:DWORD
	v_ashrrev_i32_e32 v206, s23, v207
	v_lshlrev_b32_e32 v208, 2, v208
	v_or_b32_sdwa v210, v210, v211 dst_sel:DWORD dst_unused:UNUSED_PAD src0_sel:BYTE_0 src1_sel:DWORD
	v_and_b32_e32 v207, 0x3030303, v206
	v_bfe_u32 v206, v206, 24, 2
	v_and_b32_e32 v208, 0x4040404, v208
	v_or_b32_sdwa v205, v210, v205 dst_sel:DWORD dst_unused:UNUSED_PAD src0_sel:WORD_0 src1_sel:DWORD
	v_sub_u16_e32 v209, v207, v208
	v_sub_u16_sdwa v210, v207, v208 dst_sel:BYTE_1 dst_unused:UNUSED_PAD src0_sel:BYTE_1 src1_sel:BYTE_1
	v_sub_u16_sdwa v206, v206, v208 dst_sel:BYTE_1 dst_unused:UNUSED_PAD src0_sel:DWORD src1_sel:BYTE_3
	v_sub_u16_sdwa v207, v207, v208 dst_sel:DWORD dst_unused:UNUSED_PAD src0_sel:WORD_1 src1_sel:WORD_1
	v_or_b32_sdwa v209, v209, v210 dst_sel:DWORD dst_unused:UNUSED_PAD src0_sel:BYTE_0 src1_sel:DWORD
	v_or_b32_sdwa v206, v207, v206 dst_sel:WORD_1 dst_unused:UNUSED_PAD src0_sel:BYTE_0 src1_sel:DWORD
	v_add_u32_e32 v210, 0x4210, v212
	v_or_b32_sdwa v206, v209, v206 dst_sel:DWORD dst_unused:UNUSED_PAD src0_sel:WORD_0 src1_sel:DWORD
	ds_read2_b32 v[208:209], v87 offset0:4 offset1:5
	ds_read2_b32 v[210:211], v210 offset1:1
	s_waitcnt lgkmcnt(1)
	v_ashrrev_i32_e32 v207, s23, v208
	s_waitcnt lgkmcnt(0)
	v_ashrrev_i32_e32 v210, s20, v210
	v_lshlrev_b32_e32 v210, 2, v210
	v_and_b32_e32 v208, 0x3030303, v207
	v_bfe_u32 v207, v207, 24, 2
	v_and_b32_e32 v210, 0x4040404, v210
	v_sub_u16_e32 v213, v208, v210
	v_sub_u16_sdwa v214, v208, v210 dst_sel:BYTE_1 dst_unused:UNUSED_PAD src0_sel:BYTE_1 src1_sel:BYTE_1
	v_sub_u16_sdwa v207, v207, v210 dst_sel:BYTE_1 dst_unused:UNUSED_PAD src0_sel:DWORD src1_sel:BYTE_3
	v_sub_u16_sdwa v208, v208, v210 dst_sel:DWORD dst_unused:UNUSED_PAD src0_sel:WORD_1 src1_sel:WORD_1
	v_ashrrev_i32_e32 v210, s20, v211
	v_or_b32_sdwa v207, v208, v207 dst_sel:WORD_1 dst_unused:UNUSED_PAD src0_sel:BYTE_0 src1_sel:DWORD
	v_ashrrev_i32_e32 v208, s23, v209
	v_lshlrev_b32_e32 v210, 2, v210
	v_or_b32_sdwa v213, v213, v214 dst_sel:DWORD dst_unused:UNUSED_PAD src0_sel:BYTE_0 src1_sel:DWORD
	v_and_b32_e32 v209, 0x3030303, v208
	v_bfe_u32 v208, v208, 24, 2
	v_and_b32_e32 v210, 0x4040404, v210
	v_or_b32_sdwa v207, v213, v207 dst_sel:DWORD dst_unused:UNUSED_PAD src0_sel:WORD_0 src1_sel:DWORD
	v_sub_u16_e32 v211, v209, v210
	v_sub_u16_sdwa v213, v209, v210 dst_sel:BYTE_1 dst_unused:UNUSED_PAD src0_sel:BYTE_1 src1_sel:BYTE_1
	v_sub_u16_sdwa v208, v208, v210 dst_sel:BYTE_1 dst_unused:UNUSED_PAD src0_sel:DWORD src1_sel:BYTE_3
	v_sub_u16_sdwa v209, v209, v210 dst_sel:DWORD dst_unused:UNUSED_PAD src0_sel:WORD_1 src1_sel:WORD_1
	v_or_b32_sdwa v211, v211, v213 dst_sel:DWORD dst_unused:UNUSED_PAD src0_sel:BYTE_0 src1_sel:DWORD
	v_or_b32_sdwa v208, v209, v208 dst_sel:WORD_1 dst_unused:UNUSED_PAD src0_sel:BYTE_0 src1_sel:DWORD
	s_nop 0
	v_or_b32_sdwa v209, v211, v208 dst_sel:DWORD dst_unused:UNUSED_PAD src0_sel:WORD_0 src1_sel:DWORD
	ds_read2_b32 v[210:211], v87 offset0:6 offset1:7
	s_waitcnt lgkmcnt(0)
	v_ashrrev_i32_e32 v87, s23, v210
	v_add_u32_e32 v210, 0x4218, v212
	ds_read2_b32 v[212:213], v210 offset1:1
	v_and_b32_e32 v208, 0x3030303, v87
	v_bfe_u32 v87, v87, 24, 2
	s_waitcnt lgkmcnt(0)
	v_ashrrev_i32_e32 v210, s20, v212
	v_lshlrev_b32_e32 v210, 2, v210
	v_and_b32_e32 v210, 0x4040404, v210
	v_sub_u16_e32 v212, v208, v210
	v_sub_u16_sdwa v214, v208, v210 dst_sel:BYTE_1 dst_unused:UNUSED_PAD src0_sel:BYTE_1 src1_sel:BYTE_1
	v_sub_u16_sdwa v87, v87, v210 dst_sel:BYTE_1 dst_unused:UNUSED_PAD src0_sel:DWORD src1_sel:BYTE_3
	v_sub_u16_sdwa v208, v208, v210 dst_sel:DWORD dst_unused:UNUSED_PAD src0_sel:WORD_1 src1_sel:WORD_1
	v_or_b32_sdwa v212, v212, v214 dst_sel:DWORD dst_unused:UNUSED_PAD src0_sel:BYTE_0 src1_sel:DWORD
	v_or_b32_sdwa v87, v208, v87 dst_sel:WORD_1 dst_unused:UNUSED_PAD src0_sel:BYTE_0 src1_sel:DWORD
	s_nop 0
	v_or_b32_sdwa v210, v212, v87 dst_sel:DWORD dst_unused:UNUSED_PAD src0_sel:WORD_0 src1_sel:DWORD
	v_ashrrev_i32_e32 v87, s23, v211
	v_ashrrev_i32_e32 v211, s20, v213
	v_lshlrev_b32_e32 v211, 2, v211
	v_and_b32_e32 v208, 0x3030303, v87
	v_bfe_u32 v87, v87, 24, 2
	v_and_b32_e32 v211, 0x4040404, v211
	v_sub_u16_e32 v212, v208, v211
	v_sub_u16_sdwa v213, v208, v211 dst_sel:BYTE_1 dst_unused:UNUSED_PAD src0_sel:BYTE_1 src1_sel:BYTE_1
	v_sub_u16_sdwa v87, v87, v211 dst_sel:BYTE_1 dst_unused:UNUSED_PAD src0_sel:DWORD src1_sel:BYTE_3
	v_sub_u16_sdwa v208, v208, v211 dst_sel:DWORD dst_unused:UNUSED_PAD src0_sel:WORD_1 src1_sel:WORD_1
	v_or_b32_sdwa v212, v212, v213 dst_sel:DWORD dst_unused:UNUSED_PAD src0_sel:BYTE_0 src1_sel:DWORD
	v_or_b32_sdwa v87, v208, v87 dst_sel:WORD_1 dst_unused:UNUSED_PAD src0_sel:BYTE_0 src1_sel:DWORD
	s_add_i32 s20, s20, 1
	v_or_b32_sdwa v211, v212, v87 dst_sel:DWORD dst_unused:UNUSED_PAD src0_sel:WORD_0 src1_sel:DWORD
	v_add_u32_e32 v87, s26, v140
	ds_read_b32 v208, v87
	v_mov_b32_e32 v87, 0
	v_dot4c_i32_i8_e32 v87, v202, v4
	ds_read_u16 v4, v86 offset:36594
	v_dot4c_i32_i8_e32 v87, v204, v5
	v_dot4c_i32_i8_e32 v87, v205, v6
	v_mov_b32_e32 v6, 0
	v_dot4c_i32_i8_e32 v6, v207, v0
	v_dot4c_i32_i8_e32 v6, v209, v1
	;; [unrolled: 1-line block ×3, first 2 shown]
	s_waitcnt lgkmcnt(0)
	v_lshrrev_b16_e32 v5, 8, v4
	v_bfe_i32 v212, v4, 0, 8
	v_dot4c_i32_i8_e32 v6, v210, v2
	v_mul_lo_u32 v4, v87, v212
	v_dot4c_i32_i8_e32 v6, v211, v3
	v_bfe_i32 v213, v5, 0, 8
	v_mov_b32_e32 v86, 0
	s_cmp_lt_u32 s21, 22
	v_mad_u64_u32 v[0:1], s[22:23], v6, v213, v[4:5]
	v_cvt_f32_i32_e32 v0, v0
	v_mul_f32_e32 v1, v84, v208
	v_mov_b32_e32 v84, 0
	v_fmac_f32_e32 v106, v1, v0
	ds_read_b128 v[0:3], v168 offset:1024
	ds_read_b128 v[4:7], v168 offset:1040
	s_waitcnt lgkmcnt(1)
	v_dot4c_i32_i8_e32 v84, v170, v0
	v_dot4c_i32_i8_e32 v84, v171, v1
	s_waitcnt lgkmcnt(0)
	v_dot4c_i32_i8_e32 v86, v175, v4
	v_dot4c_i32_i8_e32 v84, v172, v2
	;; [unrolled: 1-line block ×6, first 2 shown]
	s_nop 0
	v_mul_lo_u32 v84, v84, v179
	s_nop 0
	v_mad_u64_u32 v[86:87], s[22:23], v86, v181, v[84:85]
	v_cvt_f32_i32_e32 v86, v86
	v_mul_f32_e32 v84, v174, v85
	v_fmac_f32_e32 v103, v84, v86
	v_mov_b32_e32 v84, 0
	v_dot4c_i32_i8_e32 v84, v180, v0
	v_mov_b32_e32 v86, 0
	v_dot4c_i32_i8_e32 v84, v182, v1
	v_dot4c_i32_i8_e32 v86, v185, v4
	v_dot4c_i32_i8_e32 v84, v183, v2
	v_dot4c_i32_i8_e32 v86, v187, v5
	v_dot4c_i32_i8_e32 v84, v184, v3
	v_dot4c_i32_i8_e32 v86, v188, v6
	v_dot4c_i32_i8_e32 v86, v189, v7
	s_nop 0
	v_mul_lo_u32 v84, v84, v190
	s_nop 0
	v_mad_u64_u32 v[86:87], s[22:23], v86, v192, v[84:85]
	v_cvt_f32_i32_e32 v86, v86
	v_mul_f32_e32 v84, v186, v85
	v_fmac_f32_e32 v101, v84, v86
	v_mov_b32_e32 v84, 0
	v_dot4c_i32_i8_e32 v84, v191, v0
	v_mov_b32_e32 v86, 0
	v_dot4c_i32_i8_e32 v84, v193, v1
	v_dot4c_i32_i8_e32 v86, v196, v4
	;; [unrolled: 1-line block ×7, first 2 shown]
	s_nop 0
	v_mul_lo_u32 v84, v84, v201
	s_nop 0
	v_mad_u64_u32 v[86:87], s[22:23], v86, v203, v[84:85]
	v_cvt_f32_i32_e32 v86, v86
	v_mul_f32_e32 v84, v197, v85
	v_mov_b32_e32 v87, 0
	v_fmac_f32_e32 v100, v84, v86
	v_mov_b32_e32 v84, 0
	v_dot4c_i32_i8_e32 v84, v202, v0
	v_dot4c_i32_i8_e32 v84, v204, v1
	v_mov_b32_e32 v1, 0
	v_dot4c_i32_i8_e32 v1, v207, v4
	v_dot4c_i32_i8_e32 v84, v205, v2
	v_dot4c_i32_i8_e32 v1, v209, v5
	v_dot4c_i32_i8_e32 v84, v206, v3
	v_dot4c_i32_i8_e32 v1, v210, v6
	v_dot4c_i32_i8_e32 v1, v211, v7
	v_mov_b32_e32 v86, 0
	v_mul_lo_u32 v0, v84, v212
	s_nop 0
	v_mad_u64_u32 v[0:1], s[22:23], v1, v213, v[0:1]
	v_cvt_f32_i32_e32 v0, v0
	v_mul_f32_e32 v1, v208, v85
	v_fmac_f32_e32 v99, v1, v0
	ds_read2_b32 v[84:85], v169 offset0:64 offset1:96
	ds_read_b128 v[0:3], v168 offset:2048
	ds_read_b128 v[4:7], v168 offset:2064
	s_waitcnt lgkmcnt(1)
	v_dot4c_i32_i8_e32 v86, v170, v0
	v_dot4c_i32_i8_e32 v86, v171, v1
	s_waitcnt lgkmcnt(0)
	v_dot4c_i32_i8_e32 v87, v175, v4
	v_dot4c_i32_i8_e32 v86, v172, v2
	;; [unrolled: 1-line block ×6, first 2 shown]
	s_nop 0
	v_mul_lo_u32 v86, v86, v179
	s_nop 0
	v_mad_u64_u32 v[86:87], s[22:23], v87, v181, v[86:87]
	v_cvt_f32_i32_e32 v86, v86
	v_mul_f32_e32 v87, v174, v84
	v_fmac_f32_e32 v83, v87, v86
	v_mov_b32_e32 v86, 0
	v_dot4c_i32_i8_e32 v86, v180, v0
	v_mov_b32_e32 v87, 0
	v_dot4c_i32_i8_e32 v86, v182, v1
	v_dot4c_i32_i8_e32 v87, v185, v4
	;; [unrolled: 1-line block ×7, first 2 shown]
	s_nop 0
	v_mul_lo_u32 v86, v86, v190
	s_nop 0
	v_mad_u64_u32 v[86:87], s[22:23], v87, v192, v[86:87]
	v_cvt_f32_i32_e32 v86, v86
	v_mul_f32_e32 v87, v186, v84
	v_fmac_f32_e32 v67, v87, v86
	v_mov_b32_e32 v86, 0
	v_dot4c_i32_i8_e32 v86, v191, v0
	v_mov_b32_e32 v87, 0
	v_dot4c_i32_i8_e32 v86, v193, v1
	v_dot4c_i32_i8_e32 v87, v196, v4
	;; [unrolled: 1-line block ×7, first 2 shown]
	s_nop 0
	v_mul_lo_u32 v86, v86, v201
	s_nop 0
	v_mad_u64_u32 v[86:87], s[22:23], v87, v203, v[86:87]
	v_cvt_f32_i32_e32 v86, v86
	v_mul_f32_e32 v87, v197, v84
	v_fmac_f32_e32 v59, v87, v86
	v_mov_b32_e32 v86, 0
	v_dot4c_i32_i8_e32 v86, v202, v0
	v_dot4c_i32_i8_e32 v86, v204, v1
	v_mov_b32_e32 v1, 0
	v_dot4c_i32_i8_e32 v1, v207, v4
	v_dot4c_i32_i8_e32 v86, v205, v2
	;; [unrolled: 1-line block ×6, first 2 shown]
	s_nop 0
	v_mul_lo_u32 v0, v86, v212
	v_mov_b32_e32 v86, 0
	v_mad_u64_u32 v[0:1], s[22:23], v1, v213, v[0:1]
	v_cvt_f32_i32_e32 v0, v0
	v_mul_f32_e32 v1, v208, v84
	v_mov_b32_e32 v84, 0
	v_fmac_f32_e32 v57, v1, v0
	ds_read_b128 v[0:3], v168 offset:3072
	ds_read_b128 v[4:7], v168 offset:3088
	s_waitcnt lgkmcnt(1)
	v_dot4c_i32_i8_e32 v84, v170, v0
	v_dot4c_i32_i8_e32 v84, v171, v1
	s_waitcnt lgkmcnt(0)
	v_dot4c_i32_i8_e32 v86, v175, v4
	v_dot4c_i32_i8_e32 v84, v172, v2
	;; [unrolled: 1-line block ×6, first 2 shown]
	s_nop 0
	v_mul_lo_u32 v84, v84, v179
	s_nop 0
	v_mad_u64_u32 v[86:87], s[22:23], v86, v181, v[84:85]
	v_cvt_f32_i32_e32 v86, v86
	v_mul_f32_e32 v84, v174, v85
	v_fmac_f32_e32 v55, v84, v86
	v_mov_b32_e32 v84, 0
	v_dot4c_i32_i8_e32 v84, v180, v0
	v_mov_b32_e32 v86, 0
	v_dot4c_i32_i8_e32 v84, v182, v1
	v_dot4c_i32_i8_e32 v86, v185, v4
	;; [unrolled: 1-line block ×7, first 2 shown]
	s_nop 0
	v_mul_lo_u32 v84, v84, v190
	s_nop 0
	v_mad_u64_u32 v[86:87], s[22:23], v86, v192, v[84:85]
	v_cvt_f32_i32_e32 v86, v86
	v_mul_f32_e32 v84, v186, v85
	v_fmac_f32_e32 v53, v84, v86
	v_mov_b32_e32 v84, 0
	v_dot4c_i32_i8_e32 v84, v191, v0
	v_mov_b32_e32 v86, 0
	v_dot4c_i32_i8_e32 v84, v193, v1
	v_dot4c_i32_i8_e32 v86, v196, v4
	;; [unrolled: 1-line block ×7, first 2 shown]
	s_nop 0
	v_mul_lo_u32 v84, v84, v201
	s_nop 0
	v_mad_u64_u32 v[86:87], s[22:23], v86, v203, v[84:85]
	v_cvt_f32_i32_e32 v86, v86
	v_mul_f32_e32 v84, v197, v85
	v_mov_b32_e32 v87, 0
	v_fmac_f32_e32 v49, v84, v86
	v_mov_b32_e32 v84, 0
	v_dot4c_i32_i8_e32 v84, v202, v0
	v_dot4c_i32_i8_e32 v84, v204, v1
	v_mov_b32_e32 v1, 0
	v_dot4c_i32_i8_e32 v1, v207, v4
	v_dot4c_i32_i8_e32 v84, v205, v2
	;; [unrolled: 1-line block ×6, first 2 shown]
	v_mov_b32_e32 v86, 0
	v_mul_lo_u32 v0, v84, v212
	s_nop 0
	v_mad_u64_u32 v[0:1], s[22:23], v1, v213, v[0:1]
	v_cvt_f32_i32_e32 v0, v0
	v_mul_f32_e32 v1, v208, v85
	v_fmac_f32_e32 v47, v1, v0
	ds_read2_b32 v[84:85], v169 offset0:128 offset1:160
	ds_read_b128 v[0:3], v168 offset:4096
	ds_read_b128 v[4:7], v168 offset:4112
	s_waitcnt lgkmcnt(1)
	v_dot4c_i32_i8_e32 v86, v170, v0
	v_dot4c_i32_i8_e32 v86, v171, v1
	s_waitcnt lgkmcnt(0)
	v_dot4c_i32_i8_e32 v87, v175, v4
	v_dot4c_i32_i8_e32 v86, v172, v2
	;; [unrolled: 1-line block ×6, first 2 shown]
	s_nop 0
	v_mul_lo_u32 v86, v86, v179
	s_nop 0
	v_mad_u64_u32 v[86:87], s[22:23], v87, v181, v[86:87]
	v_cvt_f32_i32_e32 v86, v86
	v_mul_f32_e32 v87, v174, v84
	v_fmac_f32_e32 v41, v87, v86
	v_mov_b32_e32 v86, 0
	v_dot4c_i32_i8_e32 v86, v180, v0
	v_mov_b32_e32 v87, 0
	v_dot4c_i32_i8_e32 v86, v182, v1
	v_dot4c_i32_i8_e32 v87, v185, v4
	;; [unrolled: 1-line block ×7, first 2 shown]
	s_nop 0
	v_mul_lo_u32 v86, v86, v190
	s_nop 0
	v_mad_u64_u32 v[86:87], s[22:23], v87, v192, v[86:87]
	v_cvt_f32_i32_e32 v86, v86
	v_mul_f32_e32 v87, v186, v84
	v_fmac_f32_e32 v39, v87, v86
	v_mov_b32_e32 v86, 0
	v_dot4c_i32_i8_e32 v86, v191, v0
	v_mov_b32_e32 v87, 0
	v_dot4c_i32_i8_e32 v86, v193, v1
	v_dot4c_i32_i8_e32 v87, v196, v4
	;; [unrolled: 1-line block ×7, first 2 shown]
	s_nop 0
	v_mul_lo_u32 v86, v86, v201
	s_nop 0
	v_mad_u64_u32 v[86:87], s[22:23], v87, v203, v[86:87]
	v_cvt_f32_i32_e32 v86, v86
	v_mul_f32_e32 v87, v197, v84
	v_fmac_f32_e32 v37, v87, v86
	v_mov_b32_e32 v86, 0
	v_dot4c_i32_i8_e32 v86, v202, v0
	v_dot4c_i32_i8_e32 v86, v204, v1
	v_mov_b32_e32 v1, 0
	v_dot4c_i32_i8_e32 v1, v207, v4
	v_dot4c_i32_i8_e32 v86, v205, v2
	;; [unrolled: 1-line block ×6, first 2 shown]
	s_nop 0
	v_mul_lo_u32 v0, v86, v212
	v_mov_b32_e32 v86, 0
	v_mad_u64_u32 v[0:1], s[22:23], v1, v213, v[0:1]
	v_cvt_f32_i32_e32 v0, v0
	v_mul_f32_e32 v1, v208, v84
	v_mov_b32_e32 v84, 0
	v_fmac_f32_e32 v35, v1, v0
	ds_read_b128 v[0:3], v168 offset:5120
	ds_read_b128 v[4:7], v168 offset:5136
	s_waitcnt lgkmcnt(1)
	v_dot4c_i32_i8_e32 v84, v170, v0
	v_dot4c_i32_i8_e32 v84, v171, v1
	s_waitcnt lgkmcnt(0)
	v_dot4c_i32_i8_e32 v86, v175, v4
	v_dot4c_i32_i8_e32 v84, v172, v2
	;; [unrolled: 1-line block ×6, first 2 shown]
	s_nop 0
	v_mul_lo_u32 v84, v84, v179
	s_nop 0
	v_mad_u64_u32 v[86:87], s[22:23], v86, v181, v[84:85]
	v_cvt_f32_i32_e32 v86, v86
	v_mul_f32_e32 v84, v174, v85
	v_fmac_f32_e32 v33, v84, v86
	v_mov_b32_e32 v84, 0
	v_dot4c_i32_i8_e32 v84, v180, v0
	v_mov_b32_e32 v86, 0
	v_dot4c_i32_i8_e32 v84, v182, v1
	v_dot4c_i32_i8_e32 v86, v185, v4
	;; [unrolled: 1-line block ×7, first 2 shown]
	s_nop 0
	v_mul_lo_u32 v84, v84, v190
	s_nop 0
	v_mad_u64_u32 v[86:87], s[22:23], v86, v192, v[84:85]
	v_cvt_f32_i32_e32 v86, v86
	v_mul_f32_e32 v84, v186, v85
	v_fmac_f32_e32 v31, v84, v86
	v_mov_b32_e32 v84, 0
	v_dot4c_i32_i8_e32 v84, v191, v0
	v_mov_b32_e32 v86, 0
	v_dot4c_i32_i8_e32 v84, v193, v1
	v_dot4c_i32_i8_e32 v86, v196, v4
	;; [unrolled: 1-line block ×7, first 2 shown]
	s_nop 0
	v_mul_lo_u32 v84, v84, v201
	s_nop 0
	v_mad_u64_u32 v[86:87], s[22:23], v86, v203, v[84:85]
	v_cvt_f32_i32_e32 v86, v86
	v_mul_f32_e32 v84, v197, v85
	v_mov_b32_e32 v87, 0
	v_fmac_f32_e32 v29, v84, v86
	v_mov_b32_e32 v84, 0
	v_dot4c_i32_i8_e32 v84, v202, v0
	v_dot4c_i32_i8_e32 v84, v204, v1
	v_mov_b32_e32 v1, 0
	v_dot4c_i32_i8_e32 v1, v207, v4
	v_dot4c_i32_i8_e32 v84, v205, v2
	v_dot4c_i32_i8_e32 v1, v209, v5
	v_dot4c_i32_i8_e32 v84, v206, v3
	v_dot4c_i32_i8_e32 v1, v210, v6
	v_dot4c_i32_i8_e32 v1, v211, v7
	v_mov_b32_e32 v86, 0
	v_mul_lo_u32 v0, v84, v212
	s_nop 0
	v_mad_u64_u32 v[0:1], s[22:23], v1, v213, v[0:1]
	v_cvt_f32_i32_e32 v0, v0
	v_mul_f32_e32 v1, v208, v85
	v_fmac_f32_e32 v27, v1, v0
	ds_read2_b32 v[84:85], v169 offset0:192 offset1:224
	ds_read_b128 v[4:7], v168 offset:6144
	ds_read_b128 v[0:3], v168 offset:6160
	v_add_u32_e32 v169, 4, v169
	s_waitcnt lgkmcnt(1)
	v_dot4c_i32_i8_e32 v86, v170, v4
	v_dot4c_i32_i8_e32 v86, v171, v5
	s_waitcnt lgkmcnt(0)
	v_dot4c_i32_i8_e32 v87, v175, v0
	v_dot4c_i32_i8_e32 v86, v172, v6
	;; [unrolled: 1-line block ×6, first 2 shown]
	s_nop 0
	v_mul_lo_u32 v86, v86, v179
	s_nop 0
	v_mad_u64_u32 v[86:87], s[22:23], v87, v181, v[86:87]
	v_cvt_f32_i32_e32 v86, v86
	v_mul_f32_e32 v87, v174, v84
	v_fmac_f32_e32 v25, v87, v86
	v_mov_b32_e32 v86, 0
	v_dot4c_i32_i8_e32 v86, v180, v4
	v_mov_b32_e32 v87, 0
	v_dot4c_i32_i8_e32 v86, v182, v5
	v_dot4c_i32_i8_e32 v87, v185, v0
	;; [unrolled: 1-line block ×7, first 2 shown]
	s_nop 0
	v_mul_lo_u32 v86, v86, v190
	s_nop 0
	v_mad_u64_u32 v[86:87], s[22:23], v87, v192, v[86:87]
	v_cvt_f32_i32_e32 v86, v86
	v_mul_f32_e32 v87, v186, v84
	v_fmac_f32_e32 v23, v87, v86
	v_mov_b32_e32 v86, 0
	v_dot4c_i32_i8_e32 v86, v191, v4
	v_mov_b32_e32 v87, 0
	v_dot4c_i32_i8_e32 v86, v193, v5
	v_dot4c_i32_i8_e32 v87, v196, v0
	;; [unrolled: 1-line block ×7, first 2 shown]
	s_nop 0
	v_mul_lo_u32 v86, v86, v201
	s_nop 0
	v_mad_u64_u32 v[86:87], s[22:23], v87, v203, v[86:87]
	v_cvt_f32_i32_e32 v86, v86
	v_mul_f32_e32 v87, v197, v84
	v_fmac_f32_e32 v21, v87, v86
	v_mov_b32_e32 v86, 0
	v_dot4c_i32_i8_e32 v86, v202, v4
	v_dot4c_i32_i8_e32 v86, v204, v5
	v_mov_b32_e32 v5, 0
	v_dot4c_i32_i8_e32 v5, v207, v0
	v_dot4c_i32_i8_e32 v86, v205, v6
	;; [unrolled: 1-line block ×6, first 2 shown]
	s_nop 0
	v_mul_lo_u32 v4, v86, v212
	v_mov_b32_e32 v86, 0
	v_mad_u64_u32 v[0:1], s[22:23], v5, v213, v[4:5]
	v_cvt_f32_i32_e32 v0, v0
	v_mul_f32_e32 v1, v208, v84
	v_mov_b32_e32 v84, 0
	v_fmac_f32_e32 v19, v1, v0
	ds_read_b128 v[0:3], v168 offset:7168
	ds_read_b128 v[4:7], v168 offset:7184
	v_add_u32_e32 v168, 32, v168
	s_waitcnt lgkmcnt(1)
	v_dot4c_i32_i8_e32 v84, v170, v0
	v_dot4c_i32_i8_e32 v84, v171, v1
	s_waitcnt lgkmcnt(0)
	v_dot4c_i32_i8_e32 v86, v175, v4
	v_dot4c_i32_i8_e32 v84, v172, v2
	;; [unrolled: 1-line block ×6, first 2 shown]
	s_nop 0
	v_mul_lo_u32 v84, v84, v179
	s_nop 0
	v_mad_u64_u32 v[86:87], s[22:23], v86, v181, v[84:85]
	v_cvt_f32_i32_e32 v86, v86
	v_mul_f32_e32 v84, v174, v85
	v_fmac_f32_e32 v17, v84, v86
	v_mov_b32_e32 v84, 0
	v_dot4c_i32_i8_e32 v84, v180, v0
	v_mov_b32_e32 v86, 0
	v_dot4c_i32_i8_e32 v84, v182, v1
	v_dot4c_i32_i8_e32 v86, v185, v4
	v_dot4c_i32_i8_e32 v84, v183, v2
	v_dot4c_i32_i8_e32 v86, v187, v5
	v_dot4c_i32_i8_e32 v84, v184, v3
	v_dot4c_i32_i8_e32 v86, v188, v6
	v_dot4c_i32_i8_e32 v86, v189, v7
	s_nop 0
	v_mul_lo_u32 v84, v84, v190
	s_nop 0
	v_mad_u64_u32 v[86:87], s[22:23], v86, v192, v[84:85]
	v_cvt_f32_i32_e32 v86, v86
	v_mul_f32_e32 v84, v186, v85
	v_fmac_f32_e32 v15, v84, v86
	v_mov_b32_e32 v84, 0
	v_dot4c_i32_i8_e32 v84, v191, v0
	v_mov_b32_e32 v86, 0
	v_dot4c_i32_i8_e32 v84, v193, v1
	v_dot4c_i32_i8_e32 v86, v196, v4
	;; [unrolled: 1-line block ×7, first 2 shown]
	s_nop 0
	v_mul_lo_u32 v84, v84, v201
	s_nop 0
	v_mad_u64_u32 v[86:87], s[22:23], v86, v203, v[84:85]
	v_cvt_f32_i32_e32 v86, v86
	v_mul_f32_e32 v84, v197, v85
	v_fmac_f32_e32 v13, v84, v86
	v_mov_b32_e32 v84, 0
	v_dot4c_i32_i8_e32 v84, v202, v0
	v_dot4c_i32_i8_e32 v84, v204, v1
	v_mov_b32_e32 v1, 0
	v_dot4c_i32_i8_e32 v1, v207, v4
	v_dot4c_i32_i8_e32 v84, v205, v2
	;; [unrolled: 1-line block ×6, first 2 shown]
	s_nop 0
	v_mul_lo_u32 v0, v84, v212
	s_nop 0
	v_mad_u64_u32 v[0:1], s[22:23], v1, v213, v[0:1]
	v_cvt_f32_i32_e32 v0, v0
	v_mul_f32_e32 v1, v208, v85
	s_mov_b32 s22, s21
	v_fmac_f32_e32 v9, v1, v0
	s_cbranch_scc1 .LBB169_12
; %bb.13:                               ;   in Loop: Header=BB169_6 Depth=1
	v_add_u32_e32 v170, s18, v143
	v_add_u32_e32 v0, v170, v109
	;; [unrolled: 1-line block ×6, first 2 shown]
	v_mad_i64_i32 v[0:1], s[18:19], v0, 36, v[80:81]
	v_mad_i64_i32 v[2:3], s[18:19], v2, 36, v[80:81]
	;; [unrolled: 1-line block ×4, first 2 shown]
	v_add_u32_e32 v84, v170, v119
	v_add_u32_e32 v86, v170, v121
	;; [unrolled: 1-line block ×4, first 2 shown]
	v_mad_u64_u32 v[172:173], s[18:19], v167, 36, s[2:3]
	s_barrier
	v_mad_i64_i32 v[84:85], s[18:19], v84, 36, v[80:81]
	v_mad_i64_i32 v[86:87], s[18:19], v86, 36, v[80:81]
	;; [unrolled: 1-line block ×4, first 2 shown]
	global_load_dword v172, v[172:173], off
	s_nop 0
	global_load_dword v0, v[0:1], off offset:4
	s_nop 0
	global_load_dword v1, v[2:3], off offset:4
	;; [unrolled: 2-line block ×3, first 2 shown]
	global_load_dword v3, v[6:7], off offset:4
	s_nop 0
	global_load_dword v4, v[84:85], off offset:4
	global_load_dword v5, v[86:87], off offset:4
	;; [unrolled: 1-line block ×4, first 2 shown]
	s_mov_b32 s18, 24
	s_mov_b32 s21, 22
	;; [unrolled: 1-line block ×3, first 2 shown]
	v_mov_b32_e32 v167, v153
	v_mov_b32_e32 v168, v152
	s_waitcnt vmcnt(8)
	v_cvt_f32_f16_e32 v84, v172
	s_waitcnt vmcnt(7)
	ds_write_b32 v111, v0
	s_waitcnt vmcnt(6)
	ds_write_b32 v113, v1
	;; [unrolled: 2-line block ×8, first 2 shown]
	ds_write_b32 v108, v84
	s_waitcnt lgkmcnt(0)
	s_barrier
.LBB169_14:                             ;   Parent Loop BB169_6 Depth=1
                                        ; =>  This Inner Loop Header: Depth=2
	s_add_i32 s20, s21, 2
	s_lshr_b32 s25, s20, 4
	s_and_b32 s24, s20, 0x3ffffff8
	s_lshl_b32 s23, s25, 3
	s_lshl_b32 s24, s24, 2
	v_add_lshl_u32 v178, v129, s23, 2
	v_add_u32_e32 v87, s24, v130
	v_add_u32_e32 v172, 0x4200, v178
	ds_read2_b32 v[84:85], v168 offset1:32
	ds_read_b128 v[4:7], v167
	ds_read_b128 v[0:3], v167 offset:16
	ds_read2_b32 v[170:171], v87 offset1:1
	ds_read2_b32 v[172:173], v172 offset1:1
	s_and_b32 s22, s18, -16
	v_add_u32_e32 v86, s22, v128
	s_sub_i32 s22, s21, 22
	s_waitcnt lgkmcnt(1)
	v_ashrrev_i32_e32 v169, s22, v170
	s_waitcnt lgkmcnt(0)
	v_ashrrev_i32_e32 v172, s19, v172
	v_lshlrev_b32_e32 v172, 2, v172
	v_and_b32_e32 v170, 0x3030303, v169
	v_bfe_u32 v169, v169, 24, 2
	v_and_b32_e32 v172, 0x4040404, v172
	v_sub_u16_e32 v174, v170, v172
	v_sub_u16_sdwa v175, v170, v172 dst_sel:BYTE_1 dst_unused:UNUSED_PAD src0_sel:BYTE_1 src1_sel:BYTE_1
	v_sub_u16_sdwa v169, v169, v172 dst_sel:BYTE_1 dst_unused:UNUSED_PAD src0_sel:DWORD src1_sel:BYTE_3
	v_sub_u16_sdwa v170, v170, v172 dst_sel:DWORD dst_unused:UNUSED_PAD src0_sel:WORD_1 src1_sel:WORD_1
	v_ashrrev_i32_e32 v172, s19, v173
	v_or_b32_sdwa v169, v170, v169 dst_sel:WORD_1 dst_unused:UNUSED_PAD src0_sel:BYTE_0 src1_sel:DWORD
	v_ashrrev_i32_e32 v170, s22, v171
	v_lshlrev_b32_e32 v172, 2, v172
	v_or_b32_sdwa v174, v174, v175 dst_sel:DWORD dst_unused:UNUSED_PAD src0_sel:BYTE_0 src1_sel:DWORD
	v_and_b32_e32 v171, 0x3030303, v170
	v_bfe_u32 v170, v170, 24, 2
	v_and_b32_e32 v172, 0x4040404, v172
	v_or_b32_sdwa v169, v174, v169 dst_sel:DWORD dst_unused:UNUSED_PAD src0_sel:WORD_0 src1_sel:DWORD
	v_sub_u16_e32 v173, v171, v172
	v_sub_u16_sdwa v174, v171, v172 dst_sel:BYTE_1 dst_unused:UNUSED_PAD src0_sel:BYTE_1 src1_sel:BYTE_1
	v_sub_u16_sdwa v170, v170, v172 dst_sel:BYTE_1 dst_unused:UNUSED_PAD src0_sel:DWORD src1_sel:BYTE_3
	v_sub_u16_sdwa v171, v171, v172 dst_sel:DWORD dst_unused:UNUSED_PAD src0_sel:WORD_1 src1_sel:WORD_1
	v_or_b32_sdwa v173, v173, v174 dst_sel:DWORD dst_unused:UNUSED_PAD src0_sel:BYTE_0 src1_sel:DWORD
	v_or_b32_sdwa v170, v171, v170 dst_sel:WORD_1 dst_unused:UNUSED_PAD src0_sel:BYTE_0 src1_sel:DWORD
	v_add_u32_e32 v174, 0x4208, v178
	v_or_b32_sdwa v170, v173, v170 dst_sel:DWORD dst_unused:UNUSED_PAD src0_sel:WORD_0 src1_sel:DWORD
	ds_read2_b32 v[172:173], v87 offset0:2 offset1:3
	ds_read2_b32 v[174:175], v174 offset1:1
	s_lshl_b32 s25, s25, 2
	v_add_lshl_u32 v200, v135, s23, 2
	v_add_lshl_u32 v190, v132, s23, 2
	s_waitcnt lgkmcnt(1)
	v_ashrrev_i32_e32 v171, s22, v172
	s_waitcnt lgkmcnt(0)
	v_ashrrev_i32_e32 v174, s19, v174
	v_lshlrev_b32_e32 v174, 2, v174
	v_and_b32_e32 v172, 0x3030303, v171
	v_bfe_u32 v171, v171, 24, 2
	v_and_b32_e32 v174, 0x4040404, v174
	v_sub_u16_e32 v176, v172, v174
	v_sub_u16_sdwa v177, v172, v174 dst_sel:BYTE_1 dst_unused:UNUSED_PAD src0_sel:BYTE_1 src1_sel:BYTE_1
	v_sub_u16_sdwa v171, v171, v174 dst_sel:BYTE_1 dst_unused:UNUSED_PAD src0_sel:DWORD src1_sel:BYTE_3
	v_sub_u16_sdwa v172, v172, v174 dst_sel:DWORD dst_unused:UNUSED_PAD src0_sel:WORD_1 src1_sel:WORD_1
	v_ashrrev_i32_e32 v174, s19, v175
	v_or_b32_sdwa v171, v172, v171 dst_sel:WORD_1 dst_unused:UNUSED_PAD src0_sel:BYTE_0 src1_sel:DWORD
	v_ashrrev_i32_e32 v172, s22, v173
	v_lshlrev_b32_e32 v174, 2, v174
	v_or_b32_sdwa v176, v176, v177 dst_sel:DWORD dst_unused:UNUSED_PAD src0_sel:BYTE_0 src1_sel:DWORD
	v_and_b32_e32 v173, 0x3030303, v172
	v_bfe_u32 v172, v172, 24, 2
	v_and_b32_e32 v174, 0x4040404, v174
	v_or_b32_sdwa v171, v176, v171 dst_sel:DWORD dst_unused:UNUSED_PAD src0_sel:WORD_0 src1_sel:DWORD
	v_sub_u16_e32 v175, v173, v174
	v_sub_u16_sdwa v176, v173, v174 dst_sel:BYTE_1 dst_unused:UNUSED_PAD src0_sel:BYTE_1 src1_sel:BYTE_1
	v_sub_u16_sdwa v172, v172, v174 dst_sel:BYTE_1 dst_unused:UNUSED_PAD src0_sel:DWORD src1_sel:BYTE_3
	v_sub_u16_sdwa v173, v173, v174 dst_sel:DWORD dst_unused:UNUSED_PAD src0_sel:WORD_1 src1_sel:WORD_1
	v_or_b32_sdwa v175, v175, v176 dst_sel:DWORD dst_unused:UNUSED_PAD src0_sel:BYTE_0 src1_sel:DWORD
	v_or_b32_sdwa v172, v173, v172 dst_sel:WORD_1 dst_unused:UNUSED_PAD src0_sel:BYTE_0 src1_sel:DWORD
	v_add_u32_e32 v176, 0x4210, v178
	v_or_b32_sdwa v172, v175, v172 dst_sel:DWORD dst_unused:UNUSED_PAD src0_sel:WORD_0 src1_sel:DWORD
	ds_read2_b32 v[174:175], v87 offset0:4 offset1:5
	ds_read2_b32 v[176:177], v176 offset1:1
	v_add_u32_e32 v194, 0x4200, v200
	v_add_lshl_u32 v212, v138, s23, 2
	s_add_i32 s18, s18, 2
	s_waitcnt lgkmcnt(1)
	v_ashrrev_i32_e32 v173, s22, v174
	s_waitcnt lgkmcnt(0)
	v_ashrrev_i32_e32 v176, s19, v176
	v_lshlrev_b32_e32 v176, 2, v176
	v_and_b32_e32 v174, 0x3030303, v173
	v_bfe_u32 v173, v173, 24, 2
	v_and_b32_e32 v176, 0x4040404, v176
	v_sub_u16_e32 v179, v174, v176
	v_sub_u16_sdwa v180, v174, v176 dst_sel:BYTE_1 dst_unused:UNUSED_PAD src0_sel:BYTE_1 src1_sel:BYTE_1
	v_sub_u16_sdwa v173, v173, v176 dst_sel:BYTE_1 dst_unused:UNUSED_PAD src0_sel:DWORD src1_sel:BYTE_3
	v_sub_u16_sdwa v174, v174, v176 dst_sel:DWORD dst_unused:UNUSED_PAD src0_sel:WORD_1 src1_sel:WORD_1
	v_or_b32_sdwa v179, v179, v180 dst_sel:DWORD dst_unused:UNUSED_PAD src0_sel:BYTE_0 src1_sel:DWORD
	v_or_b32_sdwa v173, v174, v173 dst_sel:WORD_1 dst_unused:UNUSED_PAD src0_sel:BYTE_0 src1_sel:DWORD
	v_ashrrev_i32_e32 v176, s19, v177
	v_or_b32_sdwa v174, v179, v173 dst_sel:DWORD dst_unused:UNUSED_PAD src0_sel:WORD_0 src1_sel:DWORD
	v_ashrrev_i32_e32 v173, s22, v175
	v_lshlrev_b32_e32 v176, 2, v176
	v_and_b32_e32 v175, 0x3030303, v173
	v_bfe_u32 v173, v173, 24, 2
	v_and_b32_e32 v176, 0x4040404, v176
	v_sub_u16_e32 v177, v175, v176
	v_sub_u16_sdwa v179, v175, v176 dst_sel:BYTE_1 dst_unused:UNUSED_PAD src0_sel:BYTE_1 src1_sel:BYTE_1
	v_sub_u16_sdwa v173, v173, v176 dst_sel:BYTE_1 dst_unused:UNUSED_PAD src0_sel:DWORD src1_sel:BYTE_3
	v_sub_u16_sdwa v175, v175, v176 dst_sel:DWORD dst_unused:UNUSED_PAD src0_sel:WORD_1 src1_sel:WORD_1
	v_or_b32_sdwa v177, v177, v179 dst_sel:DWORD dst_unused:UNUSED_PAD src0_sel:BYTE_0 src1_sel:DWORD
	v_or_b32_sdwa v173, v175, v173 dst_sel:WORD_1 dst_unused:UNUSED_PAD src0_sel:BYTE_0 src1_sel:DWORD
	ds_read2_b32 v[194:195], v194 offset1:1
	v_or_b32_sdwa v175, v177, v173 dst_sel:DWORD dst_unused:UNUSED_PAD src0_sel:WORD_0 src1_sel:DWORD
	ds_read2_b32 v[176:177], v87 offset0:6 offset1:7
	s_waitcnt lgkmcnt(1)
	v_ashrrev_i32_e32 v194, s19, v194
	v_lshlrev_b32_e32 v194, 2, v194
	s_waitcnt lgkmcnt(0)
	v_ashrrev_i32_e32 v87, s22, v176
	v_add_u32_e32 v176, 0x4218, v178
	ds_read2_b32 v[178:179], v176 offset1:1
	v_and_b32_e32 v173, 0x3030303, v87
	v_bfe_u32 v87, v87, 24, 2
	v_and_b32_e32 v194, 0x4040404, v194
	s_waitcnt lgkmcnt(0)
	v_ashrrev_i32_e32 v176, s19, v178
	v_lshlrev_b32_e32 v176, 2, v176
	v_and_b32_e32 v176, 0x4040404, v176
	v_sub_u16_e32 v178, v173, v176
	v_sub_u16_sdwa v180, v173, v176 dst_sel:BYTE_1 dst_unused:UNUSED_PAD src0_sel:BYTE_1 src1_sel:BYTE_1
	v_sub_u16_sdwa v87, v87, v176 dst_sel:BYTE_1 dst_unused:UNUSED_PAD src0_sel:DWORD src1_sel:BYTE_3
	v_sub_u16_sdwa v173, v173, v176 dst_sel:DWORD dst_unused:UNUSED_PAD src0_sel:WORD_1 src1_sel:WORD_1
	v_or_b32_sdwa v178, v178, v180 dst_sel:DWORD dst_unused:UNUSED_PAD src0_sel:BYTE_0 src1_sel:DWORD
	v_or_b32_sdwa v87, v173, v87 dst_sel:WORD_1 dst_unused:UNUSED_PAD src0_sel:BYTE_0 src1_sel:DWORD
	s_nop 0
	v_or_b32_sdwa v176, v178, v87 dst_sel:DWORD dst_unused:UNUSED_PAD src0_sel:WORD_0 src1_sel:DWORD
	v_ashrrev_i32_e32 v87, s22, v177
	v_ashrrev_i32_e32 v177, s19, v179
	v_lshlrev_b32_e32 v177, 2, v177
	v_and_b32_e32 v173, 0x3030303, v87
	v_bfe_u32 v87, v87, 24, 2
	v_and_b32_e32 v177, 0x4040404, v177
	v_sub_u16_e32 v178, v173, v177
	v_sub_u16_sdwa v179, v173, v177 dst_sel:BYTE_1 dst_unused:UNUSED_PAD src0_sel:BYTE_1 src1_sel:BYTE_1
	v_sub_u16_sdwa v87, v87, v177 dst_sel:BYTE_1 dst_unused:UNUSED_PAD src0_sel:DWORD src1_sel:BYTE_3
	v_sub_u16_sdwa v173, v173, v177 dst_sel:DWORD dst_unused:UNUSED_PAD src0_sel:WORD_1 src1_sel:WORD_1
	v_or_b32_sdwa v178, v178, v179 dst_sel:DWORD dst_unused:UNUSED_PAD src0_sel:BYTE_0 src1_sel:DWORD
	v_or_b32_sdwa v87, v173, v87 dst_sel:WORD_1 dst_unused:UNUSED_PAD src0_sel:BYTE_0 src1_sel:DWORD
	v_add_u32_e32 v173, s25, v131
	v_or_b32_sdwa v177, v178, v87 dst_sel:DWORD dst_unused:UNUSED_PAD src0_sel:WORD_0 src1_sel:DWORD
	v_add3_u32 v87, v144, s21, v86
	ds_read_b32 v173, v173
	ds_read_u16 v87, v87 offset:33522
	v_mov_b32_e32 v179, 0
	v_dot4c_i32_i8_e32 v179, v169, v4
	v_dot4c_i32_i8_e32 v179, v170, v5
	;; [unrolled: 1-line block ×3, first 2 shown]
	s_waitcnt lgkmcnt(0)
	v_lshrrev_b16_e32 v180, 8, v87
	v_bfe_i32 v178, v87, 0, 8
	v_mov_b32_e32 v87, 0
	v_dot4c_i32_i8_e32 v87, v174, v0
	v_dot4c_i32_i8_e32 v87, v175, v1
	;; [unrolled: 1-line block ×5, first 2 shown]
	v_bfe_i32 v180, v180, 0, 8
	v_mul_lo_u32 v182, v179, v178
	s_nop 0
	v_mad_u64_u32 v[182:183], s[26:27], v87, v180, v[182:183]
	v_cvt_f32_i32_e32 v179, v182
	v_mul_f32_e32 v87, v84, v173
	v_fmac_f32_e32 v124, v87, v179
	v_add_u32_e32 v87, s24, v133
	ds_read2_b32 v[182:183], v87 offset1:1
	s_waitcnt lgkmcnt(0)
	v_ashrrev_i32_e32 v179, s22, v182
	v_add_u32_e32 v182, 0x4200, v190
	ds_read2_b32 v[184:185], v182 offset1:1
	v_and_b32_e32 v181, 0x3030303, v179
	v_bfe_u32 v179, v179, 24, 2
	s_waitcnt lgkmcnt(0)
	v_ashrrev_i32_e32 v182, s19, v184
	v_lshlrev_b32_e32 v182, 2, v182
	v_and_b32_e32 v182, 0x4040404, v182
	v_sub_u16_e32 v184, v181, v182
	v_sub_u16_sdwa v186, v181, v182 dst_sel:BYTE_1 dst_unused:UNUSED_PAD src0_sel:BYTE_1 src1_sel:BYTE_1
	v_sub_u16_sdwa v179, v179, v182 dst_sel:BYTE_1 dst_unused:UNUSED_PAD src0_sel:DWORD src1_sel:BYTE_3
	v_sub_u16_sdwa v181, v181, v182 dst_sel:DWORD dst_unused:UNUSED_PAD src0_sel:WORD_1 src1_sel:WORD_1
	v_or_b32_sdwa v179, v181, v179 dst_sel:WORD_1 dst_unused:UNUSED_PAD src0_sel:BYTE_0 src1_sel:DWORD
	v_ashrrev_i32_e32 v181, s22, v183
	v_ashrrev_i32_e32 v183, s19, v185
	v_lshlrev_b32_e32 v183, 2, v183
	v_or_b32_sdwa v184, v184, v186 dst_sel:DWORD dst_unused:UNUSED_PAD src0_sel:BYTE_0 src1_sel:DWORD
	v_and_b32_e32 v182, 0x3030303, v181
	v_bfe_u32 v181, v181, 24, 2
	v_and_b32_e32 v183, 0x4040404, v183
	v_or_b32_sdwa v179, v184, v179 dst_sel:DWORD dst_unused:UNUSED_PAD src0_sel:WORD_0 src1_sel:DWORD
	v_sub_u16_e32 v184, v182, v183
	v_sub_u16_sdwa v185, v182, v183 dst_sel:BYTE_1 dst_unused:UNUSED_PAD src0_sel:BYTE_1 src1_sel:BYTE_1
	v_sub_u16_sdwa v181, v181, v183 dst_sel:BYTE_1 dst_unused:UNUSED_PAD src0_sel:DWORD src1_sel:BYTE_3
	v_sub_u16_sdwa v182, v182, v183 dst_sel:DWORD dst_unused:UNUSED_PAD src0_sel:WORD_1 src1_sel:WORD_1
	v_or_b32_sdwa v184, v184, v185 dst_sel:DWORD dst_unused:UNUSED_PAD src0_sel:BYTE_0 src1_sel:DWORD
	v_or_b32_sdwa v181, v182, v181 dst_sel:WORD_1 dst_unused:UNUSED_PAD src0_sel:BYTE_0 src1_sel:DWORD
	ds_read2_b32 v[182:183], v87 offset0:2 offset1:3
	v_or_b32_sdwa v181, v184, v181 dst_sel:DWORD dst_unused:UNUSED_PAD src0_sel:WORD_0 src1_sel:DWORD
	v_add_u32_e32 v184, 0x4208, v190
	ds_read2_b32 v[184:185], v184 offset1:1
	s_waitcnt lgkmcnt(1)
	v_ashrrev_i32_e32 v182, s22, v182
	v_and_b32_e32 v186, 0x3030303, v182
	v_bfe_u32 v182, v182, 24, 2
	s_waitcnt lgkmcnt(0)
	v_ashrrev_i32_e32 v184, s19, v184
	v_lshlrev_b32_e32 v184, 2, v184
	v_and_b32_e32 v184, 0x4040404, v184
	v_ashrrev_i32_e32 v185, s19, v185
	v_sub_u16_e32 v187, v186, v184
	v_sub_u16_sdwa v188, v186, v184 dst_sel:BYTE_1 dst_unused:UNUSED_PAD src0_sel:BYTE_1 src1_sel:BYTE_1
	v_sub_u16_sdwa v182, v182, v184 dst_sel:BYTE_1 dst_unused:UNUSED_PAD src0_sel:DWORD src1_sel:BYTE_3
	v_sub_u16_sdwa v184, v186, v184 dst_sel:DWORD dst_unused:UNUSED_PAD src0_sel:WORD_1 src1_sel:WORD_1
	v_ashrrev_i32_e32 v183, s22, v183
	v_lshlrev_b32_e32 v185, 2, v185
	v_or_b32_sdwa v187, v187, v188 dst_sel:DWORD dst_unused:UNUSED_PAD src0_sel:BYTE_0 src1_sel:DWORD
	v_or_b32_sdwa v182, v184, v182 dst_sel:WORD_1 dst_unused:UNUSED_PAD src0_sel:BYTE_0 src1_sel:DWORD
	v_and_b32_e32 v184, 0x3030303, v183
	v_bfe_u32 v183, v183, 24, 2
	v_and_b32_e32 v185, 0x4040404, v185
	v_or_b32_sdwa v182, v187, v182 dst_sel:DWORD dst_unused:UNUSED_PAD src0_sel:WORD_0 src1_sel:DWORD
	v_sub_u16_e32 v186, v184, v185
	v_sub_u16_sdwa v187, v184, v185 dst_sel:BYTE_1 dst_unused:UNUSED_PAD src0_sel:BYTE_1 src1_sel:BYTE_1
	v_sub_u16_sdwa v183, v183, v185 dst_sel:BYTE_1 dst_unused:UNUSED_PAD src0_sel:DWORD src1_sel:BYTE_3
	v_sub_u16_sdwa v184, v184, v185 dst_sel:DWORD dst_unused:UNUSED_PAD src0_sel:WORD_1 src1_sel:WORD_1
	v_or_b32_sdwa v186, v186, v187 dst_sel:DWORD dst_unused:UNUSED_PAD src0_sel:BYTE_0 src1_sel:DWORD
	v_or_b32_sdwa v183, v184, v183 dst_sel:WORD_1 dst_unused:UNUSED_PAD src0_sel:BYTE_0 src1_sel:DWORD
	ds_read2_b32 v[184:185], v87 offset0:4 offset1:5
	v_or_b32_sdwa v183, v186, v183 dst_sel:DWORD dst_unused:UNUSED_PAD src0_sel:WORD_0 src1_sel:DWORD
	v_add_u32_e32 v186, 0x4210, v190
	ds_read2_b32 v[186:187], v186 offset1:1
	s_waitcnt lgkmcnt(1)
	v_ashrrev_i32_e32 v184, s22, v184
	v_and_b32_e32 v188, 0x3030303, v184
	v_bfe_u32 v184, v184, 24, 2
	s_waitcnt lgkmcnt(0)
	v_ashrrev_i32_e32 v186, s19, v186
	v_lshlrev_b32_e32 v186, 2, v186
	v_and_b32_e32 v186, 0x4040404, v186
	v_ashrrev_i32_e32 v187, s19, v187
	v_sub_u16_e32 v189, v188, v186
	v_sub_u16_sdwa v191, v188, v186 dst_sel:BYTE_1 dst_unused:UNUSED_PAD src0_sel:BYTE_1 src1_sel:BYTE_1
	v_sub_u16_sdwa v184, v184, v186 dst_sel:BYTE_1 dst_unused:UNUSED_PAD src0_sel:DWORD src1_sel:BYTE_3
	v_sub_u16_sdwa v186, v188, v186 dst_sel:DWORD dst_unused:UNUSED_PAD src0_sel:WORD_1 src1_sel:WORD_1
	v_ashrrev_i32_e32 v185, s22, v185
	v_lshlrev_b32_e32 v187, 2, v187
	v_or_b32_sdwa v189, v189, v191 dst_sel:DWORD dst_unused:UNUSED_PAD src0_sel:BYTE_0 src1_sel:DWORD
	v_or_b32_sdwa v184, v186, v184 dst_sel:WORD_1 dst_unused:UNUSED_PAD src0_sel:BYTE_0 src1_sel:DWORD
	v_and_b32_e32 v186, 0x3030303, v185
	v_bfe_u32 v185, v185, 24, 2
	v_and_b32_e32 v187, 0x4040404, v187
	v_or_b32_sdwa v184, v189, v184 dst_sel:DWORD dst_unused:UNUSED_PAD src0_sel:WORD_0 src1_sel:DWORD
	v_sub_u16_e32 v188, v186, v187
	v_sub_u16_sdwa v189, v186, v187 dst_sel:BYTE_1 dst_unused:UNUSED_PAD src0_sel:BYTE_1 src1_sel:BYTE_1
	v_sub_u16_sdwa v185, v185, v187 dst_sel:BYTE_1 dst_unused:UNUSED_PAD src0_sel:DWORD src1_sel:BYTE_3
	v_sub_u16_sdwa v186, v186, v187 dst_sel:DWORD dst_unused:UNUSED_PAD src0_sel:WORD_1 src1_sel:WORD_1
	v_or_b32_sdwa v188, v188, v189 dst_sel:DWORD dst_unused:UNUSED_PAD src0_sel:BYTE_0 src1_sel:DWORD
	v_or_b32_sdwa v185, v186, v185 dst_sel:WORD_1 dst_unused:UNUSED_PAD src0_sel:BYTE_0 src1_sel:DWORD
	v_add_u32_e32 v187, 0x4218, v190
	v_or_b32_sdwa v186, v188, v185 dst_sel:DWORD dst_unused:UNUSED_PAD src0_sel:WORD_0 src1_sel:DWORD
	ds_read2_b32 v[188:189], v87 offset0:6 offset1:7
	ds_read2_b32 v[190:191], v187 offset1:1
	s_waitcnt lgkmcnt(1)
	v_ashrrev_i32_e32 v87, s22, v188
	s_waitcnt lgkmcnt(0)
	v_ashrrev_i32_e32 v187, s19, v190
	v_lshlrev_b32_e32 v187, 2, v187
	v_and_b32_e32 v185, 0x3030303, v87
	v_bfe_u32 v87, v87, 24, 2
	v_and_b32_e32 v187, 0x4040404, v187
	v_sub_u16_e32 v188, v185, v187
	v_sub_u16_sdwa v190, v185, v187 dst_sel:BYTE_1 dst_unused:UNUSED_PAD src0_sel:BYTE_1 src1_sel:BYTE_1
	v_sub_u16_sdwa v87, v87, v187 dst_sel:BYTE_1 dst_unused:UNUSED_PAD src0_sel:DWORD src1_sel:BYTE_3
	v_sub_u16_sdwa v185, v185, v187 dst_sel:DWORD dst_unused:UNUSED_PAD src0_sel:WORD_1 src1_sel:WORD_1
	v_or_b32_sdwa v188, v188, v190 dst_sel:DWORD dst_unused:UNUSED_PAD src0_sel:BYTE_0 src1_sel:DWORD
	v_or_b32_sdwa v87, v185, v87 dst_sel:WORD_1 dst_unused:UNUSED_PAD src0_sel:BYTE_0 src1_sel:DWORD
	s_nop 0
	v_or_b32_sdwa v187, v188, v87 dst_sel:DWORD dst_unused:UNUSED_PAD src0_sel:WORD_0 src1_sel:DWORD
	v_ashrrev_i32_e32 v188, s19, v191
	v_ashrrev_i32_e32 v87, s22, v189
	v_lshlrev_b32_e32 v188, 2, v188
	v_and_b32_e32 v185, 0x3030303, v87
	v_bfe_u32 v87, v87, 24, 2
	v_and_b32_e32 v188, 0x4040404, v188
	v_sub_u16_e32 v189, v185, v188
	v_sub_u16_sdwa v190, v185, v188 dst_sel:BYTE_1 dst_unused:UNUSED_PAD src0_sel:BYTE_1 src1_sel:BYTE_1
	v_sub_u16_sdwa v87, v87, v188 dst_sel:BYTE_1 dst_unused:UNUSED_PAD src0_sel:DWORD src1_sel:BYTE_3
	v_sub_u16_sdwa v185, v185, v188 dst_sel:DWORD dst_unused:UNUSED_PAD src0_sel:WORD_1 src1_sel:WORD_1
	v_or_b32_sdwa v189, v189, v190 dst_sel:DWORD dst_unused:UNUSED_PAD src0_sel:BYTE_0 src1_sel:DWORD
	v_or_b32_sdwa v87, v185, v87 dst_sel:WORD_1 dst_unused:UNUSED_PAD src0_sel:BYTE_0 src1_sel:DWORD
	v_add_u32_e32 v185, s25, v134
	v_or_b32_sdwa v188, v189, v87 dst_sel:DWORD dst_unused:UNUSED_PAD src0_sel:WORD_0 src1_sel:DWORD
	v_add3_u32 v87, v146, s21, v86
	ds_read_b32 v185, v185
	ds_read_u16 v87, v87 offset:34546
	v_mov_b32_e32 v190, 0
	v_dot4c_i32_i8_e32 v190, v179, v4
	v_dot4c_i32_i8_e32 v190, v181, v5
	v_dot4c_i32_i8_e32 v190, v182, v6
	s_waitcnt lgkmcnt(0)
	v_lshrrev_b16_e32 v191, 8, v87
	v_bfe_i32 v189, v87, 0, 8
	v_mov_b32_e32 v87, 0
	v_dot4c_i32_i8_e32 v87, v184, v0
	v_dot4c_i32_i8_e32 v87, v186, v1
	;; [unrolled: 1-line block ×5, first 2 shown]
	v_bfe_i32 v191, v191, 0, 8
	v_mul_lo_u32 v190, v190, v189
	s_nop 0
	v_mad_u64_u32 v[192:193], s[26:27], v87, v191, v[190:191]
	v_cvt_f32_i32_e32 v190, v192
	v_mul_f32_e32 v87, v84, v185
	v_fmac_f32_e32 v114, v87, v190
	v_add_u32_e32 v87, s24, v136
	ds_read2_b32 v[192:193], v87 offset1:1
	s_waitcnt lgkmcnt(0)
	v_ashrrev_i32_e32 v190, s22, v192
	v_and_b32_e32 v192, 0x3030303, v190
	v_bfe_u32 v190, v190, 24, 2
	v_sub_u16_e32 v196, v192, v194
	v_sub_u16_sdwa v197, v192, v194 dst_sel:BYTE_1 dst_unused:UNUSED_PAD src0_sel:BYTE_1 src1_sel:BYTE_1
	v_sub_u16_sdwa v190, v190, v194 dst_sel:BYTE_1 dst_unused:UNUSED_PAD src0_sel:DWORD src1_sel:BYTE_3
	v_sub_u16_sdwa v192, v192, v194 dst_sel:DWORD dst_unused:UNUSED_PAD src0_sel:WORD_1 src1_sel:WORD_1
	v_ashrrev_i32_e32 v194, s19, v195
	v_or_b32_sdwa v190, v192, v190 dst_sel:WORD_1 dst_unused:UNUSED_PAD src0_sel:BYTE_0 src1_sel:DWORD
	v_ashrrev_i32_e32 v192, s22, v193
	v_lshlrev_b32_e32 v194, 2, v194
	v_or_b32_sdwa v196, v196, v197 dst_sel:DWORD dst_unused:UNUSED_PAD src0_sel:BYTE_0 src1_sel:DWORD
	v_and_b32_e32 v193, 0x3030303, v192
	v_bfe_u32 v192, v192, 24, 2
	v_and_b32_e32 v194, 0x4040404, v194
	v_or_b32_sdwa v190, v196, v190 dst_sel:DWORD dst_unused:UNUSED_PAD src0_sel:WORD_0 src1_sel:DWORD
	v_sub_u16_e32 v195, v193, v194
	v_sub_u16_sdwa v196, v193, v194 dst_sel:BYTE_1 dst_unused:UNUSED_PAD src0_sel:BYTE_1 src1_sel:BYTE_1
	v_sub_u16_sdwa v192, v192, v194 dst_sel:BYTE_1 dst_unused:UNUSED_PAD src0_sel:DWORD src1_sel:BYTE_3
	v_sub_u16_sdwa v193, v193, v194 dst_sel:DWORD dst_unused:UNUSED_PAD src0_sel:WORD_1 src1_sel:WORD_1
	v_or_b32_sdwa v195, v195, v196 dst_sel:DWORD dst_unused:UNUSED_PAD src0_sel:BYTE_0 src1_sel:DWORD
	v_or_b32_sdwa v192, v193, v192 dst_sel:WORD_1 dst_unused:UNUSED_PAD src0_sel:BYTE_0 src1_sel:DWORD
	v_add_u32_e32 v196, 0x4208, v200
	v_or_b32_sdwa v192, v195, v192 dst_sel:DWORD dst_unused:UNUSED_PAD src0_sel:WORD_0 src1_sel:DWORD
	ds_read2_b32 v[194:195], v87 offset0:2 offset1:3
	ds_read2_b32 v[196:197], v196 offset1:1
	s_waitcnt lgkmcnt(1)
	v_ashrrev_i32_e32 v193, s22, v194
	s_waitcnt lgkmcnt(0)
	v_ashrrev_i32_e32 v196, s19, v196
	v_lshlrev_b32_e32 v196, 2, v196
	v_and_b32_e32 v194, 0x3030303, v193
	v_bfe_u32 v193, v193, 24, 2
	v_and_b32_e32 v196, 0x4040404, v196
	v_sub_u16_e32 v198, v194, v196
	v_sub_u16_sdwa v199, v194, v196 dst_sel:BYTE_1 dst_unused:UNUSED_PAD src0_sel:BYTE_1 src1_sel:BYTE_1
	v_sub_u16_sdwa v193, v193, v196 dst_sel:BYTE_1 dst_unused:UNUSED_PAD src0_sel:DWORD src1_sel:BYTE_3
	v_sub_u16_sdwa v194, v194, v196 dst_sel:DWORD dst_unused:UNUSED_PAD src0_sel:WORD_1 src1_sel:WORD_1
	v_ashrrev_i32_e32 v196, s19, v197
	v_or_b32_sdwa v193, v194, v193 dst_sel:WORD_1 dst_unused:UNUSED_PAD src0_sel:BYTE_0 src1_sel:DWORD
	v_ashrrev_i32_e32 v194, s22, v195
	v_lshlrev_b32_e32 v196, 2, v196
	v_or_b32_sdwa v198, v198, v199 dst_sel:DWORD dst_unused:UNUSED_PAD src0_sel:BYTE_0 src1_sel:DWORD
	v_and_b32_e32 v195, 0x3030303, v194
	v_bfe_u32 v194, v194, 24, 2
	v_and_b32_e32 v196, 0x4040404, v196
	v_or_b32_sdwa v193, v198, v193 dst_sel:DWORD dst_unused:UNUSED_PAD src0_sel:WORD_0 src1_sel:DWORD
	v_sub_u16_e32 v197, v195, v196
	v_sub_u16_sdwa v198, v195, v196 dst_sel:BYTE_1 dst_unused:UNUSED_PAD src0_sel:BYTE_1 src1_sel:BYTE_1
	v_sub_u16_sdwa v194, v194, v196 dst_sel:BYTE_1 dst_unused:UNUSED_PAD src0_sel:DWORD src1_sel:BYTE_3
	v_sub_u16_sdwa v195, v195, v196 dst_sel:DWORD dst_unused:UNUSED_PAD src0_sel:WORD_1 src1_sel:WORD_1
	v_or_b32_sdwa v197, v197, v198 dst_sel:DWORD dst_unused:UNUSED_PAD src0_sel:BYTE_0 src1_sel:DWORD
	v_or_b32_sdwa v194, v195, v194 dst_sel:WORD_1 dst_unused:UNUSED_PAD src0_sel:BYTE_0 src1_sel:DWORD
	v_add_u32_e32 v198, 0x4210, v200
	v_or_b32_sdwa v194, v197, v194 dst_sel:DWORD dst_unused:UNUSED_PAD src0_sel:WORD_0 src1_sel:DWORD
	ds_read2_b32 v[196:197], v87 offset0:4 offset1:5
	ds_read2_b32 v[198:199], v198 offset1:1
	s_waitcnt lgkmcnt(1)
	v_ashrrev_i32_e32 v195, s22, v196
	s_waitcnt lgkmcnt(0)
	v_ashrrev_i32_e32 v198, s19, v198
	v_lshlrev_b32_e32 v198, 2, v198
	v_and_b32_e32 v196, 0x3030303, v195
	v_bfe_u32 v195, v195, 24, 2
	v_and_b32_e32 v198, 0x4040404, v198
	v_sub_u16_e32 v201, v196, v198
	v_sub_u16_sdwa v202, v196, v198 dst_sel:BYTE_1 dst_unused:UNUSED_PAD src0_sel:BYTE_1 src1_sel:BYTE_1
	v_sub_u16_sdwa v195, v195, v198 dst_sel:BYTE_1 dst_unused:UNUSED_PAD src0_sel:DWORD src1_sel:BYTE_3
	v_sub_u16_sdwa v196, v196, v198 dst_sel:DWORD dst_unused:UNUSED_PAD src0_sel:WORD_1 src1_sel:WORD_1
	v_ashrrev_i32_e32 v198, s19, v199
	v_or_b32_sdwa v195, v196, v195 dst_sel:WORD_1 dst_unused:UNUSED_PAD src0_sel:BYTE_0 src1_sel:DWORD
	v_ashrrev_i32_e32 v196, s22, v197
	v_lshlrev_b32_e32 v198, 2, v198
	v_or_b32_sdwa v201, v201, v202 dst_sel:DWORD dst_unused:UNUSED_PAD src0_sel:BYTE_0 src1_sel:DWORD
	v_and_b32_e32 v197, 0x3030303, v196
	v_bfe_u32 v196, v196, 24, 2
	v_and_b32_e32 v198, 0x4040404, v198
	v_or_b32_sdwa v195, v201, v195 dst_sel:DWORD dst_unused:UNUSED_PAD src0_sel:WORD_0 src1_sel:DWORD
	v_sub_u16_e32 v199, v197, v198
	v_sub_u16_sdwa v201, v197, v198 dst_sel:BYTE_1 dst_unused:UNUSED_PAD src0_sel:BYTE_1 src1_sel:BYTE_1
	v_sub_u16_sdwa v196, v196, v198 dst_sel:BYTE_1 dst_unused:UNUSED_PAD src0_sel:DWORD src1_sel:BYTE_3
	v_sub_u16_sdwa v197, v197, v198 dst_sel:DWORD dst_unused:UNUSED_PAD src0_sel:WORD_1 src1_sel:WORD_1
	v_or_b32_sdwa v199, v199, v201 dst_sel:DWORD dst_unused:UNUSED_PAD src0_sel:BYTE_0 src1_sel:DWORD
	v_or_b32_sdwa v196, v197, v196 dst_sel:WORD_1 dst_unused:UNUSED_PAD src0_sel:BYTE_0 src1_sel:DWORD
	s_nop 0
	v_or_b32_sdwa v197, v199, v196 dst_sel:DWORD dst_unused:UNUSED_PAD src0_sel:WORD_0 src1_sel:DWORD
	ds_read2_b32 v[198:199], v87 offset0:6 offset1:7
	s_waitcnt lgkmcnt(0)
	v_ashrrev_i32_e32 v87, s22, v198
	v_add_u32_e32 v198, 0x4218, v200
	ds_read2_b32 v[200:201], v198 offset1:1
	v_and_b32_e32 v196, 0x3030303, v87
	v_bfe_u32 v87, v87, 24, 2
	s_waitcnt lgkmcnt(0)
	v_ashrrev_i32_e32 v198, s19, v200
	v_lshlrev_b32_e32 v198, 2, v198
	v_and_b32_e32 v198, 0x4040404, v198
	v_sub_u16_e32 v200, v196, v198
	v_sub_u16_sdwa v202, v196, v198 dst_sel:BYTE_1 dst_unused:UNUSED_PAD src0_sel:BYTE_1 src1_sel:BYTE_1
	v_sub_u16_sdwa v87, v87, v198 dst_sel:BYTE_1 dst_unused:UNUSED_PAD src0_sel:DWORD src1_sel:BYTE_3
	v_sub_u16_sdwa v196, v196, v198 dst_sel:DWORD dst_unused:UNUSED_PAD src0_sel:WORD_1 src1_sel:WORD_1
	v_or_b32_sdwa v200, v200, v202 dst_sel:DWORD dst_unused:UNUSED_PAD src0_sel:BYTE_0 src1_sel:DWORD
	v_or_b32_sdwa v87, v196, v87 dst_sel:WORD_1 dst_unused:UNUSED_PAD src0_sel:BYTE_0 src1_sel:DWORD
	s_nop 0
	v_or_b32_sdwa v198, v200, v87 dst_sel:DWORD dst_unused:UNUSED_PAD src0_sel:WORD_0 src1_sel:DWORD
	v_ashrrev_i32_e32 v87, s22, v199
	v_ashrrev_i32_e32 v199, s19, v201
	v_lshlrev_b32_e32 v199, 2, v199
	v_and_b32_e32 v196, 0x3030303, v87
	v_bfe_u32 v87, v87, 24, 2
	v_and_b32_e32 v199, 0x4040404, v199
	v_sub_u16_e32 v200, v196, v199
	v_sub_u16_sdwa v201, v196, v199 dst_sel:BYTE_1 dst_unused:UNUSED_PAD src0_sel:BYTE_1 src1_sel:BYTE_1
	v_sub_u16_sdwa v87, v87, v199 dst_sel:BYTE_1 dst_unused:UNUSED_PAD src0_sel:DWORD src1_sel:BYTE_3
	v_sub_u16_sdwa v196, v196, v199 dst_sel:DWORD dst_unused:UNUSED_PAD src0_sel:WORD_1 src1_sel:WORD_1
	v_or_b32_sdwa v200, v200, v201 dst_sel:DWORD dst_unused:UNUSED_PAD src0_sel:BYTE_0 src1_sel:DWORD
	v_or_b32_sdwa v87, v196, v87 dst_sel:WORD_1 dst_unused:UNUSED_PAD src0_sel:BYTE_0 src1_sel:DWORD
	v_add_u32_e32 v196, s25, v137
	v_or_b32_sdwa v199, v200, v87 dst_sel:DWORD dst_unused:UNUSED_PAD src0_sel:WORD_0 src1_sel:DWORD
	v_add3_u32 v87, v148, s21, v86
	ds_read_b32 v196, v196
	ds_read_u16 v87, v87 offset:35570
	v_mov_b32_e32 v201, 0
	v_dot4c_i32_i8_e32 v201, v190, v4
	v_dot4c_i32_i8_e32 v201, v192, v5
	;; [unrolled: 1-line block ×3, first 2 shown]
	s_waitcnt lgkmcnt(0)
	v_lshrrev_b16_e32 v202, 8, v87
	v_bfe_i32 v200, v87, 0, 8
	v_mov_b32_e32 v87, 0
	v_dot4c_i32_i8_e32 v87, v195, v0
	v_dot4c_i32_i8_e32 v87, v197, v1
	;; [unrolled: 1-line block ×5, first 2 shown]
	v_bfe_i32 v202, v202, 0, 8
	v_mul_lo_u32 v204, v201, v200
	v_add3_u32 v86, v150, s21, v86
	v_mad_u64_u32 v[204:205], s[26:27], v87, v202, v[204:205]
	v_cvt_f32_i32_e32 v201, v204
	v_mul_f32_e32 v87, v84, v196
	s_mov_b32 s21, s20
	v_fmac_f32_e32 v107, v87, v201
	v_add_u32_e32 v87, s24, v139
	ds_read2_b32 v[204:205], v87 offset1:1
	s_waitcnt lgkmcnt(0)
	v_ashrrev_i32_e32 v201, s22, v204
	v_add_u32_e32 v204, 0x4200, v212
	ds_read2_b32 v[206:207], v204 offset1:1
	v_and_b32_e32 v203, 0x3030303, v201
	v_bfe_u32 v201, v201, 24, 2
	s_waitcnt lgkmcnt(0)
	v_ashrrev_i32_e32 v204, s19, v206
	v_lshlrev_b32_e32 v204, 2, v204
	v_and_b32_e32 v204, 0x4040404, v204
	v_sub_u16_e32 v206, v203, v204
	v_sub_u16_sdwa v208, v203, v204 dst_sel:BYTE_1 dst_unused:UNUSED_PAD src0_sel:BYTE_1 src1_sel:BYTE_1
	v_sub_u16_sdwa v201, v201, v204 dst_sel:BYTE_1 dst_unused:UNUSED_PAD src0_sel:DWORD src1_sel:BYTE_3
	v_sub_u16_sdwa v203, v203, v204 dst_sel:DWORD dst_unused:UNUSED_PAD src0_sel:WORD_1 src1_sel:WORD_1
	v_or_b32_sdwa v201, v203, v201 dst_sel:WORD_1 dst_unused:UNUSED_PAD src0_sel:BYTE_0 src1_sel:DWORD
	v_ashrrev_i32_e32 v203, s22, v205
	v_ashrrev_i32_e32 v205, s19, v207
	v_lshlrev_b32_e32 v205, 2, v205
	v_or_b32_sdwa v206, v206, v208 dst_sel:DWORD dst_unused:UNUSED_PAD src0_sel:BYTE_0 src1_sel:DWORD
	v_and_b32_e32 v204, 0x3030303, v203
	v_bfe_u32 v203, v203, 24, 2
	v_and_b32_e32 v205, 0x4040404, v205
	v_or_b32_sdwa v201, v206, v201 dst_sel:DWORD dst_unused:UNUSED_PAD src0_sel:WORD_0 src1_sel:DWORD
	v_sub_u16_e32 v206, v204, v205
	v_sub_u16_sdwa v207, v204, v205 dst_sel:BYTE_1 dst_unused:UNUSED_PAD src0_sel:BYTE_1 src1_sel:BYTE_1
	v_sub_u16_sdwa v203, v203, v205 dst_sel:BYTE_1 dst_unused:UNUSED_PAD src0_sel:DWORD src1_sel:BYTE_3
	v_sub_u16_sdwa v204, v204, v205 dst_sel:DWORD dst_unused:UNUSED_PAD src0_sel:WORD_1 src1_sel:WORD_1
	v_or_b32_sdwa v206, v206, v207 dst_sel:DWORD dst_unused:UNUSED_PAD src0_sel:BYTE_0 src1_sel:DWORD
	v_or_b32_sdwa v203, v204, v203 dst_sel:WORD_1 dst_unused:UNUSED_PAD src0_sel:BYTE_0 src1_sel:DWORD
	ds_read2_b32 v[204:205], v87 offset0:2 offset1:3
	v_or_b32_sdwa v203, v206, v203 dst_sel:DWORD dst_unused:UNUSED_PAD src0_sel:WORD_0 src1_sel:DWORD
	v_add_u32_e32 v206, 0x4208, v212
	ds_read2_b32 v[206:207], v206 offset1:1
	s_waitcnt lgkmcnt(1)
	v_ashrrev_i32_e32 v204, s22, v204
	v_and_b32_e32 v208, 0x3030303, v204
	v_bfe_u32 v204, v204, 24, 2
	s_waitcnt lgkmcnt(0)
	v_ashrrev_i32_e32 v206, s19, v206
	v_lshlrev_b32_e32 v206, 2, v206
	v_and_b32_e32 v206, 0x4040404, v206
	v_ashrrev_i32_e32 v207, s19, v207
	v_sub_u16_e32 v209, v208, v206
	v_sub_u16_sdwa v210, v208, v206 dst_sel:BYTE_1 dst_unused:UNUSED_PAD src0_sel:BYTE_1 src1_sel:BYTE_1
	v_sub_u16_sdwa v204, v204, v206 dst_sel:BYTE_1 dst_unused:UNUSED_PAD src0_sel:DWORD src1_sel:BYTE_3
	v_sub_u16_sdwa v206, v208, v206 dst_sel:DWORD dst_unused:UNUSED_PAD src0_sel:WORD_1 src1_sel:WORD_1
	v_ashrrev_i32_e32 v205, s22, v205
	v_lshlrev_b32_e32 v207, 2, v207
	v_or_b32_sdwa v209, v209, v210 dst_sel:DWORD dst_unused:UNUSED_PAD src0_sel:BYTE_0 src1_sel:DWORD
	v_or_b32_sdwa v204, v206, v204 dst_sel:WORD_1 dst_unused:UNUSED_PAD src0_sel:BYTE_0 src1_sel:DWORD
	v_and_b32_e32 v206, 0x3030303, v205
	v_bfe_u32 v205, v205, 24, 2
	v_and_b32_e32 v207, 0x4040404, v207
	v_or_b32_sdwa v204, v209, v204 dst_sel:DWORD dst_unused:UNUSED_PAD src0_sel:WORD_0 src1_sel:DWORD
	v_sub_u16_e32 v208, v206, v207
	v_sub_u16_sdwa v209, v206, v207 dst_sel:BYTE_1 dst_unused:UNUSED_PAD src0_sel:BYTE_1 src1_sel:BYTE_1
	v_sub_u16_sdwa v205, v205, v207 dst_sel:BYTE_1 dst_unused:UNUSED_PAD src0_sel:DWORD src1_sel:BYTE_3
	v_sub_u16_sdwa v206, v206, v207 dst_sel:DWORD dst_unused:UNUSED_PAD src0_sel:WORD_1 src1_sel:WORD_1
	v_or_b32_sdwa v208, v208, v209 dst_sel:DWORD dst_unused:UNUSED_PAD src0_sel:BYTE_0 src1_sel:DWORD
	v_or_b32_sdwa v205, v206, v205 dst_sel:WORD_1 dst_unused:UNUSED_PAD src0_sel:BYTE_0 src1_sel:DWORD
	ds_read2_b32 v[206:207], v87 offset0:4 offset1:5
	v_or_b32_sdwa v205, v208, v205 dst_sel:DWORD dst_unused:UNUSED_PAD src0_sel:WORD_0 src1_sel:DWORD
	v_add_u32_e32 v208, 0x4210, v212
	ds_read2_b32 v[208:209], v208 offset1:1
	s_waitcnt lgkmcnt(1)
	v_ashrrev_i32_e32 v206, s22, v206
	v_and_b32_e32 v210, 0x3030303, v206
	v_bfe_u32 v206, v206, 24, 2
	s_waitcnt lgkmcnt(0)
	v_ashrrev_i32_e32 v208, s19, v208
	v_lshlrev_b32_e32 v208, 2, v208
	v_and_b32_e32 v208, 0x4040404, v208
	v_ashrrev_i32_e32 v209, s19, v209
	v_sub_u16_e32 v211, v210, v208
	v_sub_u16_sdwa v213, v210, v208 dst_sel:BYTE_1 dst_unused:UNUSED_PAD src0_sel:BYTE_1 src1_sel:BYTE_1
	v_sub_u16_sdwa v206, v206, v208 dst_sel:BYTE_1 dst_unused:UNUSED_PAD src0_sel:DWORD src1_sel:BYTE_3
	v_sub_u16_sdwa v208, v210, v208 dst_sel:DWORD dst_unused:UNUSED_PAD src0_sel:WORD_1 src1_sel:WORD_1
	v_ashrrev_i32_e32 v207, s22, v207
	v_lshlrev_b32_e32 v209, 2, v209
	v_or_b32_sdwa v211, v211, v213 dst_sel:DWORD dst_unused:UNUSED_PAD src0_sel:BYTE_0 src1_sel:DWORD
	v_or_b32_sdwa v206, v208, v206 dst_sel:WORD_1 dst_unused:UNUSED_PAD src0_sel:BYTE_0 src1_sel:DWORD
	v_and_b32_e32 v208, 0x3030303, v207
	v_bfe_u32 v207, v207, 24, 2
	v_and_b32_e32 v209, 0x4040404, v209
	v_or_b32_sdwa v206, v211, v206 dst_sel:DWORD dst_unused:UNUSED_PAD src0_sel:WORD_0 src1_sel:DWORD
	v_sub_u16_e32 v210, v208, v209
	v_sub_u16_sdwa v211, v208, v209 dst_sel:BYTE_1 dst_unused:UNUSED_PAD src0_sel:BYTE_1 src1_sel:BYTE_1
	v_sub_u16_sdwa v207, v207, v209 dst_sel:BYTE_1 dst_unused:UNUSED_PAD src0_sel:DWORD src1_sel:BYTE_3
	v_sub_u16_sdwa v208, v208, v209 dst_sel:DWORD dst_unused:UNUSED_PAD src0_sel:WORD_1 src1_sel:WORD_1
	v_or_b32_sdwa v210, v210, v211 dst_sel:DWORD dst_unused:UNUSED_PAD src0_sel:BYTE_0 src1_sel:DWORD
	v_or_b32_sdwa v207, v208, v207 dst_sel:WORD_1 dst_unused:UNUSED_PAD src0_sel:BYTE_0 src1_sel:DWORD
	v_add_u32_e32 v209, 0x4218, v212
	v_or_b32_sdwa v208, v210, v207 dst_sel:DWORD dst_unused:UNUSED_PAD src0_sel:WORD_0 src1_sel:DWORD
	ds_read2_b32 v[210:211], v87 offset0:6 offset1:7
	ds_read2_b32 v[212:213], v209 offset1:1
	s_waitcnt lgkmcnt(1)
	v_ashrrev_i32_e32 v87, s22, v210
	s_waitcnt lgkmcnt(0)
	v_ashrrev_i32_e32 v209, s19, v212
	v_lshlrev_b32_e32 v209, 2, v209
	v_and_b32_e32 v207, 0x3030303, v87
	v_bfe_u32 v87, v87, 24, 2
	v_and_b32_e32 v209, 0x4040404, v209
	v_sub_u16_e32 v210, v207, v209
	v_sub_u16_sdwa v212, v207, v209 dst_sel:BYTE_1 dst_unused:UNUSED_PAD src0_sel:BYTE_1 src1_sel:BYTE_1
	v_sub_u16_sdwa v87, v87, v209 dst_sel:BYTE_1 dst_unused:UNUSED_PAD src0_sel:DWORD src1_sel:BYTE_3
	v_sub_u16_sdwa v207, v207, v209 dst_sel:DWORD dst_unused:UNUSED_PAD src0_sel:WORD_1 src1_sel:WORD_1
	v_or_b32_sdwa v210, v210, v212 dst_sel:DWORD dst_unused:UNUSED_PAD src0_sel:BYTE_0 src1_sel:DWORD
	v_or_b32_sdwa v87, v207, v87 dst_sel:WORD_1 dst_unused:UNUSED_PAD src0_sel:BYTE_0 src1_sel:DWORD
	s_nop 0
	v_or_b32_sdwa v209, v210, v87 dst_sel:DWORD dst_unused:UNUSED_PAD src0_sel:WORD_0 src1_sel:DWORD
	v_ashrrev_i32_e32 v210, s19, v213
	v_ashrrev_i32_e32 v87, s22, v211
	v_lshlrev_b32_e32 v210, 2, v210
	v_and_b32_e32 v207, 0x3030303, v87
	v_bfe_u32 v87, v87, 24, 2
	v_and_b32_e32 v210, 0x4040404, v210
	v_sub_u16_e32 v211, v207, v210
	v_sub_u16_sdwa v212, v207, v210 dst_sel:BYTE_1 dst_unused:UNUSED_PAD src0_sel:BYTE_1 src1_sel:BYTE_1
	v_sub_u16_sdwa v87, v87, v210 dst_sel:BYTE_1 dst_unused:UNUSED_PAD src0_sel:DWORD src1_sel:BYTE_3
	v_sub_u16_sdwa v207, v207, v210 dst_sel:DWORD dst_unused:UNUSED_PAD src0_sel:WORD_1 src1_sel:WORD_1
	v_or_b32_sdwa v211, v211, v212 dst_sel:DWORD dst_unused:UNUSED_PAD src0_sel:BYTE_0 src1_sel:DWORD
	v_or_b32_sdwa v87, v207, v87 dst_sel:WORD_1 dst_unused:UNUSED_PAD src0_sel:BYTE_0 src1_sel:DWORD
	s_add_i32 s19, s19, 1
	v_or_b32_sdwa v210, v211, v87 dst_sel:DWORD dst_unused:UNUSED_PAD src0_sel:WORD_0 src1_sel:DWORD
	v_add_u32_e32 v87, s25, v140
	ds_read_b32 v207, v87
	v_mov_b32_e32 v87, 0
	v_dot4c_i32_i8_e32 v87, v201, v4
	ds_read_u16 v4, v86 offset:36594
	v_dot4c_i32_i8_e32 v87, v203, v5
	v_dot4c_i32_i8_e32 v87, v204, v6
	v_mov_b32_e32 v6, 0
	v_dot4c_i32_i8_e32 v6, v206, v0
	v_dot4c_i32_i8_e32 v6, v208, v1
	;; [unrolled: 1-line block ×3, first 2 shown]
	s_waitcnt lgkmcnt(0)
	v_lshrrev_b16_e32 v5, 8, v4
	v_bfe_i32 v211, v4, 0, 8
	v_dot4c_i32_i8_e32 v6, v209, v2
	v_mul_lo_u32 v4, v87, v211
	v_dot4c_i32_i8_e32 v6, v210, v3
	v_bfe_i32 v212, v5, 0, 8
	v_mov_b32_e32 v86, 0
	s_cmp_lt_u32 s20, 30
	v_mad_u64_u32 v[0:1], s[22:23], v6, v212, v[4:5]
	v_cvt_f32_i32_e32 v0, v0
	v_mul_f32_e32 v1, v84, v207
	v_mov_b32_e32 v84, 0
	v_fmac_f32_e32 v106, v1, v0
	ds_read_b128 v[0:3], v167 offset:1024
	ds_read_b128 v[4:7], v167 offset:1040
	s_waitcnt lgkmcnt(1)
	v_dot4c_i32_i8_e32 v84, v169, v0
	v_dot4c_i32_i8_e32 v84, v170, v1
	s_waitcnt lgkmcnt(0)
	v_dot4c_i32_i8_e32 v86, v174, v4
	v_dot4c_i32_i8_e32 v84, v171, v2
	;; [unrolled: 1-line block ×6, first 2 shown]
	s_nop 0
	v_mul_lo_u32 v84, v84, v178
	s_nop 0
	v_mad_u64_u32 v[86:87], s[22:23], v86, v180, v[84:85]
	v_cvt_f32_i32_e32 v86, v86
	v_mul_f32_e32 v84, v173, v85
	v_fmac_f32_e32 v103, v84, v86
	v_mov_b32_e32 v84, 0
	v_dot4c_i32_i8_e32 v84, v179, v0
	v_mov_b32_e32 v86, 0
	v_dot4c_i32_i8_e32 v84, v181, v1
	v_dot4c_i32_i8_e32 v86, v184, v4
	;; [unrolled: 1-line block ×7, first 2 shown]
	s_nop 0
	v_mul_lo_u32 v84, v84, v189
	s_nop 0
	v_mad_u64_u32 v[86:87], s[22:23], v86, v191, v[84:85]
	v_cvt_f32_i32_e32 v86, v86
	v_mul_f32_e32 v84, v185, v85
	v_fmac_f32_e32 v101, v84, v86
	v_mov_b32_e32 v84, 0
	v_dot4c_i32_i8_e32 v84, v190, v0
	v_mov_b32_e32 v86, 0
	v_dot4c_i32_i8_e32 v84, v192, v1
	v_dot4c_i32_i8_e32 v86, v195, v4
	;; [unrolled: 1-line block ×7, first 2 shown]
	s_nop 0
	v_mul_lo_u32 v84, v84, v200
	s_nop 0
	v_mad_u64_u32 v[86:87], s[22:23], v86, v202, v[84:85]
	v_cvt_f32_i32_e32 v86, v86
	v_mul_f32_e32 v84, v196, v85
	v_mov_b32_e32 v87, 0
	v_fmac_f32_e32 v100, v84, v86
	v_mov_b32_e32 v84, 0
	v_dot4c_i32_i8_e32 v84, v201, v0
	v_dot4c_i32_i8_e32 v84, v203, v1
	v_mov_b32_e32 v1, 0
	v_dot4c_i32_i8_e32 v1, v206, v4
	v_dot4c_i32_i8_e32 v84, v204, v2
	;; [unrolled: 1-line block ×6, first 2 shown]
	v_mov_b32_e32 v86, 0
	v_mul_lo_u32 v0, v84, v211
	s_nop 0
	v_mad_u64_u32 v[0:1], s[22:23], v1, v212, v[0:1]
	v_cvt_f32_i32_e32 v0, v0
	v_mul_f32_e32 v1, v207, v85
	v_fmac_f32_e32 v99, v1, v0
	ds_read2_b32 v[84:85], v168 offset0:64 offset1:96
	ds_read_b128 v[0:3], v167 offset:2048
	ds_read_b128 v[4:7], v167 offset:2064
	s_waitcnt lgkmcnt(1)
	v_dot4c_i32_i8_e32 v86, v169, v0
	v_dot4c_i32_i8_e32 v86, v170, v1
	s_waitcnt lgkmcnt(0)
	v_dot4c_i32_i8_e32 v87, v174, v4
	v_dot4c_i32_i8_e32 v86, v171, v2
	;; [unrolled: 1-line block ×6, first 2 shown]
	s_nop 0
	v_mul_lo_u32 v86, v86, v178
	s_nop 0
	v_mad_u64_u32 v[86:87], s[22:23], v87, v180, v[86:87]
	v_cvt_f32_i32_e32 v86, v86
	v_mul_f32_e32 v87, v173, v84
	v_fmac_f32_e32 v83, v87, v86
	v_mov_b32_e32 v86, 0
	v_dot4c_i32_i8_e32 v86, v179, v0
	v_mov_b32_e32 v87, 0
	v_dot4c_i32_i8_e32 v86, v181, v1
	v_dot4c_i32_i8_e32 v87, v184, v4
	;; [unrolled: 1-line block ×7, first 2 shown]
	s_nop 0
	v_mul_lo_u32 v86, v86, v189
	s_nop 0
	v_mad_u64_u32 v[86:87], s[22:23], v87, v191, v[86:87]
	v_cvt_f32_i32_e32 v86, v86
	v_mul_f32_e32 v87, v185, v84
	v_fmac_f32_e32 v67, v87, v86
	v_mov_b32_e32 v86, 0
	v_dot4c_i32_i8_e32 v86, v190, v0
	v_mov_b32_e32 v87, 0
	v_dot4c_i32_i8_e32 v86, v192, v1
	v_dot4c_i32_i8_e32 v87, v195, v4
	;; [unrolled: 1-line block ×7, first 2 shown]
	s_nop 0
	v_mul_lo_u32 v86, v86, v200
	s_nop 0
	v_mad_u64_u32 v[86:87], s[22:23], v87, v202, v[86:87]
	v_cvt_f32_i32_e32 v86, v86
	v_mul_f32_e32 v87, v196, v84
	v_fmac_f32_e32 v59, v87, v86
	v_mov_b32_e32 v86, 0
	v_dot4c_i32_i8_e32 v86, v201, v0
	v_dot4c_i32_i8_e32 v86, v203, v1
	v_mov_b32_e32 v1, 0
	v_dot4c_i32_i8_e32 v1, v206, v4
	v_dot4c_i32_i8_e32 v86, v204, v2
	;; [unrolled: 1-line block ×6, first 2 shown]
	s_nop 0
	v_mul_lo_u32 v0, v86, v211
	v_mov_b32_e32 v86, 0
	v_mad_u64_u32 v[0:1], s[22:23], v1, v212, v[0:1]
	v_cvt_f32_i32_e32 v0, v0
	v_mul_f32_e32 v1, v207, v84
	v_mov_b32_e32 v84, 0
	v_fmac_f32_e32 v57, v1, v0
	ds_read_b128 v[0:3], v167 offset:3072
	ds_read_b128 v[4:7], v167 offset:3088
	s_waitcnt lgkmcnt(1)
	v_dot4c_i32_i8_e32 v84, v169, v0
	v_dot4c_i32_i8_e32 v84, v170, v1
	s_waitcnt lgkmcnt(0)
	v_dot4c_i32_i8_e32 v86, v174, v4
	v_dot4c_i32_i8_e32 v84, v171, v2
	;; [unrolled: 1-line block ×6, first 2 shown]
	s_nop 0
	v_mul_lo_u32 v84, v84, v178
	s_nop 0
	v_mad_u64_u32 v[86:87], s[22:23], v86, v180, v[84:85]
	v_cvt_f32_i32_e32 v86, v86
	v_mul_f32_e32 v84, v173, v85
	v_fmac_f32_e32 v55, v84, v86
	v_mov_b32_e32 v84, 0
	v_dot4c_i32_i8_e32 v84, v179, v0
	v_mov_b32_e32 v86, 0
	v_dot4c_i32_i8_e32 v84, v181, v1
	v_dot4c_i32_i8_e32 v86, v184, v4
	;; [unrolled: 1-line block ×7, first 2 shown]
	s_nop 0
	v_mul_lo_u32 v84, v84, v189
	s_nop 0
	v_mad_u64_u32 v[86:87], s[22:23], v86, v191, v[84:85]
	v_cvt_f32_i32_e32 v86, v86
	v_mul_f32_e32 v84, v185, v85
	v_fmac_f32_e32 v53, v84, v86
	v_mov_b32_e32 v84, 0
	v_dot4c_i32_i8_e32 v84, v190, v0
	v_mov_b32_e32 v86, 0
	v_dot4c_i32_i8_e32 v84, v192, v1
	v_dot4c_i32_i8_e32 v86, v195, v4
	;; [unrolled: 1-line block ×7, first 2 shown]
	s_nop 0
	v_mul_lo_u32 v84, v84, v200
	s_nop 0
	v_mad_u64_u32 v[86:87], s[22:23], v86, v202, v[84:85]
	v_cvt_f32_i32_e32 v86, v86
	v_mul_f32_e32 v84, v196, v85
	v_mov_b32_e32 v87, 0
	v_fmac_f32_e32 v49, v84, v86
	v_mov_b32_e32 v84, 0
	v_dot4c_i32_i8_e32 v84, v201, v0
	v_dot4c_i32_i8_e32 v84, v203, v1
	v_mov_b32_e32 v1, 0
	v_dot4c_i32_i8_e32 v1, v206, v4
	v_dot4c_i32_i8_e32 v84, v204, v2
	;; [unrolled: 1-line block ×6, first 2 shown]
	v_mov_b32_e32 v86, 0
	v_mul_lo_u32 v0, v84, v211
	s_nop 0
	v_mad_u64_u32 v[0:1], s[22:23], v1, v212, v[0:1]
	v_cvt_f32_i32_e32 v0, v0
	v_mul_f32_e32 v1, v207, v85
	v_fmac_f32_e32 v47, v1, v0
	ds_read2_b32 v[84:85], v168 offset0:128 offset1:160
	ds_read_b128 v[0:3], v167 offset:4096
	ds_read_b128 v[4:7], v167 offset:4112
	s_waitcnt lgkmcnt(1)
	v_dot4c_i32_i8_e32 v86, v169, v0
	v_dot4c_i32_i8_e32 v86, v170, v1
	s_waitcnt lgkmcnt(0)
	v_dot4c_i32_i8_e32 v87, v174, v4
	v_dot4c_i32_i8_e32 v86, v171, v2
	v_dot4c_i32_i8_e32 v87, v175, v5
	v_dot4c_i32_i8_e32 v86, v172, v3
	v_dot4c_i32_i8_e32 v87, v176, v6
	v_dot4c_i32_i8_e32 v87, v177, v7
	s_nop 0
	v_mul_lo_u32 v86, v86, v178
	s_nop 0
	v_mad_u64_u32 v[86:87], s[22:23], v87, v180, v[86:87]
	v_cvt_f32_i32_e32 v86, v86
	v_mul_f32_e32 v87, v173, v84
	v_fmac_f32_e32 v41, v87, v86
	v_mov_b32_e32 v86, 0
	v_dot4c_i32_i8_e32 v86, v179, v0
	v_mov_b32_e32 v87, 0
	v_dot4c_i32_i8_e32 v86, v181, v1
	v_dot4c_i32_i8_e32 v87, v184, v4
	;; [unrolled: 1-line block ×7, first 2 shown]
	s_nop 0
	v_mul_lo_u32 v86, v86, v189
	s_nop 0
	v_mad_u64_u32 v[86:87], s[22:23], v87, v191, v[86:87]
	v_cvt_f32_i32_e32 v86, v86
	v_mul_f32_e32 v87, v185, v84
	v_fmac_f32_e32 v39, v87, v86
	v_mov_b32_e32 v86, 0
	v_dot4c_i32_i8_e32 v86, v190, v0
	v_mov_b32_e32 v87, 0
	v_dot4c_i32_i8_e32 v86, v192, v1
	v_dot4c_i32_i8_e32 v87, v195, v4
	;; [unrolled: 1-line block ×7, first 2 shown]
	s_nop 0
	v_mul_lo_u32 v86, v86, v200
	s_nop 0
	v_mad_u64_u32 v[86:87], s[22:23], v87, v202, v[86:87]
	v_cvt_f32_i32_e32 v86, v86
	v_mul_f32_e32 v87, v196, v84
	v_fmac_f32_e32 v37, v87, v86
	v_mov_b32_e32 v86, 0
	v_dot4c_i32_i8_e32 v86, v201, v0
	v_dot4c_i32_i8_e32 v86, v203, v1
	v_mov_b32_e32 v1, 0
	v_dot4c_i32_i8_e32 v1, v206, v4
	v_dot4c_i32_i8_e32 v86, v204, v2
	v_dot4c_i32_i8_e32 v1, v208, v5
	v_dot4c_i32_i8_e32 v86, v205, v3
	v_dot4c_i32_i8_e32 v1, v209, v6
	v_dot4c_i32_i8_e32 v1, v210, v7
	s_nop 0
	v_mul_lo_u32 v0, v86, v211
	v_mov_b32_e32 v86, 0
	v_mad_u64_u32 v[0:1], s[22:23], v1, v212, v[0:1]
	v_cvt_f32_i32_e32 v0, v0
	v_mul_f32_e32 v1, v207, v84
	v_mov_b32_e32 v84, 0
	v_fmac_f32_e32 v35, v1, v0
	ds_read_b128 v[0:3], v167 offset:5120
	ds_read_b128 v[4:7], v167 offset:5136
	s_waitcnt lgkmcnt(1)
	v_dot4c_i32_i8_e32 v84, v169, v0
	v_dot4c_i32_i8_e32 v84, v170, v1
	s_waitcnt lgkmcnt(0)
	v_dot4c_i32_i8_e32 v86, v174, v4
	v_dot4c_i32_i8_e32 v84, v171, v2
	;; [unrolled: 1-line block ×6, first 2 shown]
	s_nop 0
	v_mul_lo_u32 v84, v84, v178
	s_nop 0
	v_mad_u64_u32 v[86:87], s[22:23], v86, v180, v[84:85]
	v_cvt_f32_i32_e32 v86, v86
	v_mul_f32_e32 v84, v173, v85
	v_fmac_f32_e32 v33, v84, v86
	v_mov_b32_e32 v84, 0
	v_dot4c_i32_i8_e32 v84, v179, v0
	v_mov_b32_e32 v86, 0
	v_dot4c_i32_i8_e32 v84, v181, v1
	v_dot4c_i32_i8_e32 v86, v184, v4
	;; [unrolled: 1-line block ×7, first 2 shown]
	s_nop 0
	v_mul_lo_u32 v84, v84, v189
	s_nop 0
	v_mad_u64_u32 v[86:87], s[22:23], v86, v191, v[84:85]
	v_cvt_f32_i32_e32 v86, v86
	v_mul_f32_e32 v84, v185, v85
	v_fmac_f32_e32 v31, v84, v86
	v_mov_b32_e32 v84, 0
	v_dot4c_i32_i8_e32 v84, v190, v0
	v_mov_b32_e32 v86, 0
	v_dot4c_i32_i8_e32 v84, v192, v1
	v_dot4c_i32_i8_e32 v86, v195, v4
	;; [unrolled: 1-line block ×7, first 2 shown]
	s_nop 0
	v_mul_lo_u32 v84, v84, v200
	s_nop 0
	v_mad_u64_u32 v[86:87], s[22:23], v86, v202, v[84:85]
	v_cvt_f32_i32_e32 v86, v86
	v_mul_f32_e32 v84, v196, v85
	v_mov_b32_e32 v87, 0
	v_fmac_f32_e32 v29, v84, v86
	v_mov_b32_e32 v84, 0
	v_dot4c_i32_i8_e32 v84, v201, v0
	v_dot4c_i32_i8_e32 v84, v203, v1
	v_mov_b32_e32 v1, 0
	v_dot4c_i32_i8_e32 v1, v206, v4
	v_dot4c_i32_i8_e32 v84, v204, v2
	;; [unrolled: 1-line block ×6, first 2 shown]
	v_mov_b32_e32 v86, 0
	v_mul_lo_u32 v0, v84, v211
	s_nop 0
	v_mad_u64_u32 v[0:1], s[22:23], v1, v212, v[0:1]
	v_cvt_f32_i32_e32 v0, v0
	v_mul_f32_e32 v1, v207, v85
	v_fmac_f32_e32 v27, v1, v0
	ds_read2_b32 v[84:85], v168 offset0:192 offset1:224
	ds_read_b128 v[4:7], v167 offset:6144
	ds_read_b128 v[0:3], v167 offset:6160
	v_add_u32_e32 v168, 4, v168
	s_waitcnt lgkmcnt(1)
	v_dot4c_i32_i8_e32 v86, v169, v4
	v_dot4c_i32_i8_e32 v86, v170, v5
	s_waitcnt lgkmcnt(0)
	v_dot4c_i32_i8_e32 v87, v174, v0
	v_dot4c_i32_i8_e32 v86, v171, v6
	;; [unrolled: 1-line block ×6, first 2 shown]
	s_nop 0
	v_mul_lo_u32 v86, v86, v178
	s_nop 0
	v_mad_u64_u32 v[86:87], s[22:23], v87, v180, v[86:87]
	v_cvt_f32_i32_e32 v86, v86
	v_mul_f32_e32 v87, v173, v84
	v_fmac_f32_e32 v25, v87, v86
	v_mov_b32_e32 v86, 0
	v_dot4c_i32_i8_e32 v86, v179, v4
	v_mov_b32_e32 v87, 0
	v_dot4c_i32_i8_e32 v86, v181, v5
	v_dot4c_i32_i8_e32 v87, v184, v0
	;; [unrolled: 1-line block ×7, first 2 shown]
	s_nop 0
	v_mul_lo_u32 v86, v86, v189
	s_nop 0
	v_mad_u64_u32 v[86:87], s[22:23], v87, v191, v[86:87]
	v_cvt_f32_i32_e32 v86, v86
	v_mul_f32_e32 v87, v185, v84
	v_fmac_f32_e32 v23, v87, v86
	v_mov_b32_e32 v86, 0
	v_dot4c_i32_i8_e32 v86, v190, v4
	v_mov_b32_e32 v87, 0
	v_dot4c_i32_i8_e32 v86, v192, v5
	v_dot4c_i32_i8_e32 v87, v195, v0
	;; [unrolled: 1-line block ×7, first 2 shown]
	s_nop 0
	v_mul_lo_u32 v86, v86, v200
	s_nop 0
	v_mad_u64_u32 v[86:87], s[22:23], v87, v202, v[86:87]
	v_cvt_f32_i32_e32 v86, v86
	v_mul_f32_e32 v87, v196, v84
	v_fmac_f32_e32 v21, v87, v86
	v_mov_b32_e32 v86, 0
	v_dot4c_i32_i8_e32 v86, v201, v4
	v_dot4c_i32_i8_e32 v86, v203, v5
	v_mov_b32_e32 v5, 0
	v_dot4c_i32_i8_e32 v5, v206, v0
	v_dot4c_i32_i8_e32 v86, v204, v6
	;; [unrolled: 1-line block ×6, first 2 shown]
	s_nop 0
	v_mul_lo_u32 v4, v86, v211
	v_mov_b32_e32 v86, 0
	v_mad_u64_u32 v[0:1], s[22:23], v5, v212, v[4:5]
	v_cvt_f32_i32_e32 v0, v0
	v_mul_f32_e32 v1, v207, v84
	v_mov_b32_e32 v84, 0
	v_fmac_f32_e32 v19, v1, v0
	ds_read_b128 v[0:3], v167 offset:7168
	ds_read_b128 v[4:7], v167 offset:7184
	v_add_u32_e32 v167, 32, v167
	s_waitcnt lgkmcnt(1)
	v_dot4c_i32_i8_e32 v84, v169, v0
	v_dot4c_i32_i8_e32 v84, v170, v1
	s_waitcnt lgkmcnt(0)
	v_dot4c_i32_i8_e32 v86, v174, v4
	v_dot4c_i32_i8_e32 v84, v171, v2
	;; [unrolled: 1-line block ×6, first 2 shown]
	s_nop 0
	v_mul_lo_u32 v84, v84, v178
	s_nop 0
	v_mad_u64_u32 v[86:87], s[22:23], v86, v180, v[84:85]
	v_cvt_f32_i32_e32 v86, v86
	v_mul_f32_e32 v84, v173, v85
	v_fmac_f32_e32 v17, v84, v86
	v_mov_b32_e32 v84, 0
	v_dot4c_i32_i8_e32 v84, v179, v0
	v_mov_b32_e32 v86, 0
	v_dot4c_i32_i8_e32 v84, v181, v1
	v_dot4c_i32_i8_e32 v86, v184, v4
	;; [unrolled: 1-line block ×7, first 2 shown]
	s_nop 0
	v_mul_lo_u32 v84, v84, v189
	s_nop 0
	v_mad_u64_u32 v[86:87], s[22:23], v86, v191, v[84:85]
	v_cvt_f32_i32_e32 v86, v86
	v_mul_f32_e32 v84, v185, v85
	v_fmac_f32_e32 v15, v84, v86
	v_mov_b32_e32 v84, 0
	v_dot4c_i32_i8_e32 v84, v190, v0
	v_mov_b32_e32 v86, 0
	v_dot4c_i32_i8_e32 v84, v192, v1
	v_dot4c_i32_i8_e32 v86, v195, v4
	;; [unrolled: 1-line block ×7, first 2 shown]
	s_nop 0
	v_mul_lo_u32 v84, v84, v200
	s_nop 0
	v_mad_u64_u32 v[86:87], s[22:23], v86, v202, v[84:85]
	v_cvt_f32_i32_e32 v86, v86
	v_mul_f32_e32 v84, v196, v85
	v_fmac_f32_e32 v13, v84, v86
	v_mov_b32_e32 v84, 0
	v_dot4c_i32_i8_e32 v84, v201, v0
	v_dot4c_i32_i8_e32 v84, v203, v1
	v_mov_b32_e32 v1, 0
	v_dot4c_i32_i8_e32 v1, v206, v4
	v_dot4c_i32_i8_e32 v84, v204, v2
	;; [unrolled: 1-line block ×6, first 2 shown]
	s_nop 0
	v_mul_lo_u32 v0, v84, v211
	s_nop 0
	v_mad_u64_u32 v[0:1], s[22:23], v1, v212, v[0:1]
	v_cvt_f32_i32_e32 v0, v0
	v_mul_f32_e32 v1, v207, v85
	v_fmac_f32_e32 v9, v1, v0
	s_cbranch_scc1 .LBB169_14
; %bb.15:                               ;   in Loop: Header=BB169_6 Depth=1
	s_barrier
	s_branch .LBB169_5
.LBB169_16:
	v_mov_b32_e32 v1, v45
.LBB169_17:
	v_cmp_gt_u32_e32 vcc, s8, v90
	s_and_saveexec_b64 s[0:1], vcc
	s_cbranch_execz .LBB169_68
; %bb.18:
	v_add_u32_e32 v0, s6, v43
	v_mul_lo_u32 v5, v90, s10
	v_cmp_gt_u32_e32 vcc, s10, v0
	s_and_saveexec_b64 s[2:3], vcc
	s_cbranch_execz .LBB169_20
; %bb.19:
	v_bfe_u32 v2, v124, 16, 1
	s_movk_i32 s0, 0x7fff
	v_add3_u32 v2, v124, v2, s0
	v_lshrrev_b32_e32 v2, 16, v2
	v_mov_b32_e32 v3, 0x7fc0
	v_cmp_o_f32_e64 s[0:1], v124, v124
	s_nop 1
	v_cndmask_b32_e64 v4, v3, v2, s[0:1]
	v_add_u32_e32 v2, v0, v5
	v_mov_b32_e32 v3, 0
	s_waitcnt lgkmcnt(0)
	v_lshl_add_u64 v[2:3], v[2:3], 1, s[12:13]
	global_store_short v[2:3], v4, off
.LBB169_20:
	s_or_b64 exec, exec, s[2:3]
	v_add_u32_e32 v2, 32, v0
	v_cmp_gt_u32_e64 s[0:1], s10, v2
	s_and_saveexec_b64 s[4:5], s[0:1]
	s_cbranch_execz .LBB169_22
; %bb.21:
	v_bfe_u32 v3, v114, 16, 1
	s_movk_i32 s2, 0x7fff
	v_add3_u32 v3, v114, v3, s2
	v_lshrrev_b32_e32 v3, 16, v3
	v_mov_b32_e32 v4, 0x7fc0
	v_cmp_o_f32_e64 s[2:3], v114, v114
	v_add_u32_e32 v6, v2, v5
	v_mov_b32_e32 v7, 0
	v_cndmask_b32_e64 v3, v4, v3, s[2:3]
	s_waitcnt lgkmcnt(0)
	v_lshl_add_u64 v[6:7], v[6:7], 1, s[12:13]
	global_store_short v[6:7], v3, off
.LBB169_22:
	s_or_b64 exec, exec, s[4:5]
	v_add_u32_e32 v3, 64, v0
	v_cmp_gt_u32_e64 s[2:3], s10, v3
	s_and_saveexec_b64 s[6:7], s[2:3]
	s_cbranch_execz .LBB169_24
; %bb.23:
	v_bfe_u32 v4, v107, 16, 1
	s_movk_i32 s4, 0x7fff
	v_add3_u32 v4, v107, v4, s4
	v_lshrrev_b32_e32 v4, 16, v4
	v_mov_b32_e32 v6, 0x7fc0
	v_cmp_o_f32_e64 s[4:5], v107, v107
	v_mov_b32_e32 v7, 0
	s_nop 0
	v_cndmask_b32_e64 v4, v6, v4, s[4:5]
	v_add_u32_e32 v6, v3, v5
	s_waitcnt lgkmcnt(0)
	v_lshl_add_u64 v[6:7], v[6:7], 1, s[12:13]
	global_store_short v[6:7], v4, off
.LBB169_24:
	s_or_b64 exec, exec, s[6:7]
	v_add_u32_e32 v4, 0x60, v0
	v_cmp_gt_u32_e64 s[4:5], s10, v4
	s_and_saveexec_b64 s[14:15], s[4:5]
	s_cbranch_execz .LBB169_26
; %bb.25:
	v_bfe_u32 v6, v106, 16, 1
	s_movk_i32 s6, 0x7fff
	v_add3_u32 v6, v106, v6, s6
	v_lshrrev_b32_e32 v6, 16, v6
	v_mov_b32_e32 v7, 0x7fc0
	v_cmp_o_f32_e64 s[6:7], v106, v106
	s_nop 1
	v_cndmask_b32_e64 v8, v7, v6, s[6:7]
	v_add_u32_e32 v6, v4, v5
	v_mov_b32_e32 v7, 0
	s_waitcnt lgkmcnt(0)
	v_lshl_add_u64 v[6:7], v[6:7], 1, s[12:13]
	global_store_short v[6:7], v8, off
.LBB169_26:
	s_or_b64 exec, exec, s[14:15]
	v_add3_u32 v5, v1, s11, 8
	v_cmp_gt_u32_e64 s[6:7], s8, v5
	s_and_b64 exec, exec, s[6:7]
	s_cbranch_execz .LBB169_68
; %bb.27:
	v_mul_lo_u32 v5, v5, s10
	s_and_saveexec_b64 s[14:15], vcc
	s_cbranch_execnz .LBB169_69
; %bb.28:
	s_or_b64 exec, exec, s[14:15]
	s_and_saveexec_b64 s[14:15], s[0:1]
	s_cbranch_execnz .LBB169_70
.LBB169_29:
	s_or_b64 exec, exec, s[14:15]
	s_and_saveexec_b64 s[14:15], s[2:3]
	s_cbranch_execnz .LBB169_71
.LBB169_30:
	s_or_b64 exec, exec, s[14:15]
	s_and_saveexec_b64 s[14:15], s[4:5]
	s_cbranch_execz .LBB169_32
.LBB169_31:
	v_bfe_u32 v6, v99, 16, 1
	s_movk_i32 s6, 0x7fff
	v_add3_u32 v6, v99, v6, s6
	v_lshrrev_b32_e32 v6, 16, v6
	v_mov_b32_e32 v7, 0x7fc0
	v_cmp_o_f32_e64 s[6:7], v99, v99
	s_nop 1
	v_cndmask_b32_e64 v8, v7, v6, s[6:7]
	v_add_u32_e32 v6, v5, v4
	v_mov_b32_e32 v7, 0
	s_waitcnt lgkmcnt(0)
	v_lshl_add_u64 v[6:7], v[6:7], 1, s[12:13]
	global_store_short v[6:7], v8, off
.LBB169_32:
	s_or_b64 exec, exec, s[14:15]
	v_add3_u32 v5, v1, s11, 16
	v_cmp_gt_u32_e64 s[6:7], s8, v5
	s_and_b64 exec, exec, s[6:7]
	s_cbranch_execz .LBB169_68
; %bb.33:
	v_mul_lo_u32 v5, v5, s10
	s_and_saveexec_b64 s[14:15], vcc
	s_cbranch_execnz .LBB169_72
; %bb.34:
	s_or_b64 exec, exec, s[14:15]
	s_and_saveexec_b64 s[14:15], s[0:1]
	s_cbranch_execnz .LBB169_73
.LBB169_35:
	s_or_b64 exec, exec, s[14:15]
	s_and_saveexec_b64 s[14:15], s[2:3]
	s_cbranch_execnz .LBB169_74
.LBB169_36:
	s_or_b64 exec, exec, s[14:15]
	s_and_saveexec_b64 s[14:15], s[4:5]
	s_cbranch_execz .LBB169_38
.LBB169_37:
	v_bfe_u32 v6, v57, 16, 1
	s_movk_i32 s6, 0x7fff
	v_add3_u32 v6, v57, v6, s6
	v_lshrrev_b32_e32 v6, 16, v6
	v_mov_b32_e32 v7, 0x7fc0
	v_cmp_o_f32_e64 s[6:7], v57, v57
	s_nop 1
	v_cndmask_b32_e64 v8, v7, v6, s[6:7]
	v_add_u32_e32 v6, v5, v4
	v_mov_b32_e32 v7, 0
	s_waitcnt lgkmcnt(0)
	v_lshl_add_u64 v[6:7], v[6:7], 1, s[12:13]
	global_store_short v[6:7], v8, off
.LBB169_38:
	s_or_b64 exec, exec, s[14:15]
	v_add3_u32 v5, v1, s11, 24
	v_cmp_gt_u32_e64 s[6:7], s8, v5
	s_and_b64 exec, exec, s[6:7]
	s_cbranch_execz .LBB169_68
; %bb.39:
	v_mul_lo_u32 v5, v5, s10
	s_and_saveexec_b64 s[14:15], vcc
	s_cbranch_execnz .LBB169_75
; %bb.40:
	s_or_b64 exec, exec, s[14:15]
	s_and_saveexec_b64 s[14:15], s[0:1]
	s_cbranch_execnz .LBB169_76
.LBB169_41:
	s_or_b64 exec, exec, s[14:15]
	s_and_saveexec_b64 s[14:15], s[2:3]
	s_cbranch_execnz .LBB169_77
.LBB169_42:
	s_or_b64 exec, exec, s[14:15]
	s_and_saveexec_b64 s[14:15], s[4:5]
	s_cbranch_execz .LBB169_44
.LBB169_43:
	v_bfe_u32 v6, v47, 16, 1
	s_movk_i32 s6, 0x7fff
	v_add3_u32 v6, v47, v6, s6
	v_lshrrev_b32_e32 v6, 16, v6
	v_mov_b32_e32 v7, 0x7fc0
	v_cmp_o_f32_e64 s[6:7], v47, v47
	s_nop 1
	v_cndmask_b32_e64 v8, v7, v6, s[6:7]
	v_add_u32_e32 v6, v5, v4
	v_mov_b32_e32 v7, 0
	s_waitcnt lgkmcnt(0)
	v_lshl_add_u64 v[6:7], v[6:7], 1, s[12:13]
	global_store_short v[6:7], v8, off
.LBB169_44:
	s_or_b64 exec, exec, s[14:15]
	v_add3_u32 v5, v1, s11, 32
	v_cmp_gt_u32_e64 s[6:7], s8, v5
	s_and_b64 exec, exec, s[6:7]
	s_cbranch_execz .LBB169_68
; %bb.45:
	v_mul_lo_u32 v5, v5, s10
	s_and_saveexec_b64 s[14:15], vcc
	s_cbranch_execnz .LBB169_78
; %bb.46:
	s_or_b64 exec, exec, s[14:15]
	s_and_saveexec_b64 s[14:15], s[0:1]
	s_cbranch_execnz .LBB169_79
.LBB169_47:
	s_or_b64 exec, exec, s[14:15]
	s_and_saveexec_b64 s[14:15], s[2:3]
	s_cbranch_execnz .LBB169_80
.LBB169_48:
	s_or_b64 exec, exec, s[14:15]
	s_and_saveexec_b64 s[14:15], s[4:5]
	s_cbranch_execz .LBB169_50
.LBB169_49:
	v_bfe_u32 v6, v35, 16, 1
	s_movk_i32 s6, 0x7fff
	v_add3_u32 v6, v35, v6, s6
	v_lshrrev_b32_e32 v6, 16, v6
	v_mov_b32_e32 v7, 0x7fc0
	v_cmp_o_f32_e64 s[6:7], v35, v35
	s_nop 1
	v_cndmask_b32_e64 v8, v7, v6, s[6:7]
	v_add_u32_e32 v6, v5, v4
	v_mov_b32_e32 v7, 0
	s_waitcnt lgkmcnt(0)
	v_lshl_add_u64 v[6:7], v[6:7], 1, s[12:13]
	global_store_short v[6:7], v8, off
.LBB169_50:
	s_or_b64 exec, exec, s[14:15]
	v_add3_u32 v5, v1, s11, 40
	v_cmp_gt_u32_e64 s[6:7], s8, v5
	s_and_b64 exec, exec, s[6:7]
	s_cbranch_execz .LBB169_68
; %bb.51:
	v_mul_lo_u32 v5, v5, s10
	s_and_saveexec_b64 s[14:15], vcc
	s_cbranch_execnz .LBB169_81
; %bb.52:
	s_or_b64 exec, exec, s[14:15]
	s_and_saveexec_b64 s[14:15], s[0:1]
	s_cbranch_execnz .LBB169_82
.LBB169_53:
	s_or_b64 exec, exec, s[14:15]
	s_and_saveexec_b64 s[14:15], s[2:3]
	s_cbranch_execnz .LBB169_83
.LBB169_54:
	s_or_b64 exec, exec, s[14:15]
	s_and_saveexec_b64 s[14:15], s[4:5]
	s_cbranch_execz .LBB169_56
.LBB169_55:
	v_bfe_u32 v6, v27, 16, 1
	s_movk_i32 s6, 0x7fff
	v_add3_u32 v6, v27, v6, s6
	v_lshrrev_b32_e32 v6, 16, v6
	v_mov_b32_e32 v7, 0x7fc0
	v_cmp_o_f32_e64 s[6:7], v27, v27
	s_nop 1
	v_cndmask_b32_e64 v8, v7, v6, s[6:7]
	v_add_u32_e32 v6, v5, v4
	v_mov_b32_e32 v7, 0
	s_waitcnt lgkmcnt(0)
	v_lshl_add_u64 v[6:7], v[6:7], 1, s[12:13]
	global_store_short v[6:7], v8, off
.LBB169_56:
	s_or_b64 exec, exec, s[14:15]
	v_add3_u32 v5, v1, s11, 48
	v_cmp_gt_u32_e64 s[6:7], s8, v5
	s_and_b64 exec, exec, s[6:7]
	s_cbranch_execz .LBB169_68
; %bb.57:
	v_mul_lo_u32 v5, v5, s10
	s_and_saveexec_b64 s[14:15], vcc
	s_cbranch_execnz .LBB169_84
; %bb.58:
	s_or_b64 exec, exec, s[14:15]
	s_and_saveexec_b64 s[14:15], s[0:1]
	s_cbranch_execnz .LBB169_85
.LBB169_59:
	s_or_b64 exec, exec, s[14:15]
	s_and_saveexec_b64 s[14:15], s[2:3]
	s_cbranch_execnz .LBB169_86
.LBB169_60:
	s_or_b64 exec, exec, s[14:15]
	s_and_saveexec_b64 s[14:15], s[4:5]
	s_cbranch_execz .LBB169_62
.LBB169_61:
	v_bfe_u32 v6, v19, 16, 1
	s_movk_i32 s6, 0x7fff
	v_add3_u32 v6, v19, v6, s6
	v_lshrrev_b32_e32 v6, 16, v6
	v_mov_b32_e32 v7, 0x7fc0
	v_cmp_o_f32_e64 s[6:7], v19, v19
	s_nop 1
	v_cndmask_b32_e64 v8, v7, v6, s[6:7]
	v_add_u32_e32 v6, v5, v4
	v_mov_b32_e32 v7, 0
	s_waitcnt lgkmcnt(0)
	v_lshl_add_u64 v[6:7], v[6:7], 1, s[12:13]
	global_store_short v[6:7], v8, off
.LBB169_62:
	s_or_b64 exec, exec, s[14:15]
	v_add3_u32 v1, v1, s11, 56
	v_cmp_gt_u32_e64 s[6:7], s8, v1
	s_and_b64 exec, exec, s[6:7]
	s_cbranch_execz .LBB169_68
; %bb.63:
	v_mul_lo_u32 v1, v1, s10
	s_and_saveexec_b64 s[6:7], vcc
	s_cbranch_execnz .LBB169_87
; %bb.64:
	s_or_b64 exec, exec, s[6:7]
	s_and_saveexec_b64 s[6:7], s[0:1]
	s_cbranch_execnz .LBB169_88
.LBB169_65:
	s_or_b64 exec, exec, s[6:7]
	s_and_saveexec_b64 s[0:1], s[2:3]
	s_cbranch_execnz .LBB169_89
.LBB169_66:
	s_or_b64 exec, exec, s[0:1]
	s_and_b64 exec, exec, s[4:5]
	s_cbranch_execz .LBB169_68
.LBB169_67:
	v_bfe_u32 v0, v9, 16, 1
	s_movk_i32 s0, 0x7fff
	v_add3_u32 v0, v9, v0, s0
	v_lshrrev_b32_e32 v0, 16, v0
	v_mov_b32_e32 v2, 0x7fc0
	v_cmp_o_f32_e32 vcc, v9, v9
	s_nop 1
	v_cndmask_b32_e32 v2, v2, v0, vcc
	v_add_u32_e32 v0, v1, v4
	v_mov_b32_e32 v1, 0
	s_waitcnt lgkmcnt(0)
	v_lshl_add_u64 v[0:1], v[0:1], 1, s[12:13]
	global_store_short v[0:1], v2, off
.LBB169_68:
	s_endpgm
.LBB169_69:
	v_bfe_u32 v6, v103, 16, 1
	s_movk_i32 s6, 0x7fff
	v_add3_u32 v6, v103, v6, s6
	v_lshrrev_b32_e32 v6, 16, v6
	v_mov_b32_e32 v7, 0x7fc0
	v_cmp_o_f32_e64 s[6:7], v103, v103
	s_nop 1
	v_cndmask_b32_e64 v8, v7, v6, s[6:7]
	v_add_u32_e32 v6, v5, v0
	v_mov_b32_e32 v7, 0
	s_waitcnt lgkmcnt(0)
	v_lshl_add_u64 v[6:7], v[6:7], 1, s[12:13]
	global_store_short v[6:7], v8, off
	s_or_b64 exec, exec, s[14:15]
	s_and_saveexec_b64 s[14:15], s[0:1]
	s_cbranch_execz .LBB169_29
.LBB169_70:
	v_bfe_u32 v6, v101, 16, 1
	s_movk_i32 s6, 0x7fff
	v_add3_u32 v6, v101, v6, s6
	v_lshrrev_b32_e32 v6, 16, v6
	v_mov_b32_e32 v7, 0x7fc0
	v_cmp_o_f32_e64 s[6:7], v101, v101
	s_nop 1
	v_cndmask_b32_e64 v8, v7, v6, s[6:7]
	v_add_u32_e32 v6, v5, v2
	v_mov_b32_e32 v7, 0
	s_waitcnt lgkmcnt(0)
	v_lshl_add_u64 v[6:7], v[6:7], 1, s[12:13]
	global_store_short v[6:7], v8, off
	s_or_b64 exec, exec, s[14:15]
	s_and_saveexec_b64 s[14:15], s[2:3]
	s_cbranch_execz .LBB169_30
.LBB169_71:
	v_bfe_u32 v6, v100, 16, 1
	s_movk_i32 s6, 0x7fff
	v_add3_u32 v6, v100, v6, s6
	v_lshrrev_b32_e32 v6, 16, v6
	v_mov_b32_e32 v7, 0x7fc0
	v_cmp_o_f32_e64 s[6:7], v100, v100
	s_nop 1
	v_cndmask_b32_e64 v8, v7, v6, s[6:7]
	v_add_u32_e32 v6, v5, v3
	v_mov_b32_e32 v7, 0
	s_waitcnt lgkmcnt(0)
	v_lshl_add_u64 v[6:7], v[6:7], 1, s[12:13]
	global_store_short v[6:7], v8, off
	s_or_b64 exec, exec, s[14:15]
	s_and_saveexec_b64 s[14:15], s[4:5]
	s_cbranch_execnz .LBB169_31
	s_branch .LBB169_32
.LBB169_72:
	v_bfe_u32 v6, v83, 16, 1
	s_movk_i32 s6, 0x7fff
	v_add3_u32 v6, v83, v6, s6
	v_lshrrev_b32_e32 v6, 16, v6
	v_mov_b32_e32 v7, 0x7fc0
	v_cmp_o_f32_e64 s[6:7], v83, v83
	s_nop 1
	v_cndmask_b32_e64 v8, v7, v6, s[6:7]
	v_add_u32_e32 v6, v5, v0
	v_mov_b32_e32 v7, 0
	s_waitcnt lgkmcnt(0)
	v_lshl_add_u64 v[6:7], v[6:7], 1, s[12:13]
	global_store_short v[6:7], v8, off
	s_or_b64 exec, exec, s[14:15]
	s_and_saveexec_b64 s[14:15], s[0:1]
	s_cbranch_execz .LBB169_35
.LBB169_73:
	v_bfe_u32 v6, v67, 16, 1
	s_movk_i32 s6, 0x7fff
	v_add3_u32 v6, v67, v6, s6
	v_lshrrev_b32_e32 v6, 16, v6
	v_mov_b32_e32 v7, 0x7fc0
	v_cmp_o_f32_e64 s[6:7], v67, v67
	s_nop 1
	v_cndmask_b32_e64 v8, v7, v6, s[6:7]
	v_add_u32_e32 v6, v5, v2
	v_mov_b32_e32 v7, 0
	s_waitcnt lgkmcnt(0)
	v_lshl_add_u64 v[6:7], v[6:7], 1, s[12:13]
	global_store_short v[6:7], v8, off
	s_or_b64 exec, exec, s[14:15]
	s_and_saveexec_b64 s[14:15], s[2:3]
	s_cbranch_execz .LBB169_36
.LBB169_74:
	v_bfe_u32 v6, v59, 16, 1
	s_movk_i32 s6, 0x7fff
	v_add3_u32 v6, v59, v6, s6
	v_lshrrev_b32_e32 v6, 16, v6
	v_mov_b32_e32 v7, 0x7fc0
	v_cmp_o_f32_e64 s[6:7], v59, v59
	s_nop 1
	v_cndmask_b32_e64 v8, v7, v6, s[6:7]
	v_add_u32_e32 v6, v5, v3
	v_mov_b32_e32 v7, 0
	s_waitcnt lgkmcnt(0)
	v_lshl_add_u64 v[6:7], v[6:7], 1, s[12:13]
	global_store_short v[6:7], v8, off
	s_or_b64 exec, exec, s[14:15]
	s_and_saveexec_b64 s[14:15], s[4:5]
	s_cbranch_execnz .LBB169_37
	s_branch .LBB169_38
.LBB169_75:
	v_bfe_u32 v6, v55, 16, 1
	s_movk_i32 s6, 0x7fff
	v_add3_u32 v6, v55, v6, s6
	v_lshrrev_b32_e32 v6, 16, v6
	v_mov_b32_e32 v7, 0x7fc0
	v_cmp_o_f32_e64 s[6:7], v55, v55
	s_nop 1
	v_cndmask_b32_e64 v8, v7, v6, s[6:7]
	v_add_u32_e32 v6, v5, v0
	v_mov_b32_e32 v7, 0
	s_waitcnt lgkmcnt(0)
	v_lshl_add_u64 v[6:7], v[6:7], 1, s[12:13]
	global_store_short v[6:7], v8, off
	s_or_b64 exec, exec, s[14:15]
	s_and_saveexec_b64 s[14:15], s[0:1]
	s_cbranch_execz .LBB169_41
.LBB169_76:
	v_bfe_u32 v6, v53, 16, 1
	s_movk_i32 s6, 0x7fff
	v_add3_u32 v6, v53, v6, s6
	v_lshrrev_b32_e32 v6, 16, v6
	v_mov_b32_e32 v7, 0x7fc0
	v_cmp_o_f32_e64 s[6:7], v53, v53
	s_nop 1
	v_cndmask_b32_e64 v8, v7, v6, s[6:7]
	v_add_u32_e32 v6, v5, v2
	v_mov_b32_e32 v7, 0
	s_waitcnt lgkmcnt(0)
	v_lshl_add_u64 v[6:7], v[6:7], 1, s[12:13]
	global_store_short v[6:7], v8, off
	s_or_b64 exec, exec, s[14:15]
	s_and_saveexec_b64 s[14:15], s[2:3]
	s_cbranch_execz .LBB169_42
.LBB169_77:
	v_bfe_u32 v6, v49, 16, 1
	s_movk_i32 s6, 0x7fff
	v_add3_u32 v6, v49, v6, s6
	v_lshrrev_b32_e32 v6, 16, v6
	v_mov_b32_e32 v7, 0x7fc0
	v_cmp_o_f32_e64 s[6:7], v49, v49
	s_nop 1
	v_cndmask_b32_e64 v8, v7, v6, s[6:7]
	v_add_u32_e32 v6, v5, v3
	v_mov_b32_e32 v7, 0
	s_waitcnt lgkmcnt(0)
	v_lshl_add_u64 v[6:7], v[6:7], 1, s[12:13]
	global_store_short v[6:7], v8, off
	s_or_b64 exec, exec, s[14:15]
	s_and_saveexec_b64 s[14:15], s[4:5]
	s_cbranch_execnz .LBB169_43
	s_branch .LBB169_44
.LBB169_78:
	v_bfe_u32 v6, v41, 16, 1
	s_movk_i32 s6, 0x7fff
	v_add3_u32 v6, v41, v6, s6
	v_lshrrev_b32_e32 v6, 16, v6
	v_mov_b32_e32 v7, 0x7fc0
	v_cmp_o_f32_e64 s[6:7], v41, v41
	s_nop 1
	v_cndmask_b32_e64 v8, v7, v6, s[6:7]
	v_add_u32_e32 v6, v5, v0
	v_mov_b32_e32 v7, 0
	s_waitcnt lgkmcnt(0)
	v_lshl_add_u64 v[6:7], v[6:7], 1, s[12:13]
	global_store_short v[6:7], v8, off
	s_or_b64 exec, exec, s[14:15]
	s_and_saveexec_b64 s[14:15], s[0:1]
	s_cbranch_execz .LBB169_47
.LBB169_79:
	v_bfe_u32 v6, v39, 16, 1
	s_movk_i32 s6, 0x7fff
	v_add3_u32 v6, v39, v6, s6
	v_lshrrev_b32_e32 v6, 16, v6
	v_mov_b32_e32 v7, 0x7fc0
	v_cmp_o_f32_e64 s[6:7], v39, v39
	s_nop 1
	v_cndmask_b32_e64 v8, v7, v6, s[6:7]
	v_add_u32_e32 v6, v5, v2
	v_mov_b32_e32 v7, 0
	s_waitcnt lgkmcnt(0)
	v_lshl_add_u64 v[6:7], v[6:7], 1, s[12:13]
	global_store_short v[6:7], v8, off
	s_or_b64 exec, exec, s[14:15]
	s_and_saveexec_b64 s[14:15], s[2:3]
	s_cbranch_execz .LBB169_48
.LBB169_80:
	v_bfe_u32 v6, v37, 16, 1
	s_movk_i32 s6, 0x7fff
	v_add3_u32 v6, v37, v6, s6
	v_lshrrev_b32_e32 v6, 16, v6
	v_mov_b32_e32 v7, 0x7fc0
	v_cmp_o_f32_e64 s[6:7], v37, v37
	s_nop 1
	v_cndmask_b32_e64 v8, v7, v6, s[6:7]
	v_add_u32_e32 v6, v5, v3
	v_mov_b32_e32 v7, 0
	s_waitcnt lgkmcnt(0)
	v_lshl_add_u64 v[6:7], v[6:7], 1, s[12:13]
	global_store_short v[6:7], v8, off
	s_or_b64 exec, exec, s[14:15]
	s_and_saveexec_b64 s[14:15], s[4:5]
	s_cbranch_execnz .LBB169_49
	s_branch .LBB169_50
.LBB169_81:
	v_bfe_u32 v6, v33, 16, 1
	s_movk_i32 s6, 0x7fff
	v_add3_u32 v6, v33, v6, s6
	v_lshrrev_b32_e32 v6, 16, v6
	v_mov_b32_e32 v7, 0x7fc0
	v_cmp_o_f32_e64 s[6:7], v33, v33
	s_nop 1
	v_cndmask_b32_e64 v8, v7, v6, s[6:7]
	v_add_u32_e32 v6, v5, v0
	v_mov_b32_e32 v7, 0
	s_waitcnt lgkmcnt(0)
	v_lshl_add_u64 v[6:7], v[6:7], 1, s[12:13]
	global_store_short v[6:7], v8, off
	s_or_b64 exec, exec, s[14:15]
	s_and_saveexec_b64 s[14:15], s[0:1]
	s_cbranch_execz .LBB169_53
.LBB169_82:
	v_bfe_u32 v6, v31, 16, 1
	s_movk_i32 s6, 0x7fff
	v_add3_u32 v6, v31, v6, s6
	v_lshrrev_b32_e32 v6, 16, v6
	v_mov_b32_e32 v7, 0x7fc0
	v_cmp_o_f32_e64 s[6:7], v31, v31
	s_nop 1
	v_cndmask_b32_e64 v8, v7, v6, s[6:7]
	v_add_u32_e32 v6, v5, v2
	v_mov_b32_e32 v7, 0
	s_waitcnt lgkmcnt(0)
	v_lshl_add_u64 v[6:7], v[6:7], 1, s[12:13]
	global_store_short v[6:7], v8, off
	s_or_b64 exec, exec, s[14:15]
	s_and_saveexec_b64 s[14:15], s[2:3]
	s_cbranch_execz .LBB169_54
.LBB169_83:
	v_bfe_u32 v6, v29, 16, 1
	s_movk_i32 s6, 0x7fff
	v_add3_u32 v6, v29, v6, s6
	v_lshrrev_b32_e32 v6, 16, v6
	v_mov_b32_e32 v7, 0x7fc0
	v_cmp_o_f32_e64 s[6:7], v29, v29
	s_nop 1
	v_cndmask_b32_e64 v8, v7, v6, s[6:7]
	v_add_u32_e32 v6, v5, v3
	v_mov_b32_e32 v7, 0
	s_waitcnt lgkmcnt(0)
	v_lshl_add_u64 v[6:7], v[6:7], 1, s[12:13]
	global_store_short v[6:7], v8, off
	s_or_b64 exec, exec, s[14:15]
	s_and_saveexec_b64 s[14:15], s[4:5]
	s_cbranch_execnz .LBB169_55
	s_branch .LBB169_56
.LBB169_84:
	v_bfe_u32 v6, v25, 16, 1
	s_movk_i32 s6, 0x7fff
	v_add3_u32 v6, v25, v6, s6
	v_lshrrev_b32_e32 v6, 16, v6
	v_mov_b32_e32 v7, 0x7fc0
	v_cmp_o_f32_e64 s[6:7], v25, v25
	s_nop 1
	v_cndmask_b32_e64 v8, v7, v6, s[6:7]
	v_add_u32_e32 v6, v5, v0
	v_mov_b32_e32 v7, 0
	s_waitcnt lgkmcnt(0)
	v_lshl_add_u64 v[6:7], v[6:7], 1, s[12:13]
	global_store_short v[6:7], v8, off
	s_or_b64 exec, exec, s[14:15]
	s_and_saveexec_b64 s[14:15], s[0:1]
	s_cbranch_execz .LBB169_59
.LBB169_85:
	v_bfe_u32 v6, v23, 16, 1
	s_movk_i32 s6, 0x7fff
	v_add3_u32 v6, v23, v6, s6
	v_lshrrev_b32_e32 v6, 16, v6
	v_mov_b32_e32 v7, 0x7fc0
	v_cmp_o_f32_e64 s[6:7], v23, v23
	s_nop 1
	v_cndmask_b32_e64 v8, v7, v6, s[6:7]
	v_add_u32_e32 v6, v5, v2
	v_mov_b32_e32 v7, 0
	s_waitcnt lgkmcnt(0)
	v_lshl_add_u64 v[6:7], v[6:7], 1, s[12:13]
	global_store_short v[6:7], v8, off
	s_or_b64 exec, exec, s[14:15]
	s_and_saveexec_b64 s[14:15], s[2:3]
	s_cbranch_execz .LBB169_60
.LBB169_86:
	v_bfe_u32 v6, v21, 16, 1
	s_movk_i32 s6, 0x7fff
	v_add3_u32 v6, v21, v6, s6
	v_lshrrev_b32_e32 v6, 16, v6
	v_mov_b32_e32 v7, 0x7fc0
	v_cmp_o_f32_e64 s[6:7], v21, v21
	s_nop 1
	v_cndmask_b32_e64 v8, v7, v6, s[6:7]
	v_add_u32_e32 v6, v5, v3
	v_mov_b32_e32 v7, 0
	s_waitcnt lgkmcnt(0)
	v_lshl_add_u64 v[6:7], v[6:7], 1, s[12:13]
	global_store_short v[6:7], v8, off
	s_or_b64 exec, exec, s[14:15]
	s_and_saveexec_b64 s[14:15], s[4:5]
	s_cbranch_execnz .LBB169_61
	s_branch .LBB169_62
.LBB169_87:
	v_bfe_u32 v5, v17, 16, 1
	s_movk_i32 s8, 0x7fff
	v_add3_u32 v5, v17, v5, s8
	v_lshrrev_b32_e32 v5, 16, v5
	v_mov_b32_e32 v6, 0x7fc0
	v_cmp_o_f32_e32 vcc, v17, v17
	v_mov_b32_e32 v7, 0
	s_nop 0
	v_cndmask_b32_e32 v5, v6, v5, vcc
	v_add_u32_e32 v6, v1, v0
	s_waitcnt lgkmcnt(0)
	v_lshl_add_u64 v[6:7], v[6:7], 1, s[12:13]
	global_store_short v[6:7], v5, off
	s_or_b64 exec, exec, s[6:7]
	s_and_saveexec_b64 s[6:7], s[0:1]
	s_cbranch_execz .LBB169_65
.LBB169_88:
	v_bfe_u32 v0, v15, 16, 1
	s_movk_i32 s0, 0x7fff
	v_add3_u32 v0, v15, v0, s0
	v_lshrrev_b32_e32 v0, 16, v0
	v_mov_b32_e32 v5, 0x7fc0
	v_cmp_o_f32_e32 vcc, v15, v15
	v_add_u32_e32 v6, v1, v2
	v_mov_b32_e32 v7, 0
	v_cndmask_b32_e32 v0, v5, v0, vcc
	s_waitcnt lgkmcnt(0)
	v_lshl_add_u64 v[6:7], v[6:7], 1, s[12:13]
	global_store_short v[6:7], v0, off
	s_or_b64 exec, exec, s[6:7]
	s_and_saveexec_b64 s[0:1], s[2:3]
	s_cbranch_execz .LBB169_66
.LBB169_89:
	v_bfe_u32 v0, v13, 16, 1
	s_movk_i32 s2, 0x7fff
	v_add3_u32 v0, v13, v0, s2
	v_lshrrev_b32_e32 v0, 16, v0
	v_mov_b32_e32 v2, 0x7fc0
	v_cmp_o_f32_e32 vcc, v13, v13
	s_nop 1
	v_cndmask_b32_e32 v0, v2, v0, vcc
	v_add_u32_e32 v2, v1, v3
	v_mov_b32_e32 v3, 0
	s_waitcnt lgkmcnt(0)
	v_lshl_add_u64 v[2:3], v[2:3], 1, s[12:13]
	global_store_short v[2:3], v0, off
	s_or_b64 exec, exec, s[0:1]
	s_and_b64 exec, exec, s[4:5]
	s_cbranch_execnz .LBB169_67
	s_branch .LBB169_68
	.section	.rodata,"a",@progbits
	.p2align	6, 0x0
	.amdhsa_kernel _ZL12mul_mat_q3_KIN3c108BFloat16ELb0EEvPKvS3_PT_iiiii
		.amdhsa_group_segment_fixed_size 39840
		.amdhsa_private_segment_fixed_size 0
		.amdhsa_kernarg_size 44
		.amdhsa_user_sgpr_count 2
		.amdhsa_user_sgpr_dispatch_ptr 0
		.amdhsa_user_sgpr_queue_ptr 0
		.amdhsa_user_sgpr_kernarg_segment_ptr 1
		.amdhsa_user_sgpr_dispatch_id 0
		.amdhsa_user_sgpr_kernarg_preload_length 0
		.amdhsa_user_sgpr_kernarg_preload_offset 0
		.amdhsa_user_sgpr_private_segment_size 0
		.amdhsa_uses_dynamic_stack 0
		.amdhsa_enable_private_segment 0
		.amdhsa_system_sgpr_workgroup_id_x 1
		.amdhsa_system_sgpr_workgroup_id_y 1
		.amdhsa_system_sgpr_workgroup_id_z 0
		.amdhsa_system_sgpr_workgroup_info 0
		.amdhsa_system_vgpr_workitem_id 1
		.amdhsa_next_free_vgpr 216
		.amdhsa_next_free_sgpr 30
		.amdhsa_accum_offset 216
		.amdhsa_reserve_vcc 1
		.amdhsa_float_round_mode_32 0
		.amdhsa_float_round_mode_16_64 0
		.amdhsa_float_denorm_mode_32 3
		.amdhsa_float_denorm_mode_16_64 3
		.amdhsa_dx10_clamp 1
		.amdhsa_ieee_mode 1
		.amdhsa_fp16_overflow 0
		.amdhsa_tg_split 0
		.amdhsa_exception_fp_ieee_invalid_op 0
		.amdhsa_exception_fp_denorm_src 0
		.amdhsa_exception_fp_ieee_div_zero 0
		.amdhsa_exception_fp_ieee_overflow 0
		.amdhsa_exception_fp_ieee_underflow 0
		.amdhsa_exception_fp_ieee_inexact 0
		.amdhsa_exception_int_div_zero 0
	.end_amdhsa_kernel
	.section	.text._ZL12mul_mat_q3_KIN3c108BFloat16ELb0EEvPKvS3_PT_iiiii,"axG",@progbits,_ZL12mul_mat_q3_KIN3c108BFloat16ELb0EEvPKvS3_PT_iiiii,comdat
.Lfunc_end169:
	.size	_ZL12mul_mat_q3_KIN3c108BFloat16ELb0EEvPKvS3_PT_iiiii, .Lfunc_end169-_ZL12mul_mat_q3_KIN3c108BFloat16ELb0EEvPKvS3_PT_iiiii
                                        ; -- End function
	.section	.AMDGPU.csdata,"",@progbits
; Kernel info:
; codeLenInByte = 33492
; NumSgprs: 36
; NumVgprs: 216
; NumAgprs: 0
; TotalNumVgprs: 216
; ScratchSize: 0
; MemoryBound: 0
; FloatMode: 240
; IeeeMode: 1
; LDSByteSize: 39840 bytes/workgroup (compile time only)
; SGPRBlocks: 4
; VGPRBlocks: 26
; NumSGPRsForWavesPerEU: 36
; NumVGPRsForWavesPerEU: 216
; AccumOffset: 216
; Occupancy: 1
; WaveLimiterHint : 0
; COMPUTE_PGM_RSRC2:SCRATCH_EN: 0
; COMPUTE_PGM_RSRC2:USER_SGPR: 2
; COMPUTE_PGM_RSRC2:TRAP_HANDLER: 0
; COMPUTE_PGM_RSRC2:TGID_X_EN: 1
; COMPUTE_PGM_RSRC2:TGID_Y_EN: 1
; COMPUTE_PGM_RSRC2:TGID_Z_EN: 0
; COMPUTE_PGM_RSRC2:TIDIG_COMP_CNT: 1
; COMPUTE_PGM_RSRC3_GFX90A:ACCUM_OFFSET: 53
; COMPUTE_PGM_RSRC3_GFX90A:TG_SPLIT: 0
	.section	.text._ZL12mul_mat_q3_KIN3c108BFloat16ELb1EEvPKvS3_PT_iiiii,"axG",@progbits,_ZL12mul_mat_q3_KIN3c108BFloat16ELb1EEvPKvS3_PT_iiiii,comdat
	.globl	_ZL12mul_mat_q3_KIN3c108BFloat16ELb1EEvPKvS3_PT_iiiii ; -- Begin function _ZL12mul_mat_q3_KIN3c108BFloat16ELb1EEvPKvS3_PT_iiiii
	.p2align	8
	.type	_ZL12mul_mat_q3_KIN3c108BFloat16ELb1EEvPKvS3_PT_iiiii,@function
_ZL12mul_mat_q3_KIN3c108BFloat16ELb1EEvPKvS3_PT_iiiii: ; @_ZL12mul_mat_q3_KIN3c108BFloat16ELb1EEvPKvS3_PT_iiiii
; %bb.0:
	s_load_dwordx4 s[8:11], s[0:1], 0x18
	s_load_dword s14, s[0:1], 0x28
	s_lshl_b32 s15, s3, 6
	v_bfe_u32 v45, v0, 10, 10
	s_waitcnt lgkmcnt(0)
	s_cmpk_gt_i32 s8, 0xff
	s_cbranch_scc1 .LBB170_2
; %bb.1:
	v_bfe_u32 v1, v0, 10, 10
	v_and_b32_e32 v41, 0x3ff, v0
	v_add_u32_e32 v65, s15, v1
	s_mov_b64 s[4:5], 0
	s_mov_b32 s3, 0
	s_branch .LBB170_3
.LBB170_2:
	s_mov_b64 s[4:5], -1
                                        ; implicit-def: $sgpr3
                                        ; implicit-def: $vgpr1
                                        ; implicit-def: $vgpr41
                                        ; implicit-def: $vgpr65
.LBB170_3:
	s_load_dwordx2 s[12:13], s[0:1], 0x10
	s_lshl_b32 s6, s2, 7
	s_andn2_b64 vcc, exec, s[4:5]
	v_mov_b32_e32 v9, s3
	v_mov_b32_e32 v19, s3
	;; [unrolled: 1-line block ×32, first 2 shown]
	s_cbranch_vccnz .LBB170_17
; %bb.4:
	s_ashr_i32 s4, s8, 31
	s_load_dwordx4 s[0:3], s[0:1], 0x0
	s_lshr_b32 s4, s4, 24
	s_add_i32 s4, s8, s4
	s_ashr_i32 s5, s11, 31
	s_ashr_i32 s4, s4, 8
	s_lshr_b32 s5, s5, 27
	s_add_i32 s5, s11, s5
	s_mul_i32 s7, s4, s6
	s_ashr_i32 s11, s5, 5
	s_mul_hi_i32 s8, s7, 0x6e
	s_mulk_i32 s7, 0x6e
	s_waitcnt lgkmcnt(0)
	s_add_u32 s7, s0, s7
	s_addc_u32 s8, s1, s8
	s_not_b32 s16, s6
	s_add_i32 s16, s16, s9
	v_and_b32_e32 v41, 0x3ff, v0
	v_and_b32_e32 v1, 15, v41
	v_min_i32_e32 v2, s16, v45
	v_lshlrev_b32_e32 v0, 2, v41
	s_movk_i32 s0, 0x84
	v_add_u32_e32 v3, 8, v45
	v_mul_lo_u32 v12, v2, s4
	v_mad_u64_u32 v[14:15], s[18:19], v2, s0, v[0:1]
	v_min_i32_e32 v2, s16, v3
	v_add_u32_e32 v6, 16, v45
	v_mul_lo_u32 v16, v2, s4
	v_mad_u64_u32 v[18:19], s[18:19], v2, s0, v[0:1]
	v_min_i32_e32 v2, s16, v6
	;; [unrolled: 4-line block ×7, first 2 shown]
	v_mul_lo_u32 v40, v2, s4
	v_mad_u64_u32 v[42:43], s[18:19], v2, s0, v[0:1]
	v_add_u32_e32 v2, 64, v45
	v_min_i32_e32 v2, s16, v2
	v_mul_lo_u32 v44, v2, s4
	v_mad_u64_u32 v[46:47], s[18:19], v2, s0, v[0:1]
	v_add_u32_e32 v2, 0x48, v45
	v_min_i32_e32 v2, s16, v2
	;; [unrolled: 4-line block ×8, first 2 shown]
	v_lshlrev_b32_e32 v63, 4, v45
	v_lshrrev_b32_e32 v19, 1, v41
	v_mul_lo_u32 v72, v2, s4
	v_mad_u64_u32 v[74:75], s[18:19], v2, s0, v[0:1]
	v_add_u32_e32 v2, v19, v63
	v_and_b32_e32 v2, 0x7f, v2
	v_min_i32_e32 v2, s16, v2
	v_ashrrev_i32_e32 v4, 31, v2
	v_lshrrev_b32_e32 v4, 28, v4
	v_add_u32_e32 v4, v2, v4
	v_lshrrev_b32_e32 v8, 4, v41
	v_and_b32_e32 v76, 1, v41
	v_ashrrev_i32_e32 v4, 4, v4
	v_mul_lo_u32 v78, v2, s4
	v_lshlrev_b32_e32 v4, 2, v4
	v_lshlrev_b32_e32 v5, 2, v76
	s_mov_b32 s1, 0x9380
	v_lshlrev_b32_e32 v23, 3, v2
	v_lshl_add_u32 v2, v45, 1, v8
	v_add3_u32 v21, v4, v5, s1
	v_min_i32_e32 v4, s16, v2
	v_lshrrev_b32_e32 v5, 31, v4
	v_mul_lo_u32 v84, v4, s4
	v_add_lshl_u32 v5, v4, v5, 1
	v_lshlrev_b32_e32 v27, 6, v4
	v_add_u32_e32 v4, 16, v2
	v_lshlrev_b32_e32 v10, 2, v1
	v_and_b32_e32 v5, -4, v5
	s_movk_i32 s17, 0x4200
	v_min_i32_e32 v4, s16, v4
	v_add3_u32 v25, v5, v10, s17
	v_lshrrev_b32_e32 v5, 31, v4
	v_mul_lo_u32 v86, v4, s4
	v_add_lshl_u32 v5, v4, v5, 1
	v_lshlrev_b32_e32 v31, 6, v4
	v_add_u32_e32 v4, 32, v2
	v_and_b32_e32 v5, -4, v5
	v_min_i32_e32 v4, s16, v4
	v_add3_u32 v29, v5, v10, s17
	v_lshrrev_b32_e32 v5, 31, v4
	v_mul_lo_u32 v88, v4, s4
	v_add_lshl_u32 v5, v4, v5, 1
	v_lshlrev_b32_e32 v35, 6, v4
	v_add_u32_e32 v4, 48, v2
	v_and_b32_e32 v5, -4, v5
	;; [unrolled: 8-line block ×5, first 2 shown]
	v_min_i32_e32 v4, s16, v4
	v_add_u32_e32 v2, 0x70, v2
	v_add3_u32 v49, v5, v10, s17
	v_lshrrev_b32_e32 v5, 31, v4
	v_min_i32_e32 v2, s16, v2
	v_cmp_lt_u32_e32 vcc, 7, v1
	v_and_b32_e32 v1, 7, v41
	v_mul_lo_u32 v96, v4, s4
	v_add_lshl_u32 v5, v4, v5, 1
	v_lshlrev_b32_e32 v55, 6, v4
	v_lshrrev_b32_e32 v4, 31, v2
	v_cndmask_b32_e64 v80, 0, 1, vcc
	v_mul_lo_u32 v98, v2, s4
	v_add_lshl_u32 v4, v2, v4, 1
	v_lshlrev_b32_e32 v59, 6, v2
	v_cmp_lt_u32_e32 vcc, 3, v1
	v_and_b32_e32 v2, 3, v41
	v_lshlrev_b32_e32 v82, 2, v1
	v_cndmask_b32_e64 v100, 0, 1, vcc
	v_add_u16_e32 v1, -2, v2
	v_cmp_gt_u32_e32 vcc, 2, v2
	v_and_b32_e32 v5, -4, v5
	v_add3_u32 v53, v5, v10, s17
	v_cndmask_b32_e32 v1, v1, v2, vcc
	v_cmp_lt_u32_e32 vcc, 1, v2
	v_and_b32_e32 v4, -4, v4
	v_lshrrev_b32_e32 v75, 3, v41
	v_cndmask_b32_e64 v5, 0, 1, vcc
	v_add3_u32 v57, v4, v10, s17
	v_lshl_add_u32 v4, v45, 2, v75
	v_lshlrev_b32_e32 v77, 2, v5
	v_mov_b32_e32 v5, 2
	v_lshlrev_b32_sdwa v102, v5, v1 dst_sel:DWORD dst_unused:UNUSED_PAD src0_sel:DWORD src1_sel:BYTE_0
	v_min_i32_e32 v1, s16, v4
	v_ashrrev_i32_e32 v5, 31, v1
	v_lshrrev_b32_e32 v5, 30, v5
	v_mul_lo_u32 v104, v1, s4
	v_add_u32_e32 v5, v1, v5
	v_lshlrev_b32_e32 v67, 5, v1
	v_add_u32_e32 v1, 32, v4
	v_and_b32_e32 v5, -4, v5
	s_mov_b32 s17, 0x8300
	v_min_i32_e32 v1, s16, v1
	v_add3_u32 v61, v5, v82, s17
	v_ashrrev_i32_e32 v5, 31, v1
	v_lshrrev_b32_e32 v5, 30, v5
	v_mul_lo_u32 v106, v1, s4
	v_add_u32_e32 v5, v1, v5
	v_lshlrev_b32_e32 v71, 5, v1
	v_add_u32_e32 v1, 64, v4
	v_and_b32_e32 v5, -4, v5
	v_min_i32_e32 v1, s16, v1
	v_add3_u32 v69, v5, v82, s17
	v_ashrrev_i32_e32 v5, 31, v1
	v_lshrrev_b32_e32 v5, 30, v5
	v_mul_lo_u32 v108, v1, s4
	v_add_u32_e32 v5, v1, v5
	v_lshlrev_b32_e32 v81, 5, v1
	v_add_u32_e32 v1, 0x60, v4
	v_min_i32_e32 v1, s16, v1
	v_ashrrev_i32_e32 v4, 31, v1
	v_mov_b32_e32 v11, 0
	v_lshrrev_b32_e32 v4, 30, v4
	v_mul_lo_u32 v110, v1, s4
	v_add_u32_e32 v4, v1, v4
	v_lshlrev_b32_e32 v87, 5, v1
	v_and_b32_e32 v0, 28, v0
	v_mov_b32_e32 v1, v11
	v_lshl_add_u64 v[112:113], s[2:3], 0, v[0:1]
	v_lshrrev_b32_e32 v0, 2, v41
	v_lshl_add_u32 v0, v45, 3, v0
	v_and_b32_e32 v0, 63, v0
	s_add_i32 s16, s10, -1
	v_or_b32_e32 v1, s15, v0
	v_and_b32_e32 v5, -4, v5
	v_and_b32_e32 v4, -4, v4
	v_min_i32_e32 v1, s16, v1
	v_add3_u32 v73, v5, v82, s17
	v_add3_u32 v85, v4, v82, s17
	v_cvt_f64_i32_e32 v[4:5], s16
	v_mad_u64_u32 v[114:115], s[16:17], v1, s11, v[2:3]
	v_lshlrev_b32_e32 v1, 2, v2
	v_add_u32_e32 v65, s15, v45
	v_lshl_or_b32 v0, v0, 4, v1
	v_add_u32_e32 v89, 0x97a0, v0
	v_cvt_f64_u32_e32 v[0:1], v65
	v_and_b32_e32 v93, 31, v41
	v_min_f64 v[0:1], v[0:1], v[4:5]
	v_lshlrev_b32_e32 v79, 1, v2
	v_cvt_i32_f64_e32 v0, v[0:1]
	v_lshlrev_b32_e32 v2, 2, v93
	v_lshlrev_b32_e32 v93, 7, v45
	v_mul_lo_u32 v91, s11, v0
	v_or_b32_e32 v0, v93, v2
	v_add_u32_e32 v95, 0x6300, v0
	v_add_u32_e32 v0, 8, v65
	v_cvt_f64_u32_e32 v[0:1], v0
	v_min_f64 v[0:1], v[0:1], v[4:5]
	v_cvt_i32_f64_e32 v0, v[0:1]
	v_mul_lo_u32 v97, s11, v0
	v_lshl_or_b32 v0, v3, 7, v2
	v_add_u32_e32 v99, 0x6300, v0
	v_add_u32_e32 v0, 16, v65
	v_cvt_f64_u32_e32 v[0:1], v0
	v_min_f64 v[0:1], v[0:1], v[4:5]
	v_cvt_i32_f64_e32 v0, v[0:1]
	v_mul_lo_u32 v105, s11, v0
	v_lshl_or_b32 v0, v6, 7, v2
	;; [unrolled: 7-line block ×7, first 2 shown]
	v_add_u32_e32 v126, 0x6300, v0
	v_add_u32_e32 v0, 32, v41
	v_lshrrev_b32_e32 v1, 1, v0
	v_lshl_add_u32 v131, v0, 4, v1
	v_mov_b32_e32 v1, 0x1080
	v_lshlrev_b32_e32 v6, 2, v8
	v_lshlrev_b32_e32 v7, 3, v41
	v_mad_u32_u24 v132, v41, s0, v1
	v_lshrrev_b32_e32 v1, 2, v0
	v_add3_u32 v130, v6, v7, s1
	v_and_b32_e32 v1, 0x7c, v1
	v_lshlrev_b32_e32 v6, 3, v0
	v_add_u32_e32 v2, 64, v41
	v_add3_u32 v133, v6, v1, s1
	v_mov_b32_e32 v1, 0x2100
	v_lshrrev_b32_e32 v3, 1, v2
	v_mad_u32_u24 v135, v41, s0, v1
	v_lshrrev_b32_e32 v1, 2, v2
	v_lshl_add_u32 v134, v2, 4, v3
	v_and_b32_e32 v1, 0x7c, v1
	v_lshlrev_b32_e32 v3, 3, v2
	v_add_u32_e32 v4, 0x60, v41
	v_add3_u32 v136, v3, v1, s1
	v_mov_b32_e32 v1, 0x3180
	v_mad_u32_u24 v138, v41, s0, v1
	v_lshrrev_b32_e32 v1, 2, v4
	v_lshrrev_b32_e32 v5, 1, v4
	v_and_b32_e32 v1, 0x7c, v1
	v_lshlrev_b32_e32 v3, 3, v4
	v_and_b32_e32 v143, 0xfc, v41
	v_and_b32_e32 v145, 0x1fc, v0
	;; [unrolled: 1-line block ×4, first 2 shown]
	s_movk_i32 s5, 0x6e
	s_mov_b32 s9, 0
	v_mov_b32_e32 v83, v11
	v_mov_b32_e32 v103, v11
	v_lshlrev_b32_e32 v127, 5, v41
	v_lshl_add_u32 v128, v41, 4, v19
	v_mul_u32_u24_e32 v129, 0x84, v41
	v_lshl_add_u32 v137, v4, 4, v5
	v_add3_u32 v139, v3, v1, s1
	v_lshrrev_b32_e32 v140, 3, v0
	v_lshrrev_b32_e32 v141, 3, v2
	;; [unrolled: 1-line block ×3, first 2 shown]
	v_or_b32_e32 v144, 0x6300, v143
	v_add_u32_e32 v146, 0x6300, v145
	v_add_u32_e32 v148, 0x6300, v147
	;; [unrolled: 1-line block ×14, first 2 shown]
	s_mov_b64 s[0:1], 0x60
	s_mov_b32 s11, 0x30303030
	s_movk_i32 s16, 0x3f00
	s_movk_i32 s17, 0xe000
	v_add_u32_e32 v162, v61, v67
	v_add_u32_e32 v163, v69, v71
	;; [unrolled: 1-line block ×4, first 2 shown]
	v_mov_b32_e32 v166, 8
	v_mov_b32_e32 v101, v11
	;; [unrolled: 1-line block ×33, first 2 shown]
	s_branch .LBB170_6
.LBB170_5:                              ;   in Loop: Header=BB170_6 Depth=1
	s_add_i32 s9, s9, 2
	s_cmp_ge_i32 s9, s4
	s_cbranch_scc1 .LBB170_16
.LBB170_6:                              ; =>This Loop Header: Depth=1
                                        ;     Child Loop BB170_7 Depth 2
                                        ;     Child Loop BB170_9 Depth 2
	;; [unrolled: 1-line block ×4, first 2 shown]
	s_mul_i32 s18, s9, 0x6e
	s_mul_hi_u32 s19, s9, 0x6e
	s_add_u32 s18, s7, s18
	s_addc_u32 s19, s8, s19
	v_mov_b64_e32 v[0:1], s[18:19]
	v_mad_u64_u32 v[2:3], s[18:19], v8, s5, v[0:1]
	v_lshl_add_u64 v[2:3], v[2:3], 0, v[10:11]
	v_lshl_add_u64 v[2:3], v[2:3], 0, 32
	v_mad_i64_i32 v[4:5], s[18:19], v12, s5, v[2:3]
	v_mad_i64_i32 v[6:7], s[18:19], v16, s5, v[2:3]
	;; [unrolled: 1-line block ×8, first 2 shown]
	global_load_dword v167, v[4:5], off
	global_load_dword v176, v[6:7], off
	;; [unrolled: 1-line block ×7, first 2 shown]
	s_nop 0
	global_load_dword v174, v[174:175], off
	v_mad_i64_i32 v[4:5], s[18:19], v44, s5, v[2:3]
	v_mad_i64_i32 v[6:7], s[18:19], v48, s5, v[2:3]
	;; [unrolled: 1-line block ×8, first 2 shown]
	global_load_dword v175, v[4:5], off
	global_load_dword v182, v[6:7], off
	;; [unrolled: 1-line block ×4, first 2 shown]
	s_nop 0
	global_load_dword v168, v[168:169], off
	s_nop 0
	global_load_dword v169, v[170:171], off
	;; [unrolled: 2-line block ×3, first 2 shown]
	global_load_dword v171, v[2:3], off
	v_mad_i64_i32 v[2:3], s[18:19], v78, s5, v[0:1]
	v_mad_u64_u32 v[2:3], s[18:19], v76, s5, v[2:3]
	global_load_ushort v172, v[2:3], off offset:108
	v_mad_u64_u32 v[4:5], s[18:19], v80, s5, v[0:1]
	v_lshl_add_u64 v[4:5], v[4:5], 0, v[82:83]
	v_mad_i64_i32 v[6:7], s[18:19], v84, s5, v[4:5]
	v_mad_i64_i32 v[116:117], s[18:19], v86, s5, v[4:5]
	global_load_dword v173, v[6:7], off
	global_load_dword v185, v[116:117], off
	v_mad_i64_i32 v[2:3], s[18:19], v88, s5, v[4:5]
	v_mad_i64_i32 v[118:119], s[18:19], v90, s5, v[4:5]
	global_load_dword v186, v[2:3], off
	s_nop 0
	global_load_dword v118, v[118:119], off
	v_mad_i64_i32 v[6:7], s[18:19], v92, s5, v[4:5]
	v_mad_i64_i32 v[2:3], s[18:19], v94, s5, v[4:5]
	global_load_dword v119, v[6:7], off
	global_load_dword v187, v[2:3], off
	v_mad_i64_i32 v[2:3], s[18:19], v96, s5, v[4:5]
	v_mad_u64_u32 v[0:1], s[18:19], v100, s5, v[0:1]
	global_load_dword v188, v[2:3], off
	v_mad_i64_i32 v[2:3], s[18:19], v98, s5, v[4:5]
	v_lshl_add_u64 v[0:1], v[0:1], 0, s[0:1]
	global_load_dword v189, v[2:3], off
	v_mad_i64_i32 v[2:3], s[18:19], v104, s5, v[0:1]
	v_mad_i64_i32 v[6:7], s[18:19], v106, s5, v[0:1]
	;; [unrolled: 1-line block ×4, first 2 shown]
	v_lshl_add_u64 v[4:5], v[2:3], 0, v[102:103]
	global_load_dword v190, v[0:1], off offset:8
	global_load_dword v191, v[116:117], off offset:8
	;; [unrolled: 1-line block ×3, first 2 shown]
	global_load_dword v193, v[4:5], off
	global_load_dword v194, v[2:3], off offset:8
	v_lshl_add_u64 v[2:3], v[6:7], 0, v[102:103]
	global_load_dword v195, v[2:3], off
	v_lshl_add_u64 v[2:3], v[116:117], 0, v[102:103]
	global_load_dword v196, v[2:3], off
	s_waitcnt vmcnt(31)
	ds_write_b32 v14, v167
	s_waitcnt vmcnt(30)
	ds_write_b32 v18, v176
	;; [unrolled: 2-line block ×13, first 2 shown]
	v_lshl_add_u64 v[0:1], v[0:1], 0, v[102:103]
	s_lshl_b32 s18, s9, 3
	v_add_u32_e32 v167, s18, v114
	s_mov_b32 s19, 0
	s_mov_b32 s22, -2
	s_waitcnt vmcnt(15)
	v_cvt_f32_f16_e32 v2, v172
	ds_write_b32 v66, v169
	ds_write_b32 v70, v170
	ds_write_b32 v74, v171
	ds_write_b32 v153, v2
	global_load_dword v175, v[0:1], off
	v_add_u32_e32 v170, s18, v75
	v_add_u32_e32 v0, v170, v91
	;; [unrolled: 1-line block ×4, first 2 shown]
	s_waitcnt vmcnt(15)
	v_not_b32_e32 v2, v173
	ds_write_b32 v154, v2
	s_waitcnt vmcnt(14)
	v_not_b32_e32 v2, v185
	ds_write_b32 v155, v2
	v_add_u32_e32 v116, v170, v115
	s_waitcnt vmcnt(13)
	v_not_b32_e32 v2, v186
	ds_write_b32 v156, v2
	s_waitcnt vmcnt(12)
	v_not_b32_e32 v2, v118
	ds_write_b32 v157, v2
	v_mad_i64_i32 v[0:1], s[20:21], v0, 36, v[112:113]
	s_waitcnt vmcnt(11)
	v_not_b32_e32 v2, v119
	ds_write_b32 v158, v2
	s_waitcnt vmcnt(10)
	v_not_b32_e32 v2, v187
	ds_write_b32 v159, v2
	v_add_u32_e32 v2, v170, v97
	v_mad_i64_i32 v[2:3], s[20:21], v2, 36, v[112:113]
	v_mad_i64_i32 v[4:5], s[20:21], v4, 36, v[112:113]
	;; [unrolled: 1-line block ×4, first 2 shown]
	v_add_u32_e32 v118, v170, v121
	v_add_u32_e32 v168, v170, v123
	;; [unrolled: 1-line block ×3, first 2 shown]
	v_mad_i64_i32 v[118:119], s[20:21], v118, 36, v[112:113]
	v_mad_i64_i32 v[168:169], s[20:21], v168, 36, v[112:113]
	;; [unrolled: 1-line block ×3, first 2 shown]
	v_mad_u64_u32 v[172:173], s[20:21], v167, 36, s[2:3]
	global_load_dword v0, v[0:1], off offset:4
	s_nop 0
	global_load_dword v1, v[2:3], off offset:4
	s_nop 0
	global_load_dword v2, v[4:5], off offset:4
	global_load_dword v3, v[6:7], off offset:4
	s_nop 0
	global_load_dword v4, v[116:117], off offset:4
	global_load_dword v5, v[172:173], off
	global_load_dword v6, v[118:119], off offset:4
	global_load_dword v7, v[168:169], off offset:4
	s_nop 0
	global_load_dword v116, v[170:171], off offset:4
	s_waitcnt vmcnt(18)
	v_not_b32_e32 v174, v188
	s_waitcnt vmcnt(17)
	v_not_b32_e32 v117, v189
	ds_write_b32 v160, v174
	ds_write_b32 v161, v117
	s_waitcnt vmcnt(13)
	v_ashrrev_i32_e32 v117, v77, v193
	s_waitcnt vmcnt(12)
	v_ashrrev_i32_e32 v118, v79, v194
	v_and_b32_e32 v117, 0xf0f0f0f, v117
	v_lshlrev_b32_e32 v118, 4, v118
	v_and_or_b32 v117, v118, s11, v117
	v_lshlrev_b16_e32 v119, 8, v117
	v_and_b32_e32 v118, 0x3f00, v117
	v_add_u16_e32 v119, 0xe000, v119
	v_or_b32_sdwa v118, v118, v119 dst_sel:DWORD dst_unused:UNUSED_PAD src0_sel:DWORD src1_sel:BYTE_1
	v_and_b32_sdwa v119, v117, s16 dst_sel:DWORD dst_unused:UNUSED_PAD src0_sel:WORD_1 src1_sel:DWORD
	v_lshlrev_b16_sdwa v117, v166, v117 dst_sel:DWORD dst_unused:UNUSED_PAD src0_sel:DWORD src1_sel:WORD_1
	v_add_u16_e32 v117, 0xe000, v117
	v_or_b32_sdwa v117, v119, v117 dst_sel:DWORD dst_unused:UNUSED_PAD src0_sel:DWORD src1_sel:BYTE_1
	v_add_u16_e32 v118, 0xe000, v118
	v_add_u16_sdwa v117, v117, s17 dst_sel:WORD_1 dst_unused:UNUSED_PAD src0_sel:DWORD src1_sel:DWORD
	v_mov_b32_e32 v168, v93
	v_or_b32_e32 v117, v118, v117
	ds_write_b32 v162, v117
	s_waitcnt vmcnt(11)
	v_ashrrev_i32_e32 v117, v77, v195
	v_ashrrev_i32_e32 v118, v79, v192
	v_and_b32_e32 v117, 0xf0f0f0f, v117
	v_lshlrev_b32_e32 v118, 4, v118
	v_and_or_b32 v117, v118, s11, v117
	v_lshlrev_b16_e32 v119, 8, v117
	v_and_b32_e32 v118, 0x3f00, v117
	v_add_u16_e32 v119, 0xe000, v119
	v_or_b32_sdwa v118, v118, v119 dst_sel:DWORD dst_unused:UNUSED_PAD src0_sel:DWORD src1_sel:BYTE_1
	v_and_b32_sdwa v119, v117, s16 dst_sel:DWORD dst_unused:UNUSED_PAD src0_sel:WORD_1 src1_sel:DWORD
	v_lshlrev_b16_sdwa v117, v166, v117 dst_sel:DWORD dst_unused:UNUSED_PAD src0_sel:DWORD src1_sel:WORD_1
	v_add_u16_e32 v117, 0xe000, v117
	v_or_b32_sdwa v117, v119, v117 dst_sel:DWORD dst_unused:UNUSED_PAD src0_sel:DWORD src1_sel:BYTE_1
	v_add_u16_e32 v118, 0xe000, v118
	v_add_u16_sdwa v117, v117, s17 dst_sel:WORD_1 dst_unused:UNUSED_PAD src0_sel:DWORD src1_sel:DWORD
	v_mov_b32_e32 v169, v63
	v_or_b32_e32 v117, v118, v117
	ds_write_b32 v163, v117
	s_waitcnt vmcnt(10)
	v_ashrrev_i32_e32 v117, v77, v196
	v_ashrrev_i32_e32 v118, v79, v191
	v_and_b32_e32 v117, 0xf0f0f0f, v117
	v_lshlrev_b32_e32 v118, 4, v118
	v_and_or_b32 v117, v118, s11, v117
	v_lshlrev_b16_e32 v119, 8, v117
	v_and_b32_e32 v118, 0x3f00, v117
	v_add_u16_e32 v119, 0xe000, v119
	v_or_b32_sdwa v118, v118, v119 dst_sel:DWORD dst_unused:UNUSED_PAD src0_sel:DWORD src1_sel:BYTE_1
	v_and_b32_sdwa v119, v117, s16 dst_sel:DWORD dst_unused:UNUSED_PAD src0_sel:WORD_1 src1_sel:DWORD
	v_lshlrev_b16_sdwa v117, v166, v117 dst_sel:DWORD dst_unused:UNUSED_PAD src0_sel:DWORD src1_sel:WORD_1
	v_add_u16_e32 v117, 0xe000, v117
	v_or_b32_sdwa v117, v119, v117 dst_sel:DWORD dst_unused:UNUSED_PAD src0_sel:DWORD src1_sel:BYTE_1
	v_add_u16_e32 v118, 0xe000, v118
	v_add_u16_sdwa v117, v117, s17 dst_sel:WORD_1 dst_unused:UNUSED_PAD src0_sel:DWORD src1_sel:DWORD
	s_mov_b32 s20, 0
	v_or_b32_e32 v117, v118, v117
	ds_write_b32 v164, v117
	s_waitcnt vmcnt(9)
	v_ashrrev_i32_e32 v117, v77, v175
	v_ashrrev_i32_e32 v118, v79, v190
	v_and_b32_e32 v117, 0xf0f0f0f, v117
	v_lshlrev_b32_e32 v118, 4, v118
	v_and_or_b32 v117, v118, s11, v117
	v_lshlrev_b16_e32 v119, 8, v117
	v_and_b32_e32 v118, 0x3f00, v117
	v_add_u16_e32 v119, 0xe000, v119
	v_or_b32_sdwa v118, v118, v119 dst_sel:DWORD dst_unused:UNUSED_PAD src0_sel:DWORD src1_sel:BYTE_1
	v_and_b32_sdwa v119, v117, s16 dst_sel:DWORD dst_unused:UNUSED_PAD src0_sel:WORD_1 src1_sel:DWORD
	v_lshlrev_b16_sdwa v117, v166, v117 dst_sel:DWORD dst_unused:UNUSED_PAD src0_sel:DWORD src1_sel:WORD_1
	v_add_u16_e32 v117, 0xe000, v117
	v_or_b32_sdwa v117, v119, v117 dst_sel:DWORD dst_unused:UNUSED_PAD src0_sel:DWORD src1_sel:BYTE_1
	v_add_u16_e32 v118, 0xe000, v118
	v_add_u16_sdwa v117, v117, s17 dst_sel:WORD_1 dst_unused:UNUSED_PAD src0_sel:DWORD src1_sel:DWORD
	s_nop 0
	v_or_b32_e32 v117, v118, v117
	ds_write_b32 v165, v117
	s_waitcnt vmcnt(8)
	ds_write_b32 v95, v0
	s_waitcnt vmcnt(7)
	;; [unrolled: 2-line block ×6, first 2 shown]
	v_cvt_f32_f16_e32 v0, v5
	s_waitcnt vmcnt(2)
	ds_write_b32 v122, v6
	s_waitcnt vmcnt(1)
	ds_write_b32 v124, v7
	;; [unrolled: 2-line block ×3, first 2 shown]
	ds_write_b32 v89, v0
	s_waitcnt lgkmcnt(0)
	s_barrier
.LBB170_7:                              ;   Parent Loop BB170_6 Depth=1
                                        ; =>  This Inner Loop Header: Depth=2
	s_add_i32 s21, s22, 2
	s_and_b32 s23, s20, -16
	s_lshr_b32 s25, s21, 4
	v_add_u32_e32 v118, s23, v127
	s_and_b32 s24, s21, 0x3ffffff8
	s_lshl_b32 s23, s25, 3
	s_lshl_b32 s24, s24, 2
	v_add_lshl_u32 v180, v128, s23, 2
	v_add_u32_e32 v0, 0x9600, v169
	v_add_u32_e32 v119, s24, v129
	;; [unrolled: 1-line block ×3, first 2 shown]
	ds_read2_b32 v[116:117], v0 offset0:104 offset1:136
	ds_read_b128 v[4:7], v168 offset:25344
	ds_read_b128 v[0:3], v168 offset:25360
	ds_read2_b32 v[170:171], v119 offset1:1
	ds_read2_b32 v[172:173], v172 offset1:1
	s_lshl_b32 s25, s25, 2
	v_add_lshl_u32 v190, v131, s23, 2
	v_add_u32_e32 v184, 0x4200, v190
	s_waitcnt lgkmcnt(1)
	v_ashrrev_i32_e32 v170, s21, v170
	s_waitcnt lgkmcnt(0)
	v_ashrrev_i32_e32 v172, s19, v172
	v_lshlrev_b32_e32 v172, 2, v172
	v_and_b32_e32 v174, 0x3030303, v170
	v_bfe_u32 v170, v170, 24, 2
	v_and_b32_e32 v172, 0x4040404, v172
	v_ashrrev_i32_e32 v173, s19, v173
	v_sub_u16_e32 v175, v174, v172
	v_sub_u16_sdwa v176, v174, v172 dst_sel:BYTE_1 dst_unused:UNUSED_PAD src0_sel:BYTE_1 src1_sel:BYTE_1
	v_sub_u16_sdwa v170, v170, v172 dst_sel:BYTE_1 dst_unused:UNUSED_PAD src0_sel:DWORD src1_sel:BYTE_3
	v_sub_u16_sdwa v172, v174, v172 dst_sel:DWORD dst_unused:UNUSED_PAD src0_sel:WORD_1 src1_sel:WORD_1
	v_ashrrev_i32_e32 v171, s21, v171
	v_lshlrev_b32_e32 v173, 2, v173
	v_or_b32_sdwa v175, v175, v176 dst_sel:DWORD dst_unused:UNUSED_PAD src0_sel:BYTE_0 src1_sel:DWORD
	v_or_b32_sdwa v170, v172, v170 dst_sel:WORD_1 dst_unused:UNUSED_PAD src0_sel:BYTE_0 src1_sel:DWORD
	v_and_b32_e32 v172, 0x3030303, v171
	v_bfe_u32 v171, v171, 24, 2
	v_and_b32_e32 v173, 0x4040404, v173
	v_or_b32_sdwa v170, v175, v170 dst_sel:DWORD dst_unused:UNUSED_PAD src0_sel:WORD_0 src1_sel:DWORD
	v_sub_u16_e32 v174, v172, v173
	v_sub_u16_sdwa v175, v172, v173 dst_sel:BYTE_1 dst_unused:UNUSED_PAD src0_sel:BYTE_1 src1_sel:BYTE_1
	v_sub_u16_sdwa v171, v171, v173 dst_sel:BYTE_1 dst_unused:UNUSED_PAD src0_sel:DWORD src1_sel:BYTE_3
	v_sub_u16_sdwa v172, v172, v173 dst_sel:DWORD dst_unused:UNUSED_PAD src0_sel:WORD_1 src1_sel:WORD_1
	v_or_b32_sdwa v174, v174, v175 dst_sel:DWORD dst_unused:UNUSED_PAD src0_sel:BYTE_0 src1_sel:DWORD
	v_or_b32_sdwa v171, v172, v171 dst_sel:WORD_1 dst_unused:UNUSED_PAD src0_sel:BYTE_0 src1_sel:DWORD
	ds_read2_b32 v[172:173], v119 offset0:2 offset1:3
	v_or_b32_sdwa v171, v174, v171 dst_sel:DWORD dst_unused:UNUSED_PAD src0_sel:WORD_0 src1_sel:DWORD
	v_add_u32_e32 v174, 0x4208, v180
	ds_read2_b32 v[174:175], v174 offset1:1
	v_add_lshl_u32 v212, v137, s23, 2
	s_waitcnt lgkmcnt(1)
	v_ashrrev_i32_e32 v172, s21, v172
	v_and_b32_e32 v176, 0x3030303, v172
	v_bfe_u32 v172, v172, 24, 2
	s_waitcnt lgkmcnt(0)
	v_ashrrev_i32_e32 v174, s19, v174
	v_lshlrev_b32_e32 v174, 2, v174
	v_and_b32_e32 v174, 0x4040404, v174
	v_ashrrev_i32_e32 v175, s19, v175
	v_sub_u16_e32 v177, v176, v174
	v_sub_u16_sdwa v178, v176, v174 dst_sel:BYTE_1 dst_unused:UNUSED_PAD src0_sel:BYTE_1 src1_sel:BYTE_1
	v_sub_u16_sdwa v172, v172, v174 dst_sel:BYTE_1 dst_unused:UNUSED_PAD src0_sel:DWORD src1_sel:BYTE_3
	v_sub_u16_sdwa v174, v176, v174 dst_sel:DWORD dst_unused:UNUSED_PAD src0_sel:WORD_1 src1_sel:WORD_1
	v_ashrrev_i32_e32 v173, s21, v173
	v_lshlrev_b32_e32 v175, 2, v175
	v_or_b32_sdwa v177, v177, v178 dst_sel:DWORD dst_unused:UNUSED_PAD src0_sel:BYTE_0 src1_sel:DWORD
	v_or_b32_sdwa v172, v174, v172 dst_sel:WORD_1 dst_unused:UNUSED_PAD src0_sel:BYTE_0 src1_sel:DWORD
	v_and_b32_e32 v174, 0x3030303, v173
	v_bfe_u32 v173, v173, 24, 2
	v_and_b32_e32 v175, 0x4040404, v175
	v_or_b32_sdwa v172, v177, v172 dst_sel:DWORD dst_unused:UNUSED_PAD src0_sel:WORD_0 src1_sel:DWORD
	v_sub_u16_e32 v176, v174, v175
	v_sub_u16_sdwa v177, v174, v175 dst_sel:BYTE_1 dst_unused:UNUSED_PAD src0_sel:BYTE_1 src1_sel:BYTE_1
	v_sub_u16_sdwa v173, v173, v175 dst_sel:BYTE_1 dst_unused:UNUSED_PAD src0_sel:DWORD src1_sel:BYTE_3
	v_sub_u16_sdwa v174, v174, v175 dst_sel:DWORD dst_unused:UNUSED_PAD src0_sel:WORD_1 src1_sel:WORD_1
	v_or_b32_sdwa v176, v176, v177 dst_sel:DWORD dst_unused:UNUSED_PAD src0_sel:BYTE_0 src1_sel:DWORD
	v_or_b32_sdwa v173, v174, v173 dst_sel:WORD_1 dst_unused:UNUSED_PAD src0_sel:BYTE_0 src1_sel:DWORD
	v_add_lshl_u32 v202, v134, s23, 2
	v_or_b32_sdwa v173, v176, v173 dst_sel:DWORD dst_unused:UNUSED_PAD src0_sel:WORD_0 src1_sel:DWORD
	ds_read2_b32 v[176:177], v119 offset0:4 offset1:5
	v_add_u32_e32 v206, 0x4200, v212
                                        ; kill: def $vgpr215 killed $sgpr0 killed $exec
	s_add_i32 s20, s20, 2
	ds_read2_b32 v[184:185], v184 offset1:1
	ds_read2_b32 v[206:207], v206 offset1:1
	s_waitcnt lgkmcnt(2)
	v_ashrrev_i32_e32 v174, s21, v176
	v_add_u32_e32 v176, 0x4210, v180
	ds_read2_b32 v[178:179], v176 offset1:1
	v_and_b32_e32 v175, 0x3030303, v174
	v_bfe_u32 v174, v174, 24, 2
	s_waitcnt lgkmcnt(2)
	v_ashrrev_i32_e32 v184, s19, v184
	v_lshlrev_b32_e32 v184, 2, v184
	s_waitcnt lgkmcnt(0)
	v_ashrrev_i32_e32 v176, s19, v178
	v_lshlrev_b32_e32 v176, 2, v176
	v_and_b32_e32 v176, 0x4040404, v176
	v_sub_u16_e32 v178, v175, v176
	v_sub_u16_sdwa v181, v175, v176 dst_sel:BYTE_1 dst_unused:UNUSED_PAD src0_sel:BYTE_1 src1_sel:BYTE_1
	v_sub_u16_sdwa v174, v174, v176 dst_sel:BYTE_1 dst_unused:UNUSED_PAD src0_sel:DWORD src1_sel:BYTE_3
	v_sub_u16_sdwa v175, v175, v176 dst_sel:DWORD dst_unused:UNUSED_PAD src0_sel:WORD_1 src1_sel:WORD_1
	v_or_b32_sdwa v178, v178, v181 dst_sel:DWORD dst_unused:UNUSED_PAD src0_sel:BYTE_0 src1_sel:DWORD
	v_or_b32_sdwa v174, v175, v174 dst_sel:WORD_1 dst_unused:UNUSED_PAD src0_sel:BYTE_0 src1_sel:DWORD
	v_and_b32_e32 v184, 0x4040404, v184
	v_or_b32_sdwa v175, v178, v174 dst_sel:DWORD dst_unused:UNUSED_PAD src0_sel:WORD_0 src1_sel:DWORD
	v_ashrrev_i32_e32 v174, s21, v177
	v_ashrrev_i32_e32 v177, s19, v179
	v_lshlrev_b32_e32 v177, 2, v177
	v_and_b32_e32 v176, 0x3030303, v174
	v_bfe_u32 v174, v174, 24, 2
	v_and_b32_e32 v177, 0x4040404, v177
	v_sub_u16_e32 v178, v176, v177
	v_sub_u16_sdwa v179, v176, v177 dst_sel:BYTE_1 dst_unused:UNUSED_PAD src0_sel:BYTE_1 src1_sel:BYTE_1
	v_sub_u16_sdwa v174, v174, v177 dst_sel:BYTE_1 dst_unused:UNUSED_PAD src0_sel:DWORD src1_sel:BYTE_3
	v_sub_u16_sdwa v176, v176, v177 dst_sel:DWORD dst_unused:UNUSED_PAD src0_sel:WORD_1 src1_sel:WORD_1
	v_or_b32_sdwa v178, v178, v179 dst_sel:DWORD dst_unused:UNUSED_PAD src0_sel:BYTE_0 src1_sel:DWORD
	v_or_b32_sdwa v174, v176, v174 dst_sel:WORD_1 dst_unused:UNUSED_PAD src0_sel:BYTE_0 src1_sel:DWORD
	v_add_u32_e32 v177, 0x4218, v180
	v_or_b32_sdwa v176, v178, v174 dst_sel:DWORD dst_unused:UNUSED_PAD src0_sel:WORD_0 src1_sel:DWORD
	ds_read2_b32 v[178:179], v119 offset0:6 offset1:7
	ds_read2_b32 v[180:181], v177 offset1:1
	v_ashrrev_i32_e32 v206, s19, v206
	v_lshlrev_b32_e32 v206, 2, v206
	v_and_b32_e32 v206, 0x4040404, v206
	s_waitcnt lgkmcnt(1)
	v_ashrrev_i32_e32 v119, s21, v178
	s_waitcnt lgkmcnt(0)
	v_ashrrev_i32_e32 v177, s19, v180
	v_lshlrev_b32_e32 v177, 2, v177
	v_and_b32_e32 v174, 0x3030303, v119
	v_bfe_u32 v119, v119, 24, 2
	v_and_b32_e32 v177, 0x4040404, v177
	v_sub_u16_e32 v178, v174, v177
	v_sub_u16_sdwa v180, v174, v177 dst_sel:BYTE_1 dst_unused:UNUSED_PAD src0_sel:BYTE_1 src1_sel:BYTE_1
	v_sub_u16_sdwa v119, v119, v177 dst_sel:BYTE_1 dst_unused:UNUSED_PAD src0_sel:DWORD src1_sel:BYTE_3
	v_sub_u16_sdwa v174, v174, v177 dst_sel:DWORD dst_unused:UNUSED_PAD src0_sel:WORD_1 src1_sel:WORD_1
	v_or_b32_sdwa v178, v178, v180 dst_sel:DWORD dst_unused:UNUSED_PAD src0_sel:BYTE_0 src1_sel:DWORD
	v_or_b32_sdwa v119, v174, v119 dst_sel:WORD_1 dst_unused:UNUSED_PAD src0_sel:BYTE_0 src1_sel:DWORD
	s_nop 0
	v_or_b32_sdwa v177, v178, v119 dst_sel:DWORD dst_unused:UNUSED_PAD src0_sel:WORD_0 src1_sel:DWORD
	v_ashrrev_i32_e32 v178, s19, v181
	v_ashrrev_i32_e32 v119, s21, v179
	v_lshlrev_b32_e32 v178, 2, v178
	v_and_b32_e32 v174, 0x3030303, v119
	v_bfe_u32 v119, v119, 24, 2
	v_and_b32_e32 v178, 0x4040404, v178
	v_sub_u16_e32 v179, v174, v178
	v_sub_u16_sdwa v180, v174, v178 dst_sel:BYTE_1 dst_unused:UNUSED_PAD src0_sel:BYTE_1 src1_sel:BYTE_1
	v_sub_u16_sdwa v119, v119, v178 dst_sel:BYTE_1 dst_unused:UNUSED_PAD src0_sel:DWORD src1_sel:BYTE_3
	v_sub_u16_sdwa v174, v174, v178 dst_sel:DWORD dst_unused:UNUSED_PAD src0_sel:WORD_1 src1_sel:WORD_1
	v_or_b32_sdwa v179, v179, v180 dst_sel:DWORD dst_unused:UNUSED_PAD src0_sel:BYTE_0 src1_sel:DWORD
	v_or_b32_sdwa v119, v174, v119 dst_sel:WORD_1 dst_unused:UNUSED_PAD src0_sel:BYTE_0 src1_sel:DWORD
	v_add_u32_e32 v174, s25, v130
	v_or_b32_sdwa v178, v179, v119 dst_sel:DWORD dst_unused:UNUSED_PAD src0_sel:WORD_0 src1_sel:DWORD
	v_add3_u32 v119, v144, s22, v118
	ds_read_b32 v174, v174
	ds_read_u16 v119, v119 offset:8194
	v_mov_b32_e32 v180, 0
	v_dot4c_i32_i8_e32 v180, v170, v4
	v_dot4c_i32_i8_e32 v180, v171, v5
	;; [unrolled: 1-line block ×3, first 2 shown]
	s_waitcnt lgkmcnt(0)
	v_lshrrev_b16_e32 v181, 8, v119
	v_bfe_i32 v179, v119, 0, 8
	v_mov_b32_e32 v119, 0
	v_dot4c_i32_i8_e32 v119, v175, v0
	v_dot4c_i32_i8_e32 v119, v176, v1
	;; [unrolled: 1-line block ×5, first 2 shown]
	v_bfe_i32 v181, v181, 0, 8
	v_mul_lo_u32 v180, v180, v179
	s_nop 0
	v_mad_u64_u32 v[182:183], s[26:27], v119, v181, v[180:181]
	v_cvt_f32_i32_e32 v180, v182
	v_mul_f32_e32 v119, v116, v174
	v_fmac_f32_e32 v101, v119, v180
	v_add_u32_e32 v119, s24, v132
	ds_read2_b32 v[182:183], v119 offset1:1
	s_waitcnt lgkmcnt(0)
	v_ashrrev_i32_e32 v180, s21, v182
	v_and_b32_e32 v182, 0x3030303, v180
	v_bfe_u32 v180, v180, 24, 2
	v_sub_u16_e32 v186, v182, v184
	v_sub_u16_sdwa v187, v182, v184 dst_sel:BYTE_1 dst_unused:UNUSED_PAD src0_sel:BYTE_1 src1_sel:BYTE_1
	v_sub_u16_sdwa v180, v180, v184 dst_sel:BYTE_1 dst_unused:UNUSED_PAD src0_sel:DWORD src1_sel:BYTE_3
	v_sub_u16_sdwa v182, v182, v184 dst_sel:DWORD dst_unused:UNUSED_PAD src0_sel:WORD_1 src1_sel:WORD_1
	v_ashrrev_i32_e32 v184, s19, v185
	v_or_b32_sdwa v180, v182, v180 dst_sel:WORD_1 dst_unused:UNUSED_PAD src0_sel:BYTE_0 src1_sel:DWORD
	v_ashrrev_i32_e32 v182, s21, v183
	v_lshlrev_b32_e32 v184, 2, v184
	v_or_b32_sdwa v186, v186, v187 dst_sel:DWORD dst_unused:UNUSED_PAD src0_sel:BYTE_0 src1_sel:DWORD
	v_and_b32_e32 v183, 0x3030303, v182
	v_bfe_u32 v182, v182, 24, 2
	v_and_b32_e32 v184, 0x4040404, v184
	v_or_b32_sdwa v180, v186, v180 dst_sel:DWORD dst_unused:UNUSED_PAD src0_sel:WORD_0 src1_sel:DWORD
	v_sub_u16_e32 v185, v183, v184
	v_sub_u16_sdwa v186, v183, v184 dst_sel:BYTE_1 dst_unused:UNUSED_PAD src0_sel:BYTE_1 src1_sel:BYTE_1
	v_sub_u16_sdwa v182, v182, v184 dst_sel:BYTE_1 dst_unused:UNUSED_PAD src0_sel:DWORD src1_sel:BYTE_3
	v_sub_u16_sdwa v183, v183, v184 dst_sel:DWORD dst_unused:UNUSED_PAD src0_sel:WORD_1 src1_sel:WORD_1
	v_or_b32_sdwa v185, v185, v186 dst_sel:DWORD dst_unused:UNUSED_PAD src0_sel:BYTE_0 src1_sel:DWORD
	v_or_b32_sdwa v182, v183, v182 dst_sel:WORD_1 dst_unused:UNUSED_PAD src0_sel:BYTE_0 src1_sel:DWORD
	v_add_u32_e32 v186, 0x4208, v190
	v_or_b32_sdwa v182, v185, v182 dst_sel:DWORD dst_unused:UNUSED_PAD src0_sel:WORD_0 src1_sel:DWORD
	ds_read2_b32 v[184:185], v119 offset0:2 offset1:3
	ds_read2_b32 v[186:187], v186 offset1:1
	s_waitcnt lgkmcnt(1)
	v_ashrrev_i32_e32 v183, s21, v184
	s_waitcnt lgkmcnt(0)
	v_ashrrev_i32_e32 v186, s19, v186
	v_lshlrev_b32_e32 v186, 2, v186
	v_and_b32_e32 v184, 0x3030303, v183
	v_bfe_u32 v183, v183, 24, 2
	v_and_b32_e32 v186, 0x4040404, v186
	v_sub_u16_e32 v188, v184, v186
	v_sub_u16_sdwa v189, v184, v186 dst_sel:BYTE_1 dst_unused:UNUSED_PAD src0_sel:BYTE_1 src1_sel:BYTE_1
	v_sub_u16_sdwa v183, v183, v186 dst_sel:BYTE_1 dst_unused:UNUSED_PAD src0_sel:DWORD src1_sel:BYTE_3
	v_sub_u16_sdwa v184, v184, v186 dst_sel:DWORD dst_unused:UNUSED_PAD src0_sel:WORD_1 src1_sel:WORD_1
	v_ashrrev_i32_e32 v186, s19, v187
	v_or_b32_sdwa v183, v184, v183 dst_sel:WORD_1 dst_unused:UNUSED_PAD src0_sel:BYTE_0 src1_sel:DWORD
	v_ashrrev_i32_e32 v184, s21, v185
	v_lshlrev_b32_e32 v186, 2, v186
	v_or_b32_sdwa v188, v188, v189 dst_sel:DWORD dst_unused:UNUSED_PAD src0_sel:BYTE_0 src1_sel:DWORD
	v_and_b32_e32 v185, 0x3030303, v184
	v_bfe_u32 v184, v184, 24, 2
	v_and_b32_e32 v186, 0x4040404, v186
	v_or_b32_sdwa v183, v188, v183 dst_sel:DWORD dst_unused:UNUSED_PAD src0_sel:WORD_0 src1_sel:DWORD
	v_sub_u16_e32 v187, v185, v186
	v_sub_u16_sdwa v188, v185, v186 dst_sel:BYTE_1 dst_unused:UNUSED_PAD src0_sel:BYTE_1 src1_sel:BYTE_1
	v_sub_u16_sdwa v184, v184, v186 dst_sel:BYTE_1 dst_unused:UNUSED_PAD src0_sel:DWORD src1_sel:BYTE_3
	v_sub_u16_sdwa v185, v185, v186 dst_sel:DWORD dst_unused:UNUSED_PAD src0_sel:WORD_1 src1_sel:WORD_1
	v_or_b32_sdwa v187, v187, v188 dst_sel:DWORD dst_unused:UNUSED_PAD src0_sel:BYTE_0 src1_sel:DWORD
	v_or_b32_sdwa v184, v185, v184 dst_sel:WORD_1 dst_unused:UNUSED_PAD src0_sel:BYTE_0 src1_sel:DWORD
	v_add_u32_e32 v188, 0x4210, v190
	v_or_b32_sdwa v184, v187, v184 dst_sel:DWORD dst_unused:UNUSED_PAD src0_sel:WORD_0 src1_sel:DWORD
	ds_read2_b32 v[186:187], v119 offset0:4 offset1:5
	ds_read2_b32 v[188:189], v188 offset1:1
	s_waitcnt lgkmcnt(1)
	v_ashrrev_i32_e32 v185, s21, v186
	s_waitcnt lgkmcnt(0)
	v_ashrrev_i32_e32 v188, s19, v188
	v_lshlrev_b32_e32 v188, 2, v188
	v_and_b32_e32 v186, 0x3030303, v185
	v_bfe_u32 v185, v185, 24, 2
	v_and_b32_e32 v188, 0x4040404, v188
	v_sub_u16_e32 v191, v186, v188
	v_sub_u16_sdwa v192, v186, v188 dst_sel:BYTE_1 dst_unused:UNUSED_PAD src0_sel:BYTE_1 src1_sel:BYTE_1
	v_sub_u16_sdwa v185, v185, v188 dst_sel:BYTE_1 dst_unused:UNUSED_PAD src0_sel:DWORD src1_sel:BYTE_3
	v_sub_u16_sdwa v186, v186, v188 dst_sel:DWORD dst_unused:UNUSED_PAD src0_sel:WORD_1 src1_sel:WORD_1
	v_ashrrev_i32_e32 v188, s19, v189
	v_or_b32_sdwa v185, v186, v185 dst_sel:WORD_1 dst_unused:UNUSED_PAD src0_sel:BYTE_0 src1_sel:DWORD
	v_ashrrev_i32_e32 v186, s21, v187
	v_lshlrev_b32_e32 v188, 2, v188
	v_or_b32_sdwa v191, v191, v192 dst_sel:DWORD dst_unused:UNUSED_PAD src0_sel:BYTE_0 src1_sel:DWORD
	v_and_b32_e32 v187, 0x3030303, v186
	v_bfe_u32 v186, v186, 24, 2
	v_and_b32_e32 v188, 0x4040404, v188
	v_or_b32_sdwa v185, v191, v185 dst_sel:DWORD dst_unused:UNUSED_PAD src0_sel:WORD_0 src1_sel:DWORD
	v_sub_u16_e32 v189, v187, v188
	v_sub_u16_sdwa v191, v187, v188 dst_sel:BYTE_1 dst_unused:UNUSED_PAD src0_sel:BYTE_1 src1_sel:BYTE_1
	v_sub_u16_sdwa v186, v186, v188 dst_sel:BYTE_1 dst_unused:UNUSED_PAD src0_sel:DWORD src1_sel:BYTE_3
	v_sub_u16_sdwa v187, v187, v188 dst_sel:DWORD dst_unused:UNUSED_PAD src0_sel:WORD_1 src1_sel:WORD_1
	v_or_b32_sdwa v189, v189, v191 dst_sel:DWORD dst_unused:UNUSED_PAD src0_sel:BYTE_0 src1_sel:DWORD
	v_or_b32_sdwa v186, v187, v186 dst_sel:WORD_1 dst_unused:UNUSED_PAD src0_sel:BYTE_0 src1_sel:DWORD
	s_nop 0
	v_or_b32_sdwa v187, v189, v186 dst_sel:DWORD dst_unused:UNUSED_PAD src0_sel:WORD_0 src1_sel:DWORD
	ds_read2_b32 v[188:189], v119 offset0:6 offset1:7
	s_waitcnt lgkmcnt(0)
	v_ashrrev_i32_e32 v119, s21, v188
	v_add_u32_e32 v188, 0x4218, v190
	ds_read2_b32 v[190:191], v188 offset1:1
	v_and_b32_e32 v186, 0x3030303, v119
	v_bfe_u32 v119, v119, 24, 2
	s_waitcnt lgkmcnt(0)
	v_ashrrev_i32_e32 v188, s19, v190
	v_lshlrev_b32_e32 v188, 2, v188
	v_and_b32_e32 v188, 0x4040404, v188
	v_sub_u16_e32 v190, v186, v188
	v_sub_u16_sdwa v192, v186, v188 dst_sel:BYTE_1 dst_unused:UNUSED_PAD src0_sel:BYTE_1 src1_sel:BYTE_1
	v_sub_u16_sdwa v119, v119, v188 dst_sel:BYTE_1 dst_unused:UNUSED_PAD src0_sel:DWORD src1_sel:BYTE_3
	v_sub_u16_sdwa v186, v186, v188 dst_sel:DWORD dst_unused:UNUSED_PAD src0_sel:WORD_1 src1_sel:WORD_1
	v_or_b32_sdwa v190, v190, v192 dst_sel:DWORD dst_unused:UNUSED_PAD src0_sel:BYTE_0 src1_sel:DWORD
	v_or_b32_sdwa v119, v186, v119 dst_sel:WORD_1 dst_unused:UNUSED_PAD src0_sel:BYTE_0 src1_sel:DWORD
	s_nop 0
	v_or_b32_sdwa v188, v190, v119 dst_sel:DWORD dst_unused:UNUSED_PAD src0_sel:WORD_0 src1_sel:DWORD
	v_ashrrev_i32_e32 v119, s21, v189
	v_ashrrev_i32_e32 v189, s19, v191
	v_lshlrev_b32_e32 v189, 2, v189
	v_and_b32_e32 v186, 0x3030303, v119
	v_bfe_u32 v119, v119, 24, 2
	v_and_b32_e32 v189, 0x4040404, v189
	v_sub_u16_e32 v190, v186, v189
	v_sub_u16_sdwa v191, v186, v189 dst_sel:BYTE_1 dst_unused:UNUSED_PAD src0_sel:BYTE_1 src1_sel:BYTE_1
	v_sub_u16_sdwa v119, v119, v189 dst_sel:BYTE_1 dst_unused:UNUSED_PAD src0_sel:DWORD src1_sel:BYTE_3
	v_sub_u16_sdwa v186, v186, v189 dst_sel:DWORD dst_unused:UNUSED_PAD src0_sel:WORD_1 src1_sel:WORD_1
	v_or_b32_sdwa v190, v190, v191 dst_sel:DWORD dst_unused:UNUSED_PAD src0_sel:BYTE_0 src1_sel:DWORD
	v_or_b32_sdwa v119, v186, v119 dst_sel:WORD_1 dst_unused:UNUSED_PAD src0_sel:BYTE_0 src1_sel:DWORD
	v_add_u32_e32 v186, s25, v133
	v_or_b32_sdwa v189, v190, v119 dst_sel:DWORD dst_unused:UNUSED_PAD src0_sel:WORD_0 src1_sel:DWORD
	v_add3_u32 v119, v146, s22, v118
	ds_read_b32 v186, v186
	ds_read_u16 v119, v119 offset:9218
	v_mov_b32_e32 v191, 0
	v_dot4c_i32_i8_e32 v191, v180, v4
	v_dot4c_i32_i8_e32 v191, v182, v5
	;; [unrolled: 1-line block ×3, first 2 shown]
	s_waitcnt lgkmcnt(0)
	v_lshrrev_b16_e32 v192, 8, v119
	v_bfe_i32 v190, v119, 0, 8
	v_mov_b32_e32 v119, 0
	v_dot4c_i32_i8_e32 v119, v185, v0
	v_dot4c_i32_i8_e32 v119, v187, v1
	v_dot4c_i32_i8_e32 v191, v184, v7
	v_dot4c_i32_i8_e32 v119, v188, v2
	v_dot4c_i32_i8_e32 v119, v189, v3
	v_bfe_i32 v192, v192, 0, 8
	v_mul_lo_u32 v194, v191, v190
	s_nop 0
	v_mad_u64_u32 v[194:195], s[26:27], v119, v192, v[194:195]
	v_cvt_f32_i32_e32 v191, v194
	v_mul_f32_e32 v119, v116, v186
	v_fmac_f32_e32 v87, v119, v191
	v_add_u32_e32 v119, s24, v135
	ds_read2_b32 v[194:195], v119 offset1:1
	s_waitcnt lgkmcnt(0)
	v_ashrrev_i32_e32 v191, s21, v194
	v_add_u32_e32 v194, 0x4200, v202
	ds_read2_b32 v[196:197], v194 offset1:1
	v_and_b32_e32 v193, 0x3030303, v191
	v_bfe_u32 v191, v191, 24, 2
	s_waitcnt lgkmcnt(0)
	v_ashrrev_i32_e32 v194, s19, v196
	v_lshlrev_b32_e32 v194, 2, v194
	v_and_b32_e32 v194, 0x4040404, v194
	v_sub_u16_e32 v196, v193, v194
	v_sub_u16_sdwa v198, v193, v194 dst_sel:BYTE_1 dst_unused:UNUSED_PAD src0_sel:BYTE_1 src1_sel:BYTE_1
	v_sub_u16_sdwa v191, v191, v194 dst_sel:BYTE_1 dst_unused:UNUSED_PAD src0_sel:DWORD src1_sel:BYTE_3
	v_sub_u16_sdwa v193, v193, v194 dst_sel:DWORD dst_unused:UNUSED_PAD src0_sel:WORD_1 src1_sel:WORD_1
	v_or_b32_sdwa v191, v193, v191 dst_sel:WORD_1 dst_unused:UNUSED_PAD src0_sel:BYTE_0 src1_sel:DWORD
	v_ashrrev_i32_e32 v193, s21, v195
	v_ashrrev_i32_e32 v195, s19, v197
	v_lshlrev_b32_e32 v195, 2, v195
	v_or_b32_sdwa v196, v196, v198 dst_sel:DWORD dst_unused:UNUSED_PAD src0_sel:BYTE_0 src1_sel:DWORD
	v_and_b32_e32 v194, 0x3030303, v193
	v_bfe_u32 v193, v193, 24, 2
	v_and_b32_e32 v195, 0x4040404, v195
	v_or_b32_sdwa v191, v196, v191 dst_sel:DWORD dst_unused:UNUSED_PAD src0_sel:WORD_0 src1_sel:DWORD
	v_sub_u16_e32 v196, v194, v195
	v_sub_u16_sdwa v197, v194, v195 dst_sel:BYTE_1 dst_unused:UNUSED_PAD src0_sel:BYTE_1 src1_sel:BYTE_1
	v_sub_u16_sdwa v193, v193, v195 dst_sel:BYTE_1 dst_unused:UNUSED_PAD src0_sel:DWORD src1_sel:BYTE_3
	v_sub_u16_sdwa v194, v194, v195 dst_sel:DWORD dst_unused:UNUSED_PAD src0_sel:WORD_1 src1_sel:WORD_1
	v_or_b32_sdwa v196, v196, v197 dst_sel:DWORD dst_unused:UNUSED_PAD src0_sel:BYTE_0 src1_sel:DWORD
	v_or_b32_sdwa v193, v194, v193 dst_sel:WORD_1 dst_unused:UNUSED_PAD src0_sel:BYTE_0 src1_sel:DWORD
	ds_read2_b32 v[194:195], v119 offset0:2 offset1:3
	v_or_b32_sdwa v193, v196, v193 dst_sel:DWORD dst_unused:UNUSED_PAD src0_sel:WORD_0 src1_sel:DWORD
	v_add_u32_e32 v196, 0x4208, v202
	ds_read2_b32 v[196:197], v196 offset1:1
	s_waitcnt lgkmcnt(1)
	v_ashrrev_i32_e32 v194, s21, v194
	v_and_b32_e32 v198, 0x3030303, v194
	v_bfe_u32 v194, v194, 24, 2
	s_waitcnt lgkmcnt(0)
	v_ashrrev_i32_e32 v196, s19, v196
	v_lshlrev_b32_e32 v196, 2, v196
	v_and_b32_e32 v196, 0x4040404, v196
	v_ashrrev_i32_e32 v197, s19, v197
	v_sub_u16_e32 v199, v198, v196
	v_sub_u16_sdwa v200, v198, v196 dst_sel:BYTE_1 dst_unused:UNUSED_PAD src0_sel:BYTE_1 src1_sel:BYTE_1
	v_sub_u16_sdwa v194, v194, v196 dst_sel:BYTE_1 dst_unused:UNUSED_PAD src0_sel:DWORD src1_sel:BYTE_3
	v_sub_u16_sdwa v196, v198, v196 dst_sel:DWORD dst_unused:UNUSED_PAD src0_sel:WORD_1 src1_sel:WORD_1
	v_ashrrev_i32_e32 v195, s21, v195
	v_lshlrev_b32_e32 v197, 2, v197
	v_or_b32_sdwa v199, v199, v200 dst_sel:DWORD dst_unused:UNUSED_PAD src0_sel:BYTE_0 src1_sel:DWORD
	v_or_b32_sdwa v194, v196, v194 dst_sel:WORD_1 dst_unused:UNUSED_PAD src0_sel:BYTE_0 src1_sel:DWORD
	v_and_b32_e32 v196, 0x3030303, v195
	v_bfe_u32 v195, v195, 24, 2
	v_and_b32_e32 v197, 0x4040404, v197
	v_or_b32_sdwa v194, v199, v194 dst_sel:DWORD dst_unused:UNUSED_PAD src0_sel:WORD_0 src1_sel:DWORD
	v_sub_u16_e32 v198, v196, v197
	v_sub_u16_sdwa v199, v196, v197 dst_sel:BYTE_1 dst_unused:UNUSED_PAD src0_sel:BYTE_1 src1_sel:BYTE_1
	v_sub_u16_sdwa v195, v195, v197 dst_sel:BYTE_1 dst_unused:UNUSED_PAD src0_sel:DWORD src1_sel:BYTE_3
	v_sub_u16_sdwa v196, v196, v197 dst_sel:DWORD dst_unused:UNUSED_PAD src0_sel:WORD_1 src1_sel:WORD_1
	v_or_b32_sdwa v198, v198, v199 dst_sel:DWORD dst_unused:UNUSED_PAD src0_sel:BYTE_0 src1_sel:DWORD
	v_or_b32_sdwa v195, v196, v195 dst_sel:WORD_1 dst_unused:UNUSED_PAD src0_sel:BYTE_0 src1_sel:DWORD
	ds_read2_b32 v[196:197], v119 offset0:4 offset1:5
	v_or_b32_sdwa v195, v198, v195 dst_sel:DWORD dst_unused:UNUSED_PAD src0_sel:WORD_0 src1_sel:DWORD
	v_add_u32_e32 v198, 0x4210, v202
	ds_read2_b32 v[198:199], v198 offset1:1
	s_waitcnt lgkmcnt(1)
	v_ashrrev_i32_e32 v196, s21, v196
	v_and_b32_e32 v200, 0x3030303, v196
	v_bfe_u32 v196, v196, 24, 2
	s_waitcnt lgkmcnt(0)
	v_ashrrev_i32_e32 v198, s19, v198
	v_lshlrev_b32_e32 v198, 2, v198
	v_and_b32_e32 v198, 0x4040404, v198
	v_ashrrev_i32_e32 v199, s19, v199
	v_sub_u16_e32 v201, v200, v198
	v_sub_u16_sdwa v203, v200, v198 dst_sel:BYTE_1 dst_unused:UNUSED_PAD src0_sel:BYTE_1 src1_sel:BYTE_1
	v_sub_u16_sdwa v196, v196, v198 dst_sel:BYTE_1 dst_unused:UNUSED_PAD src0_sel:DWORD src1_sel:BYTE_3
	v_sub_u16_sdwa v198, v200, v198 dst_sel:DWORD dst_unused:UNUSED_PAD src0_sel:WORD_1 src1_sel:WORD_1
	v_ashrrev_i32_e32 v197, s21, v197
	v_lshlrev_b32_e32 v199, 2, v199
	v_or_b32_sdwa v201, v201, v203 dst_sel:DWORD dst_unused:UNUSED_PAD src0_sel:BYTE_0 src1_sel:DWORD
	v_or_b32_sdwa v196, v198, v196 dst_sel:WORD_1 dst_unused:UNUSED_PAD src0_sel:BYTE_0 src1_sel:DWORD
	v_and_b32_e32 v198, 0x3030303, v197
	v_bfe_u32 v197, v197, 24, 2
	v_and_b32_e32 v199, 0x4040404, v199
	v_or_b32_sdwa v196, v201, v196 dst_sel:DWORD dst_unused:UNUSED_PAD src0_sel:WORD_0 src1_sel:DWORD
	v_sub_u16_e32 v200, v198, v199
	v_sub_u16_sdwa v201, v198, v199 dst_sel:BYTE_1 dst_unused:UNUSED_PAD src0_sel:BYTE_1 src1_sel:BYTE_1
	v_sub_u16_sdwa v197, v197, v199 dst_sel:BYTE_1 dst_unused:UNUSED_PAD src0_sel:DWORD src1_sel:BYTE_3
	v_sub_u16_sdwa v198, v198, v199 dst_sel:DWORD dst_unused:UNUSED_PAD src0_sel:WORD_1 src1_sel:WORD_1
	v_or_b32_sdwa v200, v200, v201 dst_sel:DWORD dst_unused:UNUSED_PAD src0_sel:BYTE_0 src1_sel:DWORD
	v_or_b32_sdwa v197, v198, v197 dst_sel:WORD_1 dst_unused:UNUSED_PAD src0_sel:BYTE_0 src1_sel:DWORD
	v_add_u32_e32 v199, 0x4218, v202
	v_or_b32_sdwa v198, v200, v197 dst_sel:DWORD dst_unused:UNUSED_PAD src0_sel:WORD_0 src1_sel:DWORD
	ds_read2_b32 v[200:201], v119 offset0:6 offset1:7
	ds_read2_b32 v[202:203], v199 offset1:1
	s_waitcnt lgkmcnt(1)
	v_ashrrev_i32_e32 v119, s21, v200
	s_waitcnt lgkmcnt(0)
	v_ashrrev_i32_e32 v199, s19, v202
	v_lshlrev_b32_e32 v199, 2, v199
	v_and_b32_e32 v197, 0x3030303, v119
	v_bfe_u32 v119, v119, 24, 2
	v_and_b32_e32 v199, 0x4040404, v199
	v_sub_u16_e32 v200, v197, v199
	v_sub_u16_sdwa v202, v197, v199 dst_sel:BYTE_1 dst_unused:UNUSED_PAD src0_sel:BYTE_1 src1_sel:BYTE_1
	v_sub_u16_sdwa v119, v119, v199 dst_sel:BYTE_1 dst_unused:UNUSED_PAD src0_sel:DWORD src1_sel:BYTE_3
	v_sub_u16_sdwa v197, v197, v199 dst_sel:DWORD dst_unused:UNUSED_PAD src0_sel:WORD_1 src1_sel:WORD_1
	v_or_b32_sdwa v200, v200, v202 dst_sel:DWORD dst_unused:UNUSED_PAD src0_sel:BYTE_0 src1_sel:DWORD
	v_or_b32_sdwa v119, v197, v119 dst_sel:WORD_1 dst_unused:UNUSED_PAD src0_sel:BYTE_0 src1_sel:DWORD
	s_nop 0
	v_or_b32_sdwa v199, v200, v119 dst_sel:DWORD dst_unused:UNUSED_PAD src0_sel:WORD_0 src1_sel:DWORD
	v_ashrrev_i32_e32 v200, s19, v203
	v_ashrrev_i32_e32 v119, s21, v201
	v_lshlrev_b32_e32 v200, 2, v200
	v_and_b32_e32 v197, 0x3030303, v119
	v_bfe_u32 v119, v119, 24, 2
	v_and_b32_e32 v200, 0x4040404, v200
	v_sub_u16_e32 v201, v197, v200
	v_sub_u16_sdwa v202, v197, v200 dst_sel:BYTE_1 dst_unused:UNUSED_PAD src0_sel:BYTE_1 src1_sel:BYTE_1
	v_sub_u16_sdwa v119, v119, v200 dst_sel:BYTE_1 dst_unused:UNUSED_PAD src0_sel:DWORD src1_sel:BYTE_3
	v_sub_u16_sdwa v197, v197, v200 dst_sel:DWORD dst_unused:UNUSED_PAD src0_sel:WORD_1 src1_sel:WORD_1
	v_or_b32_sdwa v201, v201, v202 dst_sel:DWORD dst_unused:UNUSED_PAD src0_sel:BYTE_0 src1_sel:DWORD
	v_or_b32_sdwa v119, v197, v119 dst_sel:WORD_1 dst_unused:UNUSED_PAD src0_sel:BYTE_0 src1_sel:DWORD
	v_add_u32_e32 v197, s25, v136
	v_or_b32_sdwa v200, v201, v119 dst_sel:DWORD dst_unused:UNUSED_PAD src0_sel:WORD_0 src1_sel:DWORD
	v_add3_u32 v119, v148, s22, v118
	ds_read_b32 v197, v197
	ds_read_u16 v119, v119 offset:10242
	v_mov_b32_e32 v202, 0
	v_dot4c_i32_i8_e32 v202, v191, v4
	v_dot4c_i32_i8_e32 v202, v193, v5
	;; [unrolled: 1-line block ×3, first 2 shown]
	s_waitcnt lgkmcnt(0)
	v_lshrrev_b16_e32 v203, 8, v119
	v_bfe_i32 v201, v119, 0, 8
	v_mov_b32_e32 v119, 0
	v_dot4c_i32_i8_e32 v119, v196, v0
	v_dot4c_i32_i8_e32 v119, v198, v1
	;; [unrolled: 1-line block ×5, first 2 shown]
	v_bfe_i32 v203, v203, 0, 8
	v_mul_lo_u32 v202, v202, v201
	v_add3_u32 v118, v150, s22, v118
	v_mad_u64_u32 v[204:205], s[26:27], v119, v203, v[202:203]
	v_cvt_f32_i32_e32 v202, v204
	v_mul_f32_e32 v119, v116, v197
	v_fmac_f32_e32 v85, v119, v202
	v_add_u32_e32 v119, s24, v138
	ds_read2_b32 v[204:205], v119 offset1:1
	s_waitcnt lgkmcnt(0)
	v_ashrrev_i32_e32 v202, s21, v204
	v_and_b32_e32 v204, 0x3030303, v202
	v_bfe_u32 v202, v202, 24, 2
	v_sub_u16_e32 v208, v204, v206
	v_sub_u16_sdwa v209, v204, v206 dst_sel:BYTE_1 dst_unused:UNUSED_PAD src0_sel:BYTE_1 src1_sel:BYTE_1
	v_sub_u16_sdwa v202, v202, v206 dst_sel:BYTE_1 dst_unused:UNUSED_PAD src0_sel:DWORD src1_sel:BYTE_3
	v_sub_u16_sdwa v204, v204, v206 dst_sel:DWORD dst_unused:UNUSED_PAD src0_sel:WORD_1 src1_sel:WORD_1
	v_ashrrev_i32_e32 v206, s19, v207
	v_or_b32_sdwa v202, v204, v202 dst_sel:WORD_1 dst_unused:UNUSED_PAD src0_sel:BYTE_0 src1_sel:DWORD
	v_ashrrev_i32_e32 v204, s21, v205
	v_lshlrev_b32_e32 v206, 2, v206
	v_or_b32_sdwa v208, v208, v209 dst_sel:DWORD dst_unused:UNUSED_PAD src0_sel:BYTE_0 src1_sel:DWORD
	v_and_b32_e32 v205, 0x3030303, v204
	v_bfe_u32 v204, v204, 24, 2
	v_and_b32_e32 v206, 0x4040404, v206
	v_or_b32_sdwa v202, v208, v202 dst_sel:DWORD dst_unused:UNUSED_PAD src0_sel:WORD_0 src1_sel:DWORD
	v_sub_u16_e32 v207, v205, v206
	v_sub_u16_sdwa v208, v205, v206 dst_sel:BYTE_1 dst_unused:UNUSED_PAD src0_sel:BYTE_1 src1_sel:BYTE_1
	v_sub_u16_sdwa v204, v204, v206 dst_sel:BYTE_1 dst_unused:UNUSED_PAD src0_sel:DWORD src1_sel:BYTE_3
	v_sub_u16_sdwa v205, v205, v206 dst_sel:DWORD dst_unused:UNUSED_PAD src0_sel:WORD_1 src1_sel:WORD_1
	v_or_b32_sdwa v207, v207, v208 dst_sel:DWORD dst_unused:UNUSED_PAD src0_sel:BYTE_0 src1_sel:DWORD
	v_or_b32_sdwa v204, v205, v204 dst_sel:WORD_1 dst_unused:UNUSED_PAD src0_sel:BYTE_0 src1_sel:DWORD
	v_add_u32_e32 v208, 0x4208, v212
	v_or_b32_sdwa v204, v207, v204 dst_sel:DWORD dst_unused:UNUSED_PAD src0_sel:WORD_0 src1_sel:DWORD
	ds_read2_b32 v[206:207], v119 offset0:2 offset1:3
	ds_read2_b32 v[208:209], v208 offset1:1
	s_waitcnt lgkmcnt(1)
	v_ashrrev_i32_e32 v205, s21, v206
	s_waitcnt lgkmcnt(0)
	v_ashrrev_i32_e32 v208, s19, v208
	v_lshlrev_b32_e32 v208, 2, v208
	v_and_b32_e32 v206, 0x3030303, v205
	v_bfe_u32 v205, v205, 24, 2
	v_and_b32_e32 v208, 0x4040404, v208
	v_sub_u16_e32 v210, v206, v208
	v_sub_u16_sdwa v211, v206, v208 dst_sel:BYTE_1 dst_unused:UNUSED_PAD src0_sel:BYTE_1 src1_sel:BYTE_1
	v_sub_u16_sdwa v205, v205, v208 dst_sel:BYTE_1 dst_unused:UNUSED_PAD src0_sel:DWORD src1_sel:BYTE_3
	v_sub_u16_sdwa v206, v206, v208 dst_sel:DWORD dst_unused:UNUSED_PAD src0_sel:WORD_1 src1_sel:WORD_1
	v_ashrrev_i32_e32 v208, s19, v209
	v_or_b32_sdwa v205, v206, v205 dst_sel:WORD_1 dst_unused:UNUSED_PAD src0_sel:BYTE_0 src1_sel:DWORD
	v_ashrrev_i32_e32 v206, s21, v207
	v_lshlrev_b32_e32 v208, 2, v208
	v_or_b32_sdwa v210, v210, v211 dst_sel:DWORD dst_unused:UNUSED_PAD src0_sel:BYTE_0 src1_sel:DWORD
	v_and_b32_e32 v207, 0x3030303, v206
	v_bfe_u32 v206, v206, 24, 2
	v_and_b32_e32 v208, 0x4040404, v208
	v_or_b32_sdwa v205, v210, v205 dst_sel:DWORD dst_unused:UNUSED_PAD src0_sel:WORD_0 src1_sel:DWORD
	v_sub_u16_e32 v209, v207, v208
	v_sub_u16_sdwa v210, v207, v208 dst_sel:BYTE_1 dst_unused:UNUSED_PAD src0_sel:BYTE_1 src1_sel:BYTE_1
	v_sub_u16_sdwa v206, v206, v208 dst_sel:BYTE_1 dst_unused:UNUSED_PAD src0_sel:DWORD src1_sel:BYTE_3
	v_sub_u16_sdwa v207, v207, v208 dst_sel:DWORD dst_unused:UNUSED_PAD src0_sel:WORD_1 src1_sel:WORD_1
	v_or_b32_sdwa v209, v209, v210 dst_sel:DWORD dst_unused:UNUSED_PAD src0_sel:BYTE_0 src1_sel:DWORD
	v_or_b32_sdwa v206, v207, v206 dst_sel:WORD_1 dst_unused:UNUSED_PAD src0_sel:BYTE_0 src1_sel:DWORD
	v_add_u32_e32 v210, 0x4210, v212
	v_or_b32_sdwa v206, v209, v206 dst_sel:DWORD dst_unused:UNUSED_PAD src0_sel:WORD_0 src1_sel:DWORD
	ds_read2_b32 v[208:209], v119 offset0:4 offset1:5
	ds_read2_b32 v[210:211], v210 offset1:1
	s_waitcnt lgkmcnt(1)
	v_ashrrev_i32_e32 v207, s21, v208
	s_waitcnt lgkmcnt(0)
	v_ashrrev_i32_e32 v210, s19, v210
	v_lshlrev_b32_e32 v210, 2, v210
	v_and_b32_e32 v208, 0x3030303, v207
	v_bfe_u32 v207, v207, 24, 2
	v_and_b32_e32 v210, 0x4040404, v210
	v_sub_u16_e32 v213, v208, v210
	v_sub_u16_sdwa v214, v208, v210 dst_sel:BYTE_1 dst_unused:UNUSED_PAD src0_sel:BYTE_1 src1_sel:BYTE_1
	v_sub_u16_sdwa v207, v207, v210 dst_sel:BYTE_1 dst_unused:UNUSED_PAD src0_sel:DWORD src1_sel:BYTE_3
	v_sub_u16_sdwa v208, v208, v210 dst_sel:DWORD dst_unused:UNUSED_PAD src0_sel:WORD_1 src1_sel:WORD_1
	v_ashrrev_i32_e32 v210, s19, v211
	v_or_b32_sdwa v207, v208, v207 dst_sel:WORD_1 dst_unused:UNUSED_PAD src0_sel:BYTE_0 src1_sel:DWORD
	v_ashrrev_i32_e32 v208, s21, v209
	v_lshlrev_b32_e32 v210, 2, v210
	v_or_b32_sdwa v213, v213, v214 dst_sel:DWORD dst_unused:UNUSED_PAD src0_sel:BYTE_0 src1_sel:DWORD
	v_and_b32_e32 v209, 0x3030303, v208
	v_bfe_u32 v208, v208, 24, 2
	v_and_b32_e32 v210, 0x4040404, v210
	v_or_b32_sdwa v207, v213, v207 dst_sel:DWORD dst_unused:UNUSED_PAD src0_sel:WORD_0 src1_sel:DWORD
	v_sub_u16_e32 v211, v209, v210
	v_sub_u16_sdwa v213, v209, v210 dst_sel:BYTE_1 dst_unused:UNUSED_PAD src0_sel:BYTE_1 src1_sel:BYTE_1
	v_sub_u16_sdwa v208, v208, v210 dst_sel:BYTE_1 dst_unused:UNUSED_PAD src0_sel:DWORD src1_sel:BYTE_3
	v_sub_u16_sdwa v209, v209, v210 dst_sel:DWORD dst_unused:UNUSED_PAD src0_sel:WORD_1 src1_sel:WORD_1
	v_or_b32_sdwa v211, v211, v213 dst_sel:DWORD dst_unused:UNUSED_PAD src0_sel:BYTE_0 src1_sel:DWORD
	v_or_b32_sdwa v208, v209, v208 dst_sel:WORD_1 dst_unused:UNUSED_PAD src0_sel:BYTE_0 src1_sel:DWORD
	s_nop 0
	v_or_b32_sdwa v209, v211, v208 dst_sel:DWORD dst_unused:UNUSED_PAD src0_sel:WORD_0 src1_sel:DWORD
	ds_read2_b32 v[210:211], v119 offset0:6 offset1:7
	s_waitcnt lgkmcnt(0)
	v_ashrrev_i32_e32 v119, s21, v210
	v_add_u32_e32 v210, 0x4218, v212
	ds_read2_b32 v[212:213], v210 offset1:1
	v_and_b32_e32 v208, 0x3030303, v119
	v_bfe_u32 v119, v119, 24, 2
	s_waitcnt lgkmcnt(0)
	v_ashrrev_i32_e32 v210, s19, v212
	v_lshlrev_b32_e32 v210, 2, v210
	v_and_b32_e32 v210, 0x4040404, v210
	v_sub_u16_e32 v212, v208, v210
	v_sub_u16_sdwa v214, v208, v210 dst_sel:BYTE_1 dst_unused:UNUSED_PAD src0_sel:BYTE_1 src1_sel:BYTE_1
	v_sub_u16_sdwa v119, v119, v210 dst_sel:BYTE_1 dst_unused:UNUSED_PAD src0_sel:DWORD src1_sel:BYTE_3
	v_sub_u16_sdwa v208, v208, v210 dst_sel:DWORD dst_unused:UNUSED_PAD src0_sel:WORD_1 src1_sel:WORD_1
	v_or_b32_sdwa v212, v212, v214 dst_sel:DWORD dst_unused:UNUSED_PAD src0_sel:BYTE_0 src1_sel:DWORD
	v_or_b32_sdwa v119, v208, v119 dst_sel:WORD_1 dst_unused:UNUSED_PAD src0_sel:BYTE_0 src1_sel:DWORD
	s_nop 0
	v_or_b32_sdwa v210, v212, v119 dst_sel:DWORD dst_unused:UNUSED_PAD src0_sel:WORD_0 src1_sel:DWORD
	v_ashrrev_i32_e32 v119, s21, v211
	v_ashrrev_i32_e32 v211, s19, v213
	v_lshlrev_b32_e32 v211, 2, v211
	v_and_b32_e32 v208, 0x3030303, v119
	v_bfe_u32 v119, v119, 24, 2
	v_and_b32_e32 v211, 0x4040404, v211
	v_sub_u16_e32 v212, v208, v211
	v_sub_u16_sdwa v213, v208, v211 dst_sel:BYTE_1 dst_unused:UNUSED_PAD src0_sel:BYTE_1 src1_sel:BYTE_1
	v_sub_u16_sdwa v119, v119, v211 dst_sel:BYTE_1 dst_unused:UNUSED_PAD src0_sel:DWORD src1_sel:BYTE_3
	v_sub_u16_sdwa v208, v208, v211 dst_sel:DWORD dst_unused:UNUSED_PAD src0_sel:WORD_1 src1_sel:WORD_1
	v_or_b32_sdwa v212, v212, v213 dst_sel:DWORD dst_unused:UNUSED_PAD src0_sel:BYTE_0 src1_sel:DWORD
	v_or_b32_sdwa v119, v208, v119 dst_sel:WORD_1 dst_unused:UNUSED_PAD src0_sel:BYTE_0 src1_sel:DWORD
	s_add_i32 s19, s19, 1
	v_or_b32_sdwa v211, v212, v119 dst_sel:DWORD dst_unused:UNUSED_PAD src0_sel:WORD_0 src1_sel:DWORD
	v_add_u32_e32 v119, s25, v139
	ds_read_b32 v208, v119
	v_mov_b32_e32 v119, 0
	v_dot4c_i32_i8_e32 v119, v202, v4
	ds_read_u16 v4, v118 offset:11266
	v_dot4c_i32_i8_e32 v119, v204, v5
	v_dot4c_i32_i8_e32 v119, v205, v6
	v_mov_b32_e32 v6, 0
	v_dot4c_i32_i8_e32 v6, v207, v0
	v_dot4c_i32_i8_e32 v6, v209, v1
	v_dot4c_i32_i8_e32 v119, v206, v7
	s_waitcnt lgkmcnt(0)
	v_lshrrev_b16_e32 v5, 8, v4
	v_bfe_i32 v212, v4, 0, 8
	v_dot4c_i32_i8_e32 v6, v210, v2
	v_mul_lo_u32 v4, v119, v212
	v_dot4c_i32_i8_e32 v6, v211, v3
	v_bfe_i32 v213, v5, 0, 8
	v_mov_b32_e32 v118, 0
	s_cmp_lt_u32 s21, 6
	v_mad_u64_u32 v[0:1], s[22:23], v6, v213, v[4:5]
	v_cvt_f32_i32_e32 v0, v0
	v_mul_f32_e32 v1, v116, v208
	v_mov_b32_e32 v116, 0
	v_fmac_f32_e32 v81, v1, v0
	ds_read_b128 v[0:3], v168 offset:26368
	ds_read_b128 v[4:7], v168 offset:26384
	s_waitcnt lgkmcnt(1)
	v_dot4c_i32_i8_e32 v116, v170, v0
	v_dot4c_i32_i8_e32 v116, v171, v1
	s_waitcnt lgkmcnt(0)
	v_dot4c_i32_i8_e32 v118, v175, v4
	v_dot4c_i32_i8_e32 v116, v172, v2
	;; [unrolled: 1-line block ×6, first 2 shown]
	s_nop 0
	v_mul_lo_u32 v116, v116, v179
	s_nop 0
	v_mad_u64_u32 v[118:119], s[22:23], v118, v181, v[116:117]
	v_cvt_f32_i32_e32 v118, v118
	v_mul_f32_e32 v116, v174, v117
	v_fmac_f32_e32 v73, v116, v118
	v_mov_b32_e32 v116, 0
	v_dot4c_i32_i8_e32 v116, v180, v0
	v_mov_b32_e32 v118, 0
	v_dot4c_i32_i8_e32 v116, v182, v1
	v_dot4c_i32_i8_e32 v118, v185, v4
	;; [unrolled: 1-line block ×7, first 2 shown]
	s_nop 0
	v_mul_lo_u32 v116, v116, v190
	s_nop 0
	v_mad_u64_u32 v[118:119], s[22:23], v118, v192, v[116:117]
	v_cvt_f32_i32_e32 v118, v118
	v_mul_f32_e32 v116, v186, v117
	v_fmac_f32_e32 v71, v116, v118
	v_mov_b32_e32 v116, 0
	v_dot4c_i32_i8_e32 v116, v191, v0
	v_mov_b32_e32 v118, 0
	v_dot4c_i32_i8_e32 v116, v193, v1
	v_dot4c_i32_i8_e32 v118, v196, v4
	;; [unrolled: 1-line block ×7, first 2 shown]
	s_nop 0
	v_mul_lo_u32 v116, v116, v201
	s_nop 0
	v_mad_u64_u32 v[118:119], s[22:23], v118, v203, v[116:117]
	v_cvt_f32_i32_e32 v118, v118
	v_mul_f32_e32 v116, v197, v117
	v_fmac_f32_e32 v69, v116, v118
	v_mov_b32_e32 v116, 0
	v_dot4c_i32_i8_e32 v116, v202, v0
	v_dot4c_i32_i8_e32 v116, v204, v1
	v_mov_b32_e32 v1, 0
	v_dot4c_i32_i8_e32 v1, v207, v4
	v_dot4c_i32_i8_e32 v116, v205, v2
	;; [unrolled: 1-line block ×6, first 2 shown]
	s_nop 0
	v_mul_lo_u32 v0, v116, v212
	s_nop 0
	v_mad_u64_u32 v[0:1], s[22:23], v1, v213, v[0:1]
	v_cvt_f32_i32_e32 v0, v0
	v_mul_f32_e32 v1, v208, v117
	v_fmac_f32_e32 v67, v1, v0
	v_add_u32_e32 v0, 0x9800, v169
	ds_read2_b32 v[6:7], v0 offset0:40 offset1:72
	ds_read_b128 v[2:5], v168 offset:27392
	ds_read_b128 v[116:119], v168 offset:27408
	v_mov_b32_e32 v1, 0
	v_add_u32_e32 v169, 4, v169
	s_waitcnt lgkmcnt(1)
	v_dot4c_i32_i8_e32 v1, v170, v2
	v_dot4c_i32_i8_e32 v1, v171, v3
	;; [unrolled: 1-line block ×4, first 2 shown]
	s_nop 2
	v_mul_lo_u32 v214, v1, v179
	v_mov_b32_e32 v1, 0
	s_waitcnt lgkmcnt(0)
	v_dot4c_i32_i8_e32 v1, v175, v116
	v_dot4c_i32_i8_e32 v1, v176, v117
	v_dot4c_i32_i8_e32 v1, v177, v118
	v_dot4c_i32_i8_e32 v1, v178, v119
	s_nop 2
	v_mad_u64_u32 v[214:215], s[22:23], v1, v181, v[214:215]
	v_cvt_f32_i32_e32 v214, v214
	v_mul_f32_e32 v1, v174, v6
                                        ; kill: def $vgpr215 killed $sgpr0 killed $exec
	v_fmac_f32_e32 v61, v1, v214
	v_mov_b32_e32 v1, 0
	v_dot4c_i32_i8_e32 v1, v180, v2
	v_dot4c_i32_i8_e32 v1, v182, v3
	v_dot4c_i32_i8_e32 v1, v183, v4
	v_dot4c_i32_i8_e32 v1, v184, v5
	s_nop 2
	v_mul_lo_u32 v214, v1, v190
	v_mov_b32_e32 v1, 0
	v_dot4c_i32_i8_e32 v1, v185, v116
	v_dot4c_i32_i8_e32 v1, v187, v117
	;; [unrolled: 1-line block ×4, first 2 shown]
	s_nop 2
	v_mad_u64_u32 v[214:215], s[22:23], v1, v192, v[214:215]
	v_cvt_f32_i32_e32 v214, v214
	v_mul_f32_e32 v1, v186, v6
                                        ; kill: def $vgpr215 killed $sgpr0 killed $exec
	v_fmac_f32_e32 v59, v1, v214
	v_mov_b32_e32 v1, 0
	v_dot4c_i32_i8_e32 v1, v191, v2
	v_dot4c_i32_i8_e32 v1, v193, v3
	;; [unrolled: 1-line block ×4, first 2 shown]
	s_nop 2
	v_mul_lo_u32 v214, v1, v201
	v_mov_b32_e32 v1, 0
	v_dot4c_i32_i8_e32 v1, v196, v116
	v_dot4c_i32_i8_e32 v1, v198, v117
	;; [unrolled: 1-line block ×4, first 2 shown]
	s_nop 2
	v_mad_u64_u32 v[214:215], s[22:23], v1, v203, v[214:215]
	v_cvt_f32_i32_e32 v214, v214
	v_mul_f32_e32 v1, v197, v6
	v_fmac_f32_e32 v57, v1, v214
	v_mov_b32_e32 v1, 0
	v_dot4c_i32_i8_e32 v1, v202, v2
	v_dot4c_i32_i8_e32 v1, v204, v3
	;; [unrolled: 1-line block ×4, first 2 shown]
                                        ; kill: def $vgpr3 killed $sgpr0 killed $exec
	s_nop 2
	v_mul_lo_u32 v2, v1, v212
	v_mov_b32_e32 v1, 0
	v_dot4c_i32_i8_e32 v1, v207, v116
	v_dot4c_i32_i8_e32 v1, v209, v117
	;; [unrolled: 1-line block ×4, first 2 shown]
	s_nop 2
	v_mad_u64_u32 v[2:3], s[22:23], v1, v213, v[2:3]
	v_cvt_f32_i32_e32 v2, v2
	v_mul_f32_e32 v1, v208, v6
	v_fmac_f32_e32 v55, v1, v2
	ds_read_b128 v[2:5], v168 offset:28416
	ds_read_b128 v[116:119], v168 offset:28432
	v_mov_b32_e32 v1, 0
	s_waitcnt lgkmcnt(1)
	v_dot4c_i32_i8_e32 v1, v170, v2
	v_dot4c_i32_i8_e32 v1, v171, v3
	;; [unrolled: 1-line block ×4, first 2 shown]
	s_nop 2
	v_mul_lo_u32 v6, v1, v179
	v_mov_b32_e32 v1, 0
	s_waitcnt lgkmcnt(0)
	v_dot4c_i32_i8_e32 v1, v175, v116
	v_dot4c_i32_i8_e32 v1, v176, v117
	;; [unrolled: 1-line block ×4, first 2 shown]
	s_nop 2
	v_mad_u64_u32 v[214:215], s[22:23], v1, v181, v[6:7]
	v_cvt_f32_i32_e32 v6, v214
	v_mul_f32_e32 v1, v174, v7
	v_fmac_f32_e32 v53, v1, v6
	v_mov_b32_e32 v1, 0
	v_dot4c_i32_i8_e32 v1, v180, v2
	v_dot4c_i32_i8_e32 v1, v182, v3
	;; [unrolled: 1-line block ×4, first 2 shown]
	s_nop 2
	v_mul_lo_u32 v6, v1, v190
	v_mov_b32_e32 v1, 0
	v_dot4c_i32_i8_e32 v1, v185, v116
	v_dot4c_i32_i8_e32 v1, v187, v117
	;; [unrolled: 1-line block ×4, first 2 shown]
	s_nop 2
	v_mad_u64_u32 v[214:215], s[22:23], v1, v192, v[6:7]
	v_cvt_f32_i32_e32 v6, v214
	v_mul_f32_e32 v1, v186, v7
	v_fmac_f32_e32 v51, v1, v6
	v_mov_b32_e32 v1, 0
	v_dot4c_i32_i8_e32 v1, v191, v2
	v_dot4c_i32_i8_e32 v1, v193, v3
	;; [unrolled: 1-line block ×4, first 2 shown]
	s_nop 2
	v_mul_lo_u32 v6, v1, v201
	v_mov_b32_e32 v1, 0
	v_dot4c_i32_i8_e32 v1, v196, v116
	v_dot4c_i32_i8_e32 v1, v198, v117
	;; [unrolled: 1-line block ×4, first 2 shown]
	s_nop 2
	v_mad_u64_u32 v[214:215], s[22:23], v1, v203, v[6:7]
	v_cvt_f32_i32_e32 v6, v214
	v_mul_f32_e32 v1, v197, v7
                                        ; kill: def $vgpr215 killed $sgpr0 killed $exec
	v_fmac_f32_e32 v49, v1, v6
	v_mov_b32_e32 v1, 0
	v_dot4c_i32_i8_e32 v1, v202, v2
	v_dot4c_i32_i8_e32 v1, v204, v3
	v_dot4c_i32_i8_e32 v1, v205, v4
	v_dot4c_i32_i8_e32 v1, v206, v5
                                        ; kill: def $vgpr3 killed $sgpr0 killed $exec
	s_nop 2
	v_mul_lo_u32 v2, v1, v212
	v_mov_b32_e32 v1, 0
	v_dot4c_i32_i8_e32 v1, v207, v116
	v_dot4c_i32_i8_e32 v1, v209, v117
	;; [unrolled: 1-line block ×4, first 2 shown]
	s_nop 2
	v_mad_u64_u32 v[2:3], s[22:23], v1, v213, v[2:3]
	v_cvt_f32_i32_e32 v2, v2
	v_mul_f32_e32 v1, v208, v7
	v_fmac_f32_e32 v47, v1, v2
	ds_read2_b32 v[6:7], v0 offset0:104 offset1:136
	ds_read_b128 v[2:5], v168 offset:29440
	ds_read_b128 v[116:119], v168 offset:29456
	v_mov_b32_e32 v1, 0
	s_waitcnt lgkmcnt(1)
	v_dot4c_i32_i8_e32 v1, v170, v2
	v_dot4c_i32_i8_e32 v1, v171, v3
	v_dot4c_i32_i8_e32 v1, v172, v4
	v_dot4c_i32_i8_e32 v1, v173, v5
	s_nop 2
	v_mul_lo_u32 v214, v1, v179
	v_mov_b32_e32 v1, 0
	s_waitcnt lgkmcnt(0)
	v_dot4c_i32_i8_e32 v1, v175, v116
	v_dot4c_i32_i8_e32 v1, v176, v117
	;; [unrolled: 1-line block ×4, first 2 shown]
	s_nop 2
	v_mad_u64_u32 v[214:215], s[22:23], v1, v181, v[214:215]
	v_cvt_f32_i32_e32 v214, v214
	v_mul_f32_e32 v1, v174, v6
                                        ; kill: def $vgpr215 killed $sgpr0 killed $exec
	v_fmac_f32_e32 v43, v1, v214
	v_mov_b32_e32 v1, 0
	v_dot4c_i32_i8_e32 v1, v180, v2
	v_dot4c_i32_i8_e32 v1, v182, v3
	;; [unrolled: 1-line block ×4, first 2 shown]
	s_nop 2
	v_mul_lo_u32 v214, v1, v190
	v_mov_b32_e32 v1, 0
	v_dot4c_i32_i8_e32 v1, v185, v116
	v_dot4c_i32_i8_e32 v1, v187, v117
	;; [unrolled: 1-line block ×4, first 2 shown]
	s_nop 2
	v_mad_u64_u32 v[214:215], s[22:23], v1, v192, v[214:215]
	v_cvt_f32_i32_e32 v214, v214
	v_mul_f32_e32 v1, v186, v6
                                        ; kill: def $vgpr215 killed $sgpr0 killed $exec
	v_fmac_f32_e32 v39, v1, v214
	v_mov_b32_e32 v1, 0
	v_dot4c_i32_i8_e32 v1, v191, v2
	v_dot4c_i32_i8_e32 v1, v193, v3
	;; [unrolled: 1-line block ×4, first 2 shown]
	s_nop 2
	v_mul_lo_u32 v214, v1, v201
	v_mov_b32_e32 v1, 0
	v_dot4c_i32_i8_e32 v1, v196, v116
	v_dot4c_i32_i8_e32 v1, v198, v117
	;; [unrolled: 1-line block ×4, first 2 shown]
	s_nop 2
	v_mad_u64_u32 v[214:215], s[22:23], v1, v203, v[214:215]
	v_cvt_f32_i32_e32 v214, v214
	v_mul_f32_e32 v1, v197, v6
	v_fmac_f32_e32 v37, v1, v214
	v_mov_b32_e32 v1, 0
	v_dot4c_i32_i8_e32 v1, v202, v2
	v_dot4c_i32_i8_e32 v1, v204, v3
	;; [unrolled: 1-line block ×4, first 2 shown]
                                        ; kill: def $vgpr3 killed $sgpr0 killed $exec
	s_nop 2
	v_mul_lo_u32 v2, v1, v212
	v_mov_b32_e32 v1, 0
	v_dot4c_i32_i8_e32 v1, v207, v116
	v_dot4c_i32_i8_e32 v1, v209, v117
	;; [unrolled: 1-line block ×4, first 2 shown]
	s_nop 2
	v_mad_u64_u32 v[2:3], s[22:23], v1, v213, v[2:3]
	v_cvt_f32_i32_e32 v2, v2
	v_mul_f32_e32 v1, v208, v6
	v_fmac_f32_e32 v35, v1, v2
	ds_read_b128 v[2:5], v168 offset:30464
	ds_read_b128 v[116:119], v168 offset:30480
	v_mov_b32_e32 v1, 0
	s_waitcnt lgkmcnt(1)
	v_dot4c_i32_i8_e32 v1, v170, v2
	v_dot4c_i32_i8_e32 v1, v171, v3
	;; [unrolled: 1-line block ×4, first 2 shown]
	s_nop 2
	v_mul_lo_u32 v6, v1, v179
	v_mov_b32_e32 v1, 0
	s_waitcnt lgkmcnt(0)
	v_dot4c_i32_i8_e32 v1, v175, v116
	v_dot4c_i32_i8_e32 v1, v176, v117
	;; [unrolled: 1-line block ×4, first 2 shown]
	s_nop 2
	v_mad_u64_u32 v[214:215], s[22:23], v1, v181, v[6:7]
	v_cvt_f32_i32_e32 v6, v214
	v_mul_f32_e32 v1, v174, v7
	v_fmac_f32_e32 v33, v1, v6
	v_mov_b32_e32 v1, 0
	v_dot4c_i32_i8_e32 v1, v180, v2
	v_dot4c_i32_i8_e32 v1, v182, v3
	;; [unrolled: 1-line block ×4, first 2 shown]
	s_nop 2
	v_mul_lo_u32 v6, v1, v190
	v_mov_b32_e32 v1, 0
	v_dot4c_i32_i8_e32 v1, v185, v116
	v_dot4c_i32_i8_e32 v1, v187, v117
	;; [unrolled: 1-line block ×4, first 2 shown]
	s_nop 2
	v_mad_u64_u32 v[214:215], s[22:23], v1, v192, v[6:7]
	v_cvt_f32_i32_e32 v6, v214
	v_mul_f32_e32 v1, v186, v7
	v_fmac_f32_e32 v31, v1, v6
	v_mov_b32_e32 v1, 0
	v_dot4c_i32_i8_e32 v1, v191, v2
	v_dot4c_i32_i8_e32 v1, v193, v3
	;; [unrolled: 1-line block ×4, first 2 shown]
	s_nop 2
	v_mul_lo_u32 v6, v1, v201
	v_mov_b32_e32 v1, 0
	v_dot4c_i32_i8_e32 v1, v196, v116
	v_dot4c_i32_i8_e32 v1, v198, v117
	;; [unrolled: 1-line block ×4, first 2 shown]
	s_nop 2
	v_mad_u64_u32 v[214:215], s[22:23], v1, v203, v[6:7]
	v_cvt_f32_i32_e32 v6, v214
	v_mul_f32_e32 v1, v197, v7
	v_fmac_f32_e32 v29, v1, v6
	v_mov_b32_e32 v1, 0
	v_dot4c_i32_i8_e32 v1, v202, v2
	v_dot4c_i32_i8_e32 v1, v204, v3
	;; [unrolled: 1-line block ×4, first 2 shown]
                                        ; kill: def $vgpr3 killed $sgpr0 killed $exec
	s_nop 2
	v_mul_lo_u32 v2, v1, v212
	v_mov_b32_e32 v1, 0
	v_dot4c_i32_i8_e32 v1, v207, v116
	v_dot4c_i32_i8_e32 v1, v209, v117
	;; [unrolled: 1-line block ×4, first 2 shown]
	v_mov_b32_e32 v118, 0
	v_mov_b32_e32 v119, 0
	s_nop 0
	v_mad_u64_u32 v[2:3], s[22:23], v1, v213, v[2:3]
	v_cvt_f32_i32_e32 v2, v2
	v_mul_f32_e32 v1, v208, v7
	v_fmac_f32_e32 v27, v1, v2
	ds_read2_b32 v[116:117], v0 offset0:168 offset1:200
	ds_read_b128 v[4:7], v168 offset:31488
	ds_read_b128 v[0:3], v168 offset:31504
	s_waitcnt lgkmcnt(1)
	v_dot4c_i32_i8_e32 v118, v170, v4
	v_dot4c_i32_i8_e32 v118, v171, v5
	s_waitcnt lgkmcnt(0)
	v_dot4c_i32_i8_e32 v119, v175, v0
	v_dot4c_i32_i8_e32 v118, v172, v6
	;; [unrolled: 1-line block ×6, first 2 shown]
	s_nop 0
	v_mul_lo_u32 v118, v118, v179
	s_nop 0
	v_mad_u64_u32 v[118:119], s[22:23], v119, v181, v[118:119]
	v_cvt_f32_i32_e32 v118, v118
	v_mul_f32_e32 v119, v174, v116
	v_fmac_f32_e32 v25, v119, v118
	v_mov_b32_e32 v118, 0
	v_dot4c_i32_i8_e32 v118, v180, v4
	v_mov_b32_e32 v119, 0
	v_dot4c_i32_i8_e32 v118, v182, v5
	v_dot4c_i32_i8_e32 v119, v185, v0
	;; [unrolled: 1-line block ×7, first 2 shown]
	s_nop 0
	v_mul_lo_u32 v118, v118, v190
	s_nop 0
	v_mad_u64_u32 v[118:119], s[22:23], v119, v192, v[118:119]
	v_cvt_f32_i32_e32 v118, v118
	v_mul_f32_e32 v119, v186, v116
	v_fmac_f32_e32 v23, v119, v118
	v_mov_b32_e32 v118, 0
	v_dot4c_i32_i8_e32 v118, v191, v4
	v_mov_b32_e32 v119, 0
	v_dot4c_i32_i8_e32 v118, v193, v5
	v_dot4c_i32_i8_e32 v119, v196, v0
	;; [unrolled: 1-line block ×7, first 2 shown]
	s_nop 0
	v_mul_lo_u32 v118, v118, v201
	s_nop 0
	v_mad_u64_u32 v[118:119], s[22:23], v119, v203, v[118:119]
	v_cvt_f32_i32_e32 v118, v118
	v_mul_f32_e32 v119, v197, v116
	v_fmac_f32_e32 v21, v119, v118
	v_mov_b32_e32 v118, 0
	v_dot4c_i32_i8_e32 v118, v202, v4
	v_dot4c_i32_i8_e32 v118, v204, v5
	v_mov_b32_e32 v5, 0
	v_dot4c_i32_i8_e32 v5, v207, v0
	v_dot4c_i32_i8_e32 v118, v205, v6
	;; [unrolled: 1-line block ×6, first 2 shown]
	s_nop 0
	v_mul_lo_u32 v4, v118, v212
	v_mov_b32_e32 v118, 0
	v_mad_u64_u32 v[0:1], s[22:23], v5, v213, v[4:5]
	v_cvt_f32_i32_e32 v0, v0
	v_mul_f32_e32 v1, v208, v116
	v_mov_b32_e32 v116, 0
	v_fmac_f32_e32 v19, v1, v0
	ds_read_b128 v[0:3], v168 offset:32512
	ds_read_b128 v[4:7], v168 offset:32528
	v_add_u32_e32 v168, 32, v168
	s_waitcnt lgkmcnt(1)
	v_dot4c_i32_i8_e32 v116, v170, v0
	v_dot4c_i32_i8_e32 v116, v171, v1
	s_waitcnt lgkmcnt(0)
	v_dot4c_i32_i8_e32 v118, v175, v4
	v_dot4c_i32_i8_e32 v116, v172, v2
	;; [unrolled: 1-line block ×6, first 2 shown]
	s_nop 0
	v_mul_lo_u32 v116, v116, v179
	s_nop 0
	v_mad_u64_u32 v[118:119], s[22:23], v118, v181, v[116:117]
	v_cvt_f32_i32_e32 v118, v118
	v_mul_f32_e32 v116, v174, v117
	v_fmac_f32_e32 v17, v116, v118
	v_mov_b32_e32 v116, 0
	v_dot4c_i32_i8_e32 v116, v180, v0
	v_mov_b32_e32 v118, 0
	v_dot4c_i32_i8_e32 v116, v182, v1
	v_dot4c_i32_i8_e32 v118, v185, v4
	;; [unrolled: 1-line block ×7, first 2 shown]
	s_nop 0
	v_mul_lo_u32 v116, v116, v190
	s_nop 0
	v_mad_u64_u32 v[118:119], s[22:23], v118, v192, v[116:117]
	v_cvt_f32_i32_e32 v118, v118
	v_mul_f32_e32 v116, v186, v117
	v_fmac_f32_e32 v15, v116, v118
	v_mov_b32_e32 v116, 0
	v_dot4c_i32_i8_e32 v116, v191, v0
	v_mov_b32_e32 v118, 0
	v_dot4c_i32_i8_e32 v116, v193, v1
	v_dot4c_i32_i8_e32 v118, v196, v4
	;; [unrolled: 1-line block ×7, first 2 shown]
	s_nop 0
	v_mul_lo_u32 v116, v116, v201
	s_nop 0
	v_mad_u64_u32 v[118:119], s[22:23], v118, v203, v[116:117]
	v_cvt_f32_i32_e32 v118, v118
	v_mul_f32_e32 v116, v197, v117
	v_fmac_f32_e32 v13, v116, v118
	v_mov_b32_e32 v116, 0
	v_dot4c_i32_i8_e32 v116, v202, v0
	v_dot4c_i32_i8_e32 v116, v204, v1
	v_mov_b32_e32 v1, 0
	v_dot4c_i32_i8_e32 v1, v207, v4
	v_dot4c_i32_i8_e32 v116, v205, v2
	;; [unrolled: 1-line block ×6, first 2 shown]
	s_nop 0
	v_mul_lo_u32 v0, v116, v212
	s_nop 0
	v_mad_u64_u32 v[0:1], s[22:23], v1, v213, v[0:1]
	v_cvt_f32_i32_e32 v0, v0
	v_mul_f32_e32 v1, v208, v117
	s_mov_b32 s22, s21
	v_fmac_f32_e32 v9, v1, v0
	s_cbranch_scc1 .LBB170_7
; %bb.8:                                ;   in Loop: Header=BB170_6 Depth=1
	v_add_u32_e32 v170, s18, v140
	v_add_u32_e32 v0, v170, v91
	;; [unrolled: 1-line block ×6, first 2 shown]
	v_mad_i64_i32 v[0:1], s[20:21], v0, 36, v[112:113]
	v_mad_i64_i32 v[2:3], s[20:21], v2, 36, v[112:113]
	;; [unrolled: 1-line block ×4, first 2 shown]
	v_add_u32_e32 v116, v170, v115
	v_add_u32_e32 v118, v170, v121
	;; [unrolled: 1-line block ×4, first 2 shown]
	v_mad_u64_u32 v[172:173], s[20:21], v172, 36, s[2:3]
	s_barrier
	v_mad_i64_i32 v[116:117], s[20:21], v116, 36, v[112:113]
	v_mad_i64_i32 v[118:119], s[20:21], v118, 36, v[112:113]
	;; [unrolled: 1-line block ×4, first 2 shown]
	global_load_dword v172, v[172:173], off
	s_nop 0
	global_load_dword v0, v[0:1], off offset:4
	s_nop 0
	global_load_dword v1, v[2:3], off offset:4
	;; [unrolled: 2-line block ×3, first 2 shown]
	global_load_dword v3, v[6:7], off offset:4
	s_nop 0
	global_load_dword v4, v[116:117], off offset:4
	global_load_dword v5, v[118:119], off offset:4
	global_load_dword v6, v[168:169], off offset:4
	global_load_dword v7, v[170:171], off offset:4
	s_mov_b32 s19, 4
	s_mov_b32 s20, 8
	;; [unrolled: 1-line block ×3, first 2 shown]
	v_mov_b32_e32 v168, v93
	v_mov_b32_e32 v169, v63
	s_waitcnt vmcnt(8)
	v_cvt_f32_f16_e32 v116, v172
	s_waitcnt vmcnt(7)
	ds_write_b32 v95, v0
	s_waitcnt vmcnt(6)
	ds_write_b32 v99, v1
	;; [unrolled: 2-line block ×8, first 2 shown]
	ds_write_b32 v89, v116
	s_waitcnt lgkmcnt(0)
	s_barrier
.LBB170_9:                              ;   Parent Loop BB170_6 Depth=1
                                        ; =>  This Inner Loop Header: Depth=2
	s_and_b32 s21, s20, -16
	v_add_u32_e32 v118, s21, v127
	s_add_i32 s21, s22, 2
	s_lshr_b32 s26, s21, 4
	s_and_b32 s25, s21, 0x3ffffff8
	s_lshl_b32 s24, s26, 3
	s_lshl_b32 s25, s25, 2
	v_add_lshl_u32 v180, v128, s24, 2
	v_add_u32_e32 v0, 0x9600, v169
	v_add_u32_e32 v119, s25, v129
	;; [unrolled: 1-line block ×3, first 2 shown]
	ds_read2_b32 v[116:117], v0 offset0:104 offset1:136
	ds_read_b128 v[4:7], v168 offset:25344
	ds_read_b128 v[0:3], v168 offset:25360
	ds_read2_b32 v[170:171], v119 offset1:1
	ds_read2_b32 v[172:173], v172 offset1:1
	s_add_i32 s23, s22, -6
	s_lshl_b32 s26, s26, 2
	v_add_lshl_u32 v190, v131, s24, 2
	s_waitcnt lgkmcnt(1)
	v_ashrrev_i32_e32 v170, s23, v170
	s_waitcnt lgkmcnt(0)
	v_ashrrev_i32_e32 v172, s19, v172
	v_lshlrev_b32_e32 v172, 2, v172
	v_and_b32_e32 v174, 0x3030303, v170
	v_bfe_u32 v170, v170, 24, 2
	v_and_b32_e32 v172, 0x4040404, v172
	v_ashrrev_i32_e32 v173, s19, v173
	v_sub_u16_e32 v175, v174, v172
	v_sub_u16_sdwa v176, v174, v172 dst_sel:BYTE_1 dst_unused:UNUSED_PAD src0_sel:BYTE_1 src1_sel:BYTE_1
	v_sub_u16_sdwa v170, v170, v172 dst_sel:BYTE_1 dst_unused:UNUSED_PAD src0_sel:DWORD src1_sel:BYTE_3
	v_sub_u16_sdwa v172, v174, v172 dst_sel:DWORD dst_unused:UNUSED_PAD src0_sel:WORD_1 src1_sel:WORD_1
	v_ashrrev_i32_e32 v171, s23, v171
	v_lshlrev_b32_e32 v173, 2, v173
	v_or_b32_sdwa v175, v175, v176 dst_sel:DWORD dst_unused:UNUSED_PAD src0_sel:BYTE_0 src1_sel:DWORD
	v_or_b32_sdwa v170, v172, v170 dst_sel:WORD_1 dst_unused:UNUSED_PAD src0_sel:BYTE_0 src1_sel:DWORD
	v_and_b32_e32 v172, 0x3030303, v171
	v_bfe_u32 v171, v171, 24, 2
	v_and_b32_e32 v173, 0x4040404, v173
	v_or_b32_sdwa v170, v175, v170 dst_sel:DWORD dst_unused:UNUSED_PAD src0_sel:WORD_0 src1_sel:DWORD
	v_sub_u16_e32 v174, v172, v173
	v_sub_u16_sdwa v175, v172, v173 dst_sel:BYTE_1 dst_unused:UNUSED_PAD src0_sel:BYTE_1 src1_sel:BYTE_1
	v_sub_u16_sdwa v171, v171, v173 dst_sel:BYTE_1 dst_unused:UNUSED_PAD src0_sel:DWORD src1_sel:BYTE_3
	v_sub_u16_sdwa v172, v172, v173 dst_sel:DWORD dst_unused:UNUSED_PAD src0_sel:WORD_1 src1_sel:WORD_1
	v_or_b32_sdwa v174, v174, v175 dst_sel:DWORD dst_unused:UNUSED_PAD src0_sel:BYTE_0 src1_sel:DWORD
	v_or_b32_sdwa v171, v172, v171 dst_sel:WORD_1 dst_unused:UNUSED_PAD src0_sel:BYTE_0 src1_sel:DWORD
	ds_read2_b32 v[172:173], v119 offset0:2 offset1:3
	v_or_b32_sdwa v171, v174, v171 dst_sel:DWORD dst_unused:UNUSED_PAD src0_sel:WORD_0 src1_sel:DWORD
	v_add_u32_e32 v174, 0x4208, v180
	ds_read2_b32 v[174:175], v174 offset1:1
	v_add_u32_e32 v184, 0x4200, v190
	s_waitcnt lgkmcnt(1)
	v_ashrrev_i32_e32 v172, s23, v172
	v_and_b32_e32 v176, 0x3030303, v172
	v_bfe_u32 v172, v172, 24, 2
	s_waitcnt lgkmcnt(0)
	v_ashrrev_i32_e32 v174, s19, v174
	v_lshlrev_b32_e32 v174, 2, v174
	v_and_b32_e32 v174, 0x4040404, v174
	v_ashrrev_i32_e32 v175, s19, v175
	v_sub_u16_e32 v177, v176, v174
	v_sub_u16_sdwa v178, v176, v174 dst_sel:BYTE_1 dst_unused:UNUSED_PAD src0_sel:BYTE_1 src1_sel:BYTE_1
	v_sub_u16_sdwa v172, v172, v174 dst_sel:BYTE_1 dst_unused:UNUSED_PAD src0_sel:DWORD src1_sel:BYTE_3
	v_sub_u16_sdwa v174, v176, v174 dst_sel:DWORD dst_unused:UNUSED_PAD src0_sel:WORD_1 src1_sel:WORD_1
	v_ashrrev_i32_e32 v173, s23, v173
	v_lshlrev_b32_e32 v175, 2, v175
	v_or_b32_sdwa v177, v177, v178 dst_sel:DWORD dst_unused:UNUSED_PAD src0_sel:BYTE_0 src1_sel:DWORD
	v_or_b32_sdwa v172, v174, v172 dst_sel:WORD_1 dst_unused:UNUSED_PAD src0_sel:BYTE_0 src1_sel:DWORD
	v_and_b32_e32 v174, 0x3030303, v173
	v_bfe_u32 v173, v173, 24, 2
	v_and_b32_e32 v175, 0x4040404, v175
	v_or_b32_sdwa v172, v177, v172 dst_sel:DWORD dst_unused:UNUSED_PAD src0_sel:WORD_0 src1_sel:DWORD
	v_sub_u16_e32 v176, v174, v175
	v_sub_u16_sdwa v177, v174, v175 dst_sel:BYTE_1 dst_unused:UNUSED_PAD src0_sel:BYTE_1 src1_sel:BYTE_1
	v_sub_u16_sdwa v173, v173, v175 dst_sel:BYTE_1 dst_unused:UNUSED_PAD src0_sel:DWORD src1_sel:BYTE_3
	v_sub_u16_sdwa v174, v174, v175 dst_sel:DWORD dst_unused:UNUSED_PAD src0_sel:WORD_1 src1_sel:WORD_1
	v_or_b32_sdwa v176, v176, v177 dst_sel:DWORD dst_unused:UNUSED_PAD src0_sel:BYTE_0 src1_sel:DWORD
	v_or_b32_sdwa v173, v174, v173 dst_sel:WORD_1 dst_unused:UNUSED_PAD src0_sel:BYTE_0 src1_sel:DWORD
	v_add_lshl_u32 v212, v137, s24, 2
	v_or_b32_sdwa v173, v176, v173 dst_sel:DWORD dst_unused:UNUSED_PAD src0_sel:WORD_0 src1_sel:DWORD
	ds_read2_b32 v[176:177], v119 offset0:4 offset1:5
	v_add_lshl_u32 v202, v134, s24, 2
	v_add_u32_e32 v206, 0x4200, v212
                                        ; kill: def $vgpr215 killed $sgpr0 killed $exec
	s_add_i32 s20, s20, 2
	ds_read2_b32 v[184:185], v184 offset1:1
	s_waitcnt lgkmcnt(1)
	v_ashrrev_i32_e32 v174, s23, v176
	v_add_u32_e32 v176, 0x4210, v180
	ds_read2_b32 v[178:179], v176 offset1:1
	v_and_b32_e32 v175, 0x3030303, v174
	v_bfe_u32 v174, v174, 24, 2
	s_waitcnt lgkmcnt(1)
	v_ashrrev_i32_e32 v184, s19, v184
	v_lshlrev_b32_e32 v184, 2, v184
	s_waitcnt lgkmcnt(0)
	v_ashrrev_i32_e32 v176, s19, v178
	v_lshlrev_b32_e32 v176, 2, v176
	v_and_b32_e32 v176, 0x4040404, v176
	v_sub_u16_e32 v178, v175, v176
	v_sub_u16_sdwa v181, v175, v176 dst_sel:BYTE_1 dst_unused:UNUSED_PAD src0_sel:BYTE_1 src1_sel:BYTE_1
	v_sub_u16_sdwa v174, v174, v176 dst_sel:BYTE_1 dst_unused:UNUSED_PAD src0_sel:DWORD src1_sel:BYTE_3
	v_sub_u16_sdwa v175, v175, v176 dst_sel:DWORD dst_unused:UNUSED_PAD src0_sel:WORD_1 src1_sel:WORD_1
	v_or_b32_sdwa v178, v178, v181 dst_sel:DWORD dst_unused:UNUSED_PAD src0_sel:BYTE_0 src1_sel:DWORD
	v_or_b32_sdwa v174, v175, v174 dst_sel:WORD_1 dst_unused:UNUSED_PAD src0_sel:BYTE_0 src1_sel:DWORD
	v_and_b32_e32 v184, 0x4040404, v184
	v_or_b32_sdwa v175, v178, v174 dst_sel:DWORD dst_unused:UNUSED_PAD src0_sel:WORD_0 src1_sel:DWORD
	v_ashrrev_i32_e32 v174, s23, v177
	v_ashrrev_i32_e32 v177, s19, v179
	v_lshlrev_b32_e32 v177, 2, v177
	v_and_b32_e32 v176, 0x3030303, v174
	v_bfe_u32 v174, v174, 24, 2
	v_and_b32_e32 v177, 0x4040404, v177
	v_sub_u16_e32 v178, v176, v177
	v_sub_u16_sdwa v179, v176, v177 dst_sel:BYTE_1 dst_unused:UNUSED_PAD src0_sel:BYTE_1 src1_sel:BYTE_1
	v_sub_u16_sdwa v174, v174, v177 dst_sel:BYTE_1 dst_unused:UNUSED_PAD src0_sel:DWORD src1_sel:BYTE_3
	v_sub_u16_sdwa v176, v176, v177 dst_sel:DWORD dst_unused:UNUSED_PAD src0_sel:WORD_1 src1_sel:WORD_1
	v_or_b32_sdwa v178, v178, v179 dst_sel:DWORD dst_unused:UNUSED_PAD src0_sel:BYTE_0 src1_sel:DWORD
	v_or_b32_sdwa v174, v176, v174 dst_sel:WORD_1 dst_unused:UNUSED_PAD src0_sel:BYTE_0 src1_sel:DWORD
	v_add_u32_e32 v177, 0x4218, v180
	v_or_b32_sdwa v176, v178, v174 dst_sel:DWORD dst_unused:UNUSED_PAD src0_sel:WORD_0 src1_sel:DWORD
	ds_read2_b32 v[178:179], v119 offset0:6 offset1:7
	ds_read2_b32 v[180:181], v177 offset1:1
	ds_read2_b32 v[206:207], v206 offset1:1
	s_waitcnt lgkmcnt(2)
	v_ashrrev_i32_e32 v119, s23, v178
	s_waitcnt lgkmcnt(1)
	v_ashrrev_i32_e32 v177, s19, v180
	v_lshlrev_b32_e32 v177, 2, v177
	v_and_b32_e32 v174, 0x3030303, v119
	v_bfe_u32 v119, v119, 24, 2
	v_and_b32_e32 v177, 0x4040404, v177
	v_sub_u16_e32 v178, v174, v177
	v_sub_u16_sdwa v180, v174, v177 dst_sel:BYTE_1 dst_unused:UNUSED_PAD src0_sel:BYTE_1 src1_sel:BYTE_1
	v_sub_u16_sdwa v119, v119, v177 dst_sel:BYTE_1 dst_unused:UNUSED_PAD src0_sel:DWORD src1_sel:BYTE_3
	v_sub_u16_sdwa v174, v174, v177 dst_sel:DWORD dst_unused:UNUSED_PAD src0_sel:WORD_1 src1_sel:WORD_1
	v_or_b32_sdwa v178, v178, v180 dst_sel:DWORD dst_unused:UNUSED_PAD src0_sel:BYTE_0 src1_sel:DWORD
	v_or_b32_sdwa v119, v174, v119 dst_sel:WORD_1 dst_unused:UNUSED_PAD src0_sel:BYTE_0 src1_sel:DWORD
	s_waitcnt lgkmcnt(0)
	v_ashrrev_i32_e32 v206, s19, v206
	v_or_b32_sdwa v177, v178, v119 dst_sel:DWORD dst_unused:UNUSED_PAD src0_sel:WORD_0 src1_sel:DWORD
	v_ashrrev_i32_e32 v178, s19, v181
	v_ashrrev_i32_e32 v119, s23, v179
	v_lshlrev_b32_e32 v178, 2, v178
	v_and_b32_e32 v174, 0x3030303, v119
	v_bfe_u32 v119, v119, 24, 2
	v_and_b32_e32 v178, 0x4040404, v178
	v_sub_u16_e32 v179, v174, v178
	v_sub_u16_sdwa v180, v174, v178 dst_sel:BYTE_1 dst_unused:UNUSED_PAD src0_sel:BYTE_1 src1_sel:BYTE_1
	v_sub_u16_sdwa v119, v119, v178 dst_sel:BYTE_1 dst_unused:UNUSED_PAD src0_sel:DWORD src1_sel:BYTE_3
	v_sub_u16_sdwa v174, v174, v178 dst_sel:DWORD dst_unused:UNUSED_PAD src0_sel:WORD_1 src1_sel:WORD_1
	v_or_b32_sdwa v179, v179, v180 dst_sel:DWORD dst_unused:UNUSED_PAD src0_sel:BYTE_0 src1_sel:DWORD
	v_or_b32_sdwa v119, v174, v119 dst_sel:WORD_1 dst_unused:UNUSED_PAD src0_sel:BYTE_0 src1_sel:DWORD
	v_add_u32_e32 v174, s26, v130
	v_or_b32_sdwa v178, v179, v119 dst_sel:DWORD dst_unused:UNUSED_PAD src0_sel:WORD_0 src1_sel:DWORD
	v_add3_u32 v119, v144, s22, v118
	ds_read_b32 v174, v174
	ds_read_u16 v119, v119 offset:8194
	v_mov_b32_e32 v180, 0
	v_dot4c_i32_i8_e32 v180, v170, v4
	v_dot4c_i32_i8_e32 v180, v171, v5
	;; [unrolled: 1-line block ×3, first 2 shown]
	s_waitcnt lgkmcnt(0)
	v_lshrrev_b16_e32 v181, 8, v119
	v_bfe_i32 v179, v119, 0, 8
	v_mov_b32_e32 v119, 0
	v_dot4c_i32_i8_e32 v119, v175, v0
	v_dot4c_i32_i8_e32 v119, v176, v1
	;; [unrolled: 1-line block ×5, first 2 shown]
	v_bfe_i32 v181, v181, 0, 8
	v_mul_lo_u32 v180, v180, v179
	v_lshlrev_b32_e32 v206, 2, v206
	v_mad_u64_u32 v[182:183], s[28:29], v119, v181, v[180:181]
	v_cvt_f32_i32_e32 v180, v182
	v_mul_f32_e32 v119, v116, v174
	v_and_b32_e32 v206, 0x4040404, v206
	v_fmac_f32_e32 v101, v119, v180
	v_add_u32_e32 v119, s25, v132
	ds_read2_b32 v[182:183], v119 offset1:1
	s_waitcnt lgkmcnt(0)
	v_ashrrev_i32_e32 v180, s23, v182
	v_and_b32_e32 v182, 0x3030303, v180
	v_bfe_u32 v180, v180, 24, 2
	v_sub_u16_e32 v186, v182, v184
	v_sub_u16_sdwa v187, v182, v184 dst_sel:BYTE_1 dst_unused:UNUSED_PAD src0_sel:BYTE_1 src1_sel:BYTE_1
	v_sub_u16_sdwa v180, v180, v184 dst_sel:BYTE_1 dst_unused:UNUSED_PAD src0_sel:DWORD src1_sel:BYTE_3
	v_sub_u16_sdwa v182, v182, v184 dst_sel:DWORD dst_unused:UNUSED_PAD src0_sel:WORD_1 src1_sel:WORD_1
	v_ashrrev_i32_e32 v184, s19, v185
	v_or_b32_sdwa v180, v182, v180 dst_sel:WORD_1 dst_unused:UNUSED_PAD src0_sel:BYTE_0 src1_sel:DWORD
	v_ashrrev_i32_e32 v182, s23, v183
	v_lshlrev_b32_e32 v184, 2, v184
	v_or_b32_sdwa v186, v186, v187 dst_sel:DWORD dst_unused:UNUSED_PAD src0_sel:BYTE_0 src1_sel:DWORD
	v_and_b32_e32 v183, 0x3030303, v182
	v_bfe_u32 v182, v182, 24, 2
	v_and_b32_e32 v184, 0x4040404, v184
	v_or_b32_sdwa v180, v186, v180 dst_sel:DWORD dst_unused:UNUSED_PAD src0_sel:WORD_0 src1_sel:DWORD
	v_sub_u16_e32 v185, v183, v184
	v_sub_u16_sdwa v186, v183, v184 dst_sel:BYTE_1 dst_unused:UNUSED_PAD src0_sel:BYTE_1 src1_sel:BYTE_1
	v_sub_u16_sdwa v182, v182, v184 dst_sel:BYTE_1 dst_unused:UNUSED_PAD src0_sel:DWORD src1_sel:BYTE_3
	v_sub_u16_sdwa v183, v183, v184 dst_sel:DWORD dst_unused:UNUSED_PAD src0_sel:WORD_1 src1_sel:WORD_1
	v_or_b32_sdwa v185, v185, v186 dst_sel:DWORD dst_unused:UNUSED_PAD src0_sel:BYTE_0 src1_sel:DWORD
	v_or_b32_sdwa v182, v183, v182 dst_sel:WORD_1 dst_unused:UNUSED_PAD src0_sel:BYTE_0 src1_sel:DWORD
	v_add_u32_e32 v186, 0x4208, v190
	v_or_b32_sdwa v182, v185, v182 dst_sel:DWORD dst_unused:UNUSED_PAD src0_sel:WORD_0 src1_sel:DWORD
	ds_read2_b32 v[184:185], v119 offset0:2 offset1:3
	ds_read2_b32 v[186:187], v186 offset1:1
	s_waitcnt lgkmcnt(1)
	v_ashrrev_i32_e32 v183, s23, v184
	s_waitcnt lgkmcnt(0)
	v_ashrrev_i32_e32 v186, s19, v186
	v_lshlrev_b32_e32 v186, 2, v186
	v_and_b32_e32 v184, 0x3030303, v183
	v_bfe_u32 v183, v183, 24, 2
	v_and_b32_e32 v186, 0x4040404, v186
	v_sub_u16_e32 v188, v184, v186
	v_sub_u16_sdwa v189, v184, v186 dst_sel:BYTE_1 dst_unused:UNUSED_PAD src0_sel:BYTE_1 src1_sel:BYTE_1
	v_sub_u16_sdwa v183, v183, v186 dst_sel:BYTE_1 dst_unused:UNUSED_PAD src0_sel:DWORD src1_sel:BYTE_3
	v_sub_u16_sdwa v184, v184, v186 dst_sel:DWORD dst_unused:UNUSED_PAD src0_sel:WORD_1 src1_sel:WORD_1
	v_ashrrev_i32_e32 v186, s19, v187
	v_or_b32_sdwa v183, v184, v183 dst_sel:WORD_1 dst_unused:UNUSED_PAD src0_sel:BYTE_0 src1_sel:DWORD
	v_ashrrev_i32_e32 v184, s23, v185
	v_lshlrev_b32_e32 v186, 2, v186
	v_or_b32_sdwa v188, v188, v189 dst_sel:DWORD dst_unused:UNUSED_PAD src0_sel:BYTE_0 src1_sel:DWORD
	v_and_b32_e32 v185, 0x3030303, v184
	v_bfe_u32 v184, v184, 24, 2
	v_and_b32_e32 v186, 0x4040404, v186
	v_or_b32_sdwa v183, v188, v183 dst_sel:DWORD dst_unused:UNUSED_PAD src0_sel:WORD_0 src1_sel:DWORD
	v_sub_u16_e32 v187, v185, v186
	v_sub_u16_sdwa v188, v185, v186 dst_sel:BYTE_1 dst_unused:UNUSED_PAD src0_sel:BYTE_1 src1_sel:BYTE_1
	v_sub_u16_sdwa v184, v184, v186 dst_sel:BYTE_1 dst_unused:UNUSED_PAD src0_sel:DWORD src1_sel:BYTE_3
	v_sub_u16_sdwa v185, v185, v186 dst_sel:DWORD dst_unused:UNUSED_PAD src0_sel:WORD_1 src1_sel:WORD_1
	v_or_b32_sdwa v187, v187, v188 dst_sel:DWORD dst_unused:UNUSED_PAD src0_sel:BYTE_0 src1_sel:DWORD
	v_or_b32_sdwa v184, v185, v184 dst_sel:WORD_1 dst_unused:UNUSED_PAD src0_sel:BYTE_0 src1_sel:DWORD
	v_add_u32_e32 v188, 0x4210, v190
	v_or_b32_sdwa v184, v187, v184 dst_sel:DWORD dst_unused:UNUSED_PAD src0_sel:WORD_0 src1_sel:DWORD
	ds_read2_b32 v[186:187], v119 offset0:4 offset1:5
	ds_read2_b32 v[188:189], v188 offset1:1
	s_waitcnt lgkmcnt(1)
	v_ashrrev_i32_e32 v185, s23, v186
	s_waitcnt lgkmcnt(0)
	v_ashrrev_i32_e32 v188, s19, v188
	v_lshlrev_b32_e32 v188, 2, v188
	v_and_b32_e32 v186, 0x3030303, v185
	v_bfe_u32 v185, v185, 24, 2
	v_and_b32_e32 v188, 0x4040404, v188
	v_sub_u16_e32 v191, v186, v188
	v_sub_u16_sdwa v192, v186, v188 dst_sel:BYTE_1 dst_unused:UNUSED_PAD src0_sel:BYTE_1 src1_sel:BYTE_1
	v_sub_u16_sdwa v185, v185, v188 dst_sel:BYTE_1 dst_unused:UNUSED_PAD src0_sel:DWORD src1_sel:BYTE_3
	v_sub_u16_sdwa v186, v186, v188 dst_sel:DWORD dst_unused:UNUSED_PAD src0_sel:WORD_1 src1_sel:WORD_1
	v_ashrrev_i32_e32 v188, s19, v189
	v_or_b32_sdwa v185, v186, v185 dst_sel:WORD_1 dst_unused:UNUSED_PAD src0_sel:BYTE_0 src1_sel:DWORD
	v_ashrrev_i32_e32 v186, s23, v187
	v_lshlrev_b32_e32 v188, 2, v188
	v_or_b32_sdwa v191, v191, v192 dst_sel:DWORD dst_unused:UNUSED_PAD src0_sel:BYTE_0 src1_sel:DWORD
	v_and_b32_e32 v187, 0x3030303, v186
	v_bfe_u32 v186, v186, 24, 2
	v_and_b32_e32 v188, 0x4040404, v188
	v_or_b32_sdwa v185, v191, v185 dst_sel:DWORD dst_unused:UNUSED_PAD src0_sel:WORD_0 src1_sel:DWORD
	v_sub_u16_e32 v189, v187, v188
	v_sub_u16_sdwa v191, v187, v188 dst_sel:BYTE_1 dst_unused:UNUSED_PAD src0_sel:BYTE_1 src1_sel:BYTE_1
	v_sub_u16_sdwa v186, v186, v188 dst_sel:BYTE_1 dst_unused:UNUSED_PAD src0_sel:DWORD src1_sel:BYTE_3
	v_sub_u16_sdwa v187, v187, v188 dst_sel:DWORD dst_unused:UNUSED_PAD src0_sel:WORD_1 src1_sel:WORD_1
	v_or_b32_sdwa v189, v189, v191 dst_sel:DWORD dst_unused:UNUSED_PAD src0_sel:BYTE_0 src1_sel:DWORD
	v_or_b32_sdwa v186, v187, v186 dst_sel:WORD_1 dst_unused:UNUSED_PAD src0_sel:BYTE_0 src1_sel:DWORD
	s_nop 0
	v_or_b32_sdwa v187, v189, v186 dst_sel:DWORD dst_unused:UNUSED_PAD src0_sel:WORD_0 src1_sel:DWORD
	ds_read2_b32 v[188:189], v119 offset0:6 offset1:7
	s_waitcnt lgkmcnt(0)
	v_ashrrev_i32_e32 v119, s23, v188
	v_add_u32_e32 v188, 0x4218, v190
	ds_read2_b32 v[190:191], v188 offset1:1
	v_and_b32_e32 v186, 0x3030303, v119
	v_bfe_u32 v119, v119, 24, 2
	s_waitcnt lgkmcnt(0)
	v_ashrrev_i32_e32 v188, s19, v190
	v_lshlrev_b32_e32 v188, 2, v188
	v_and_b32_e32 v188, 0x4040404, v188
	v_sub_u16_e32 v190, v186, v188
	v_sub_u16_sdwa v192, v186, v188 dst_sel:BYTE_1 dst_unused:UNUSED_PAD src0_sel:BYTE_1 src1_sel:BYTE_1
	v_sub_u16_sdwa v119, v119, v188 dst_sel:BYTE_1 dst_unused:UNUSED_PAD src0_sel:DWORD src1_sel:BYTE_3
	v_sub_u16_sdwa v186, v186, v188 dst_sel:DWORD dst_unused:UNUSED_PAD src0_sel:WORD_1 src1_sel:WORD_1
	v_or_b32_sdwa v190, v190, v192 dst_sel:DWORD dst_unused:UNUSED_PAD src0_sel:BYTE_0 src1_sel:DWORD
	v_or_b32_sdwa v119, v186, v119 dst_sel:WORD_1 dst_unused:UNUSED_PAD src0_sel:BYTE_0 src1_sel:DWORD
	s_nop 0
	v_or_b32_sdwa v188, v190, v119 dst_sel:DWORD dst_unused:UNUSED_PAD src0_sel:WORD_0 src1_sel:DWORD
	v_ashrrev_i32_e32 v119, s23, v189
	v_ashrrev_i32_e32 v189, s19, v191
	v_lshlrev_b32_e32 v189, 2, v189
	v_and_b32_e32 v186, 0x3030303, v119
	v_bfe_u32 v119, v119, 24, 2
	v_and_b32_e32 v189, 0x4040404, v189
	v_sub_u16_e32 v190, v186, v189
	v_sub_u16_sdwa v191, v186, v189 dst_sel:BYTE_1 dst_unused:UNUSED_PAD src0_sel:BYTE_1 src1_sel:BYTE_1
	v_sub_u16_sdwa v119, v119, v189 dst_sel:BYTE_1 dst_unused:UNUSED_PAD src0_sel:DWORD src1_sel:BYTE_3
	v_sub_u16_sdwa v186, v186, v189 dst_sel:DWORD dst_unused:UNUSED_PAD src0_sel:WORD_1 src1_sel:WORD_1
	v_or_b32_sdwa v190, v190, v191 dst_sel:DWORD dst_unused:UNUSED_PAD src0_sel:BYTE_0 src1_sel:DWORD
	v_or_b32_sdwa v119, v186, v119 dst_sel:WORD_1 dst_unused:UNUSED_PAD src0_sel:BYTE_0 src1_sel:DWORD
	v_add_u32_e32 v186, s26, v133
	v_or_b32_sdwa v189, v190, v119 dst_sel:DWORD dst_unused:UNUSED_PAD src0_sel:WORD_0 src1_sel:DWORD
	v_add3_u32 v119, v146, s22, v118
	ds_read_b32 v186, v186
	ds_read_u16 v119, v119 offset:9218
	v_mov_b32_e32 v191, 0
	v_dot4c_i32_i8_e32 v191, v180, v4
	v_dot4c_i32_i8_e32 v191, v182, v5
	;; [unrolled: 1-line block ×3, first 2 shown]
	s_waitcnt lgkmcnt(0)
	v_lshrrev_b16_e32 v192, 8, v119
	v_bfe_i32 v190, v119, 0, 8
	v_mov_b32_e32 v119, 0
	v_dot4c_i32_i8_e32 v119, v185, v0
	v_dot4c_i32_i8_e32 v119, v187, v1
	;; [unrolled: 1-line block ×5, first 2 shown]
	v_bfe_i32 v192, v192, 0, 8
	v_mul_lo_u32 v194, v191, v190
	s_nop 0
	v_mad_u64_u32 v[194:195], s[28:29], v119, v192, v[194:195]
	v_cvt_f32_i32_e32 v191, v194
	v_mul_f32_e32 v119, v116, v186
	v_fmac_f32_e32 v87, v119, v191
	v_add_u32_e32 v119, s25, v135
	ds_read2_b32 v[194:195], v119 offset1:1
	s_waitcnt lgkmcnt(0)
	v_ashrrev_i32_e32 v191, s23, v194
	v_add_u32_e32 v194, 0x4200, v202
	ds_read2_b32 v[196:197], v194 offset1:1
	v_and_b32_e32 v193, 0x3030303, v191
	v_bfe_u32 v191, v191, 24, 2
	s_waitcnt lgkmcnt(0)
	v_ashrrev_i32_e32 v194, s19, v196
	v_lshlrev_b32_e32 v194, 2, v194
	v_and_b32_e32 v194, 0x4040404, v194
	v_sub_u16_e32 v196, v193, v194
	v_sub_u16_sdwa v198, v193, v194 dst_sel:BYTE_1 dst_unused:UNUSED_PAD src0_sel:BYTE_1 src1_sel:BYTE_1
	v_sub_u16_sdwa v191, v191, v194 dst_sel:BYTE_1 dst_unused:UNUSED_PAD src0_sel:DWORD src1_sel:BYTE_3
	v_sub_u16_sdwa v193, v193, v194 dst_sel:DWORD dst_unused:UNUSED_PAD src0_sel:WORD_1 src1_sel:WORD_1
	v_or_b32_sdwa v191, v193, v191 dst_sel:WORD_1 dst_unused:UNUSED_PAD src0_sel:BYTE_0 src1_sel:DWORD
	v_ashrrev_i32_e32 v193, s23, v195
	v_ashrrev_i32_e32 v195, s19, v197
	v_lshlrev_b32_e32 v195, 2, v195
	v_or_b32_sdwa v196, v196, v198 dst_sel:DWORD dst_unused:UNUSED_PAD src0_sel:BYTE_0 src1_sel:DWORD
	v_and_b32_e32 v194, 0x3030303, v193
	v_bfe_u32 v193, v193, 24, 2
	v_and_b32_e32 v195, 0x4040404, v195
	v_or_b32_sdwa v191, v196, v191 dst_sel:DWORD dst_unused:UNUSED_PAD src0_sel:WORD_0 src1_sel:DWORD
	v_sub_u16_e32 v196, v194, v195
	v_sub_u16_sdwa v197, v194, v195 dst_sel:BYTE_1 dst_unused:UNUSED_PAD src0_sel:BYTE_1 src1_sel:BYTE_1
	v_sub_u16_sdwa v193, v193, v195 dst_sel:BYTE_1 dst_unused:UNUSED_PAD src0_sel:DWORD src1_sel:BYTE_3
	v_sub_u16_sdwa v194, v194, v195 dst_sel:DWORD dst_unused:UNUSED_PAD src0_sel:WORD_1 src1_sel:WORD_1
	v_or_b32_sdwa v196, v196, v197 dst_sel:DWORD dst_unused:UNUSED_PAD src0_sel:BYTE_0 src1_sel:DWORD
	v_or_b32_sdwa v193, v194, v193 dst_sel:WORD_1 dst_unused:UNUSED_PAD src0_sel:BYTE_0 src1_sel:DWORD
	ds_read2_b32 v[194:195], v119 offset0:2 offset1:3
	v_or_b32_sdwa v193, v196, v193 dst_sel:DWORD dst_unused:UNUSED_PAD src0_sel:WORD_0 src1_sel:DWORD
	v_add_u32_e32 v196, 0x4208, v202
	ds_read2_b32 v[196:197], v196 offset1:1
	s_waitcnt lgkmcnt(1)
	v_ashrrev_i32_e32 v194, s23, v194
	v_and_b32_e32 v198, 0x3030303, v194
	v_bfe_u32 v194, v194, 24, 2
	s_waitcnt lgkmcnt(0)
	v_ashrrev_i32_e32 v196, s19, v196
	v_lshlrev_b32_e32 v196, 2, v196
	v_and_b32_e32 v196, 0x4040404, v196
	v_ashrrev_i32_e32 v197, s19, v197
	v_sub_u16_e32 v199, v198, v196
	v_sub_u16_sdwa v200, v198, v196 dst_sel:BYTE_1 dst_unused:UNUSED_PAD src0_sel:BYTE_1 src1_sel:BYTE_1
	v_sub_u16_sdwa v194, v194, v196 dst_sel:BYTE_1 dst_unused:UNUSED_PAD src0_sel:DWORD src1_sel:BYTE_3
	v_sub_u16_sdwa v196, v198, v196 dst_sel:DWORD dst_unused:UNUSED_PAD src0_sel:WORD_1 src1_sel:WORD_1
	v_ashrrev_i32_e32 v195, s23, v195
	v_lshlrev_b32_e32 v197, 2, v197
	v_or_b32_sdwa v199, v199, v200 dst_sel:DWORD dst_unused:UNUSED_PAD src0_sel:BYTE_0 src1_sel:DWORD
	v_or_b32_sdwa v194, v196, v194 dst_sel:WORD_1 dst_unused:UNUSED_PAD src0_sel:BYTE_0 src1_sel:DWORD
	v_and_b32_e32 v196, 0x3030303, v195
	v_bfe_u32 v195, v195, 24, 2
	v_and_b32_e32 v197, 0x4040404, v197
	v_or_b32_sdwa v194, v199, v194 dst_sel:DWORD dst_unused:UNUSED_PAD src0_sel:WORD_0 src1_sel:DWORD
	v_sub_u16_e32 v198, v196, v197
	v_sub_u16_sdwa v199, v196, v197 dst_sel:BYTE_1 dst_unused:UNUSED_PAD src0_sel:BYTE_1 src1_sel:BYTE_1
	v_sub_u16_sdwa v195, v195, v197 dst_sel:BYTE_1 dst_unused:UNUSED_PAD src0_sel:DWORD src1_sel:BYTE_3
	v_sub_u16_sdwa v196, v196, v197 dst_sel:DWORD dst_unused:UNUSED_PAD src0_sel:WORD_1 src1_sel:WORD_1
	v_or_b32_sdwa v198, v198, v199 dst_sel:DWORD dst_unused:UNUSED_PAD src0_sel:BYTE_0 src1_sel:DWORD
	v_or_b32_sdwa v195, v196, v195 dst_sel:WORD_1 dst_unused:UNUSED_PAD src0_sel:BYTE_0 src1_sel:DWORD
	ds_read2_b32 v[196:197], v119 offset0:4 offset1:5
	v_or_b32_sdwa v195, v198, v195 dst_sel:DWORD dst_unused:UNUSED_PAD src0_sel:WORD_0 src1_sel:DWORD
	v_add_u32_e32 v198, 0x4210, v202
	ds_read2_b32 v[198:199], v198 offset1:1
	s_waitcnt lgkmcnt(1)
	v_ashrrev_i32_e32 v196, s23, v196
	v_and_b32_e32 v200, 0x3030303, v196
	v_bfe_u32 v196, v196, 24, 2
	s_waitcnt lgkmcnt(0)
	v_ashrrev_i32_e32 v198, s19, v198
	v_lshlrev_b32_e32 v198, 2, v198
	v_and_b32_e32 v198, 0x4040404, v198
	v_ashrrev_i32_e32 v199, s19, v199
	v_sub_u16_e32 v201, v200, v198
	v_sub_u16_sdwa v203, v200, v198 dst_sel:BYTE_1 dst_unused:UNUSED_PAD src0_sel:BYTE_1 src1_sel:BYTE_1
	v_sub_u16_sdwa v196, v196, v198 dst_sel:BYTE_1 dst_unused:UNUSED_PAD src0_sel:DWORD src1_sel:BYTE_3
	v_sub_u16_sdwa v198, v200, v198 dst_sel:DWORD dst_unused:UNUSED_PAD src0_sel:WORD_1 src1_sel:WORD_1
	v_ashrrev_i32_e32 v197, s23, v197
	v_lshlrev_b32_e32 v199, 2, v199
	v_or_b32_sdwa v201, v201, v203 dst_sel:DWORD dst_unused:UNUSED_PAD src0_sel:BYTE_0 src1_sel:DWORD
	v_or_b32_sdwa v196, v198, v196 dst_sel:WORD_1 dst_unused:UNUSED_PAD src0_sel:BYTE_0 src1_sel:DWORD
	v_and_b32_e32 v198, 0x3030303, v197
	v_bfe_u32 v197, v197, 24, 2
	v_and_b32_e32 v199, 0x4040404, v199
	v_or_b32_sdwa v196, v201, v196 dst_sel:DWORD dst_unused:UNUSED_PAD src0_sel:WORD_0 src1_sel:DWORD
	v_sub_u16_e32 v200, v198, v199
	v_sub_u16_sdwa v201, v198, v199 dst_sel:BYTE_1 dst_unused:UNUSED_PAD src0_sel:BYTE_1 src1_sel:BYTE_1
	v_sub_u16_sdwa v197, v197, v199 dst_sel:BYTE_1 dst_unused:UNUSED_PAD src0_sel:DWORD src1_sel:BYTE_3
	v_sub_u16_sdwa v198, v198, v199 dst_sel:DWORD dst_unused:UNUSED_PAD src0_sel:WORD_1 src1_sel:WORD_1
	v_or_b32_sdwa v200, v200, v201 dst_sel:DWORD dst_unused:UNUSED_PAD src0_sel:BYTE_0 src1_sel:DWORD
	v_or_b32_sdwa v197, v198, v197 dst_sel:WORD_1 dst_unused:UNUSED_PAD src0_sel:BYTE_0 src1_sel:DWORD
	v_add_u32_e32 v199, 0x4218, v202
	v_or_b32_sdwa v198, v200, v197 dst_sel:DWORD dst_unused:UNUSED_PAD src0_sel:WORD_0 src1_sel:DWORD
	ds_read2_b32 v[200:201], v119 offset0:6 offset1:7
	ds_read2_b32 v[202:203], v199 offset1:1
	s_waitcnt lgkmcnt(1)
	v_ashrrev_i32_e32 v119, s23, v200
	s_waitcnt lgkmcnt(0)
	v_ashrrev_i32_e32 v199, s19, v202
	v_lshlrev_b32_e32 v199, 2, v199
	v_and_b32_e32 v197, 0x3030303, v119
	v_bfe_u32 v119, v119, 24, 2
	v_and_b32_e32 v199, 0x4040404, v199
	v_sub_u16_e32 v200, v197, v199
	v_sub_u16_sdwa v202, v197, v199 dst_sel:BYTE_1 dst_unused:UNUSED_PAD src0_sel:BYTE_1 src1_sel:BYTE_1
	v_sub_u16_sdwa v119, v119, v199 dst_sel:BYTE_1 dst_unused:UNUSED_PAD src0_sel:DWORD src1_sel:BYTE_3
	v_sub_u16_sdwa v197, v197, v199 dst_sel:DWORD dst_unused:UNUSED_PAD src0_sel:WORD_1 src1_sel:WORD_1
	v_or_b32_sdwa v200, v200, v202 dst_sel:DWORD dst_unused:UNUSED_PAD src0_sel:BYTE_0 src1_sel:DWORD
	v_or_b32_sdwa v119, v197, v119 dst_sel:WORD_1 dst_unused:UNUSED_PAD src0_sel:BYTE_0 src1_sel:DWORD
	s_nop 0
	v_or_b32_sdwa v199, v200, v119 dst_sel:DWORD dst_unused:UNUSED_PAD src0_sel:WORD_0 src1_sel:DWORD
	v_ashrrev_i32_e32 v200, s19, v203
	v_ashrrev_i32_e32 v119, s23, v201
	v_lshlrev_b32_e32 v200, 2, v200
	v_and_b32_e32 v197, 0x3030303, v119
	v_bfe_u32 v119, v119, 24, 2
	v_and_b32_e32 v200, 0x4040404, v200
	v_sub_u16_e32 v201, v197, v200
	v_sub_u16_sdwa v202, v197, v200 dst_sel:BYTE_1 dst_unused:UNUSED_PAD src0_sel:BYTE_1 src1_sel:BYTE_1
	v_sub_u16_sdwa v119, v119, v200 dst_sel:BYTE_1 dst_unused:UNUSED_PAD src0_sel:DWORD src1_sel:BYTE_3
	v_sub_u16_sdwa v197, v197, v200 dst_sel:DWORD dst_unused:UNUSED_PAD src0_sel:WORD_1 src1_sel:WORD_1
	v_or_b32_sdwa v201, v201, v202 dst_sel:DWORD dst_unused:UNUSED_PAD src0_sel:BYTE_0 src1_sel:DWORD
	v_or_b32_sdwa v119, v197, v119 dst_sel:WORD_1 dst_unused:UNUSED_PAD src0_sel:BYTE_0 src1_sel:DWORD
	v_add_u32_e32 v197, s26, v136
	v_or_b32_sdwa v200, v201, v119 dst_sel:DWORD dst_unused:UNUSED_PAD src0_sel:WORD_0 src1_sel:DWORD
	v_add3_u32 v119, v148, s22, v118
	ds_read_b32 v197, v197
	ds_read_u16 v119, v119 offset:10242
	v_mov_b32_e32 v202, 0
	v_dot4c_i32_i8_e32 v202, v191, v4
	v_dot4c_i32_i8_e32 v202, v193, v5
	;; [unrolled: 1-line block ×3, first 2 shown]
	s_waitcnt lgkmcnt(0)
	v_lshrrev_b16_e32 v203, 8, v119
	v_bfe_i32 v201, v119, 0, 8
	v_mov_b32_e32 v119, 0
	v_dot4c_i32_i8_e32 v119, v196, v0
	v_dot4c_i32_i8_e32 v119, v198, v1
	;; [unrolled: 1-line block ×5, first 2 shown]
	v_bfe_i32 v203, v203, 0, 8
	v_mul_lo_u32 v202, v202, v201
	v_add3_u32 v118, v150, s22, v118
	v_mad_u64_u32 v[204:205], s[28:29], v119, v203, v[202:203]
	v_cvt_f32_i32_e32 v202, v204
	v_mul_f32_e32 v119, v116, v197
	v_fmac_f32_e32 v85, v119, v202
	v_add_u32_e32 v119, s25, v138
	ds_read2_b32 v[204:205], v119 offset1:1
	s_waitcnt lgkmcnt(0)
	v_ashrrev_i32_e32 v202, s23, v204
	v_and_b32_e32 v204, 0x3030303, v202
	v_bfe_u32 v202, v202, 24, 2
	v_sub_u16_e32 v208, v204, v206
	v_sub_u16_sdwa v209, v204, v206 dst_sel:BYTE_1 dst_unused:UNUSED_PAD src0_sel:BYTE_1 src1_sel:BYTE_1
	v_sub_u16_sdwa v202, v202, v206 dst_sel:BYTE_1 dst_unused:UNUSED_PAD src0_sel:DWORD src1_sel:BYTE_3
	v_sub_u16_sdwa v204, v204, v206 dst_sel:DWORD dst_unused:UNUSED_PAD src0_sel:WORD_1 src1_sel:WORD_1
	v_ashrrev_i32_e32 v206, s19, v207
	v_or_b32_sdwa v202, v204, v202 dst_sel:WORD_1 dst_unused:UNUSED_PAD src0_sel:BYTE_0 src1_sel:DWORD
	v_ashrrev_i32_e32 v204, s23, v205
	v_lshlrev_b32_e32 v206, 2, v206
	v_or_b32_sdwa v208, v208, v209 dst_sel:DWORD dst_unused:UNUSED_PAD src0_sel:BYTE_0 src1_sel:DWORD
	v_and_b32_e32 v205, 0x3030303, v204
	v_bfe_u32 v204, v204, 24, 2
	v_and_b32_e32 v206, 0x4040404, v206
	v_or_b32_sdwa v202, v208, v202 dst_sel:DWORD dst_unused:UNUSED_PAD src0_sel:WORD_0 src1_sel:DWORD
	v_sub_u16_e32 v207, v205, v206
	v_sub_u16_sdwa v208, v205, v206 dst_sel:BYTE_1 dst_unused:UNUSED_PAD src0_sel:BYTE_1 src1_sel:BYTE_1
	v_sub_u16_sdwa v204, v204, v206 dst_sel:BYTE_1 dst_unused:UNUSED_PAD src0_sel:DWORD src1_sel:BYTE_3
	v_sub_u16_sdwa v205, v205, v206 dst_sel:DWORD dst_unused:UNUSED_PAD src0_sel:WORD_1 src1_sel:WORD_1
	v_or_b32_sdwa v207, v207, v208 dst_sel:DWORD dst_unused:UNUSED_PAD src0_sel:BYTE_0 src1_sel:DWORD
	v_or_b32_sdwa v204, v205, v204 dst_sel:WORD_1 dst_unused:UNUSED_PAD src0_sel:BYTE_0 src1_sel:DWORD
	v_add_u32_e32 v208, 0x4208, v212
	v_or_b32_sdwa v204, v207, v204 dst_sel:DWORD dst_unused:UNUSED_PAD src0_sel:WORD_0 src1_sel:DWORD
	ds_read2_b32 v[206:207], v119 offset0:2 offset1:3
	ds_read2_b32 v[208:209], v208 offset1:1
	s_waitcnt lgkmcnt(1)
	v_ashrrev_i32_e32 v205, s23, v206
	s_waitcnt lgkmcnt(0)
	v_ashrrev_i32_e32 v208, s19, v208
	v_lshlrev_b32_e32 v208, 2, v208
	v_and_b32_e32 v206, 0x3030303, v205
	v_bfe_u32 v205, v205, 24, 2
	v_and_b32_e32 v208, 0x4040404, v208
	v_sub_u16_e32 v210, v206, v208
	v_sub_u16_sdwa v211, v206, v208 dst_sel:BYTE_1 dst_unused:UNUSED_PAD src0_sel:BYTE_1 src1_sel:BYTE_1
	v_sub_u16_sdwa v205, v205, v208 dst_sel:BYTE_1 dst_unused:UNUSED_PAD src0_sel:DWORD src1_sel:BYTE_3
	v_sub_u16_sdwa v206, v206, v208 dst_sel:DWORD dst_unused:UNUSED_PAD src0_sel:WORD_1 src1_sel:WORD_1
	v_ashrrev_i32_e32 v208, s19, v209
	v_or_b32_sdwa v205, v206, v205 dst_sel:WORD_1 dst_unused:UNUSED_PAD src0_sel:BYTE_0 src1_sel:DWORD
	v_ashrrev_i32_e32 v206, s23, v207
	v_lshlrev_b32_e32 v208, 2, v208
	v_or_b32_sdwa v210, v210, v211 dst_sel:DWORD dst_unused:UNUSED_PAD src0_sel:BYTE_0 src1_sel:DWORD
	v_and_b32_e32 v207, 0x3030303, v206
	v_bfe_u32 v206, v206, 24, 2
	v_and_b32_e32 v208, 0x4040404, v208
	v_or_b32_sdwa v205, v210, v205 dst_sel:DWORD dst_unused:UNUSED_PAD src0_sel:WORD_0 src1_sel:DWORD
	v_sub_u16_e32 v209, v207, v208
	v_sub_u16_sdwa v210, v207, v208 dst_sel:BYTE_1 dst_unused:UNUSED_PAD src0_sel:BYTE_1 src1_sel:BYTE_1
	v_sub_u16_sdwa v206, v206, v208 dst_sel:BYTE_1 dst_unused:UNUSED_PAD src0_sel:DWORD src1_sel:BYTE_3
	v_sub_u16_sdwa v207, v207, v208 dst_sel:DWORD dst_unused:UNUSED_PAD src0_sel:WORD_1 src1_sel:WORD_1
	v_or_b32_sdwa v209, v209, v210 dst_sel:DWORD dst_unused:UNUSED_PAD src0_sel:BYTE_0 src1_sel:DWORD
	v_or_b32_sdwa v206, v207, v206 dst_sel:WORD_1 dst_unused:UNUSED_PAD src0_sel:BYTE_0 src1_sel:DWORD
	v_add_u32_e32 v210, 0x4210, v212
	v_or_b32_sdwa v206, v209, v206 dst_sel:DWORD dst_unused:UNUSED_PAD src0_sel:WORD_0 src1_sel:DWORD
	ds_read2_b32 v[208:209], v119 offset0:4 offset1:5
	ds_read2_b32 v[210:211], v210 offset1:1
	s_waitcnt lgkmcnt(1)
	v_ashrrev_i32_e32 v207, s23, v208
	s_waitcnt lgkmcnt(0)
	v_ashrrev_i32_e32 v210, s19, v210
	v_lshlrev_b32_e32 v210, 2, v210
	v_and_b32_e32 v208, 0x3030303, v207
	v_bfe_u32 v207, v207, 24, 2
	v_and_b32_e32 v210, 0x4040404, v210
	v_sub_u16_e32 v213, v208, v210
	v_sub_u16_sdwa v214, v208, v210 dst_sel:BYTE_1 dst_unused:UNUSED_PAD src0_sel:BYTE_1 src1_sel:BYTE_1
	v_sub_u16_sdwa v207, v207, v210 dst_sel:BYTE_1 dst_unused:UNUSED_PAD src0_sel:DWORD src1_sel:BYTE_3
	v_sub_u16_sdwa v208, v208, v210 dst_sel:DWORD dst_unused:UNUSED_PAD src0_sel:WORD_1 src1_sel:WORD_1
	v_ashrrev_i32_e32 v210, s19, v211
	v_or_b32_sdwa v207, v208, v207 dst_sel:WORD_1 dst_unused:UNUSED_PAD src0_sel:BYTE_0 src1_sel:DWORD
	v_ashrrev_i32_e32 v208, s23, v209
	v_lshlrev_b32_e32 v210, 2, v210
	v_or_b32_sdwa v213, v213, v214 dst_sel:DWORD dst_unused:UNUSED_PAD src0_sel:BYTE_0 src1_sel:DWORD
	v_and_b32_e32 v209, 0x3030303, v208
	v_bfe_u32 v208, v208, 24, 2
	v_and_b32_e32 v210, 0x4040404, v210
	v_or_b32_sdwa v207, v213, v207 dst_sel:DWORD dst_unused:UNUSED_PAD src0_sel:WORD_0 src1_sel:DWORD
	v_sub_u16_e32 v211, v209, v210
	v_sub_u16_sdwa v213, v209, v210 dst_sel:BYTE_1 dst_unused:UNUSED_PAD src0_sel:BYTE_1 src1_sel:BYTE_1
	v_sub_u16_sdwa v208, v208, v210 dst_sel:BYTE_1 dst_unused:UNUSED_PAD src0_sel:DWORD src1_sel:BYTE_3
	v_sub_u16_sdwa v209, v209, v210 dst_sel:DWORD dst_unused:UNUSED_PAD src0_sel:WORD_1 src1_sel:WORD_1
	v_or_b32_sdwa v211, v211, v213 dst_sel:DWORD dst_unused:UNUSED_PAD src0_sel:BYTE_0 src1_sel:DWORD
	v_or_b32_sdwa v208, v209, v208 dst_sel:WORD_1 dst_unused:UNUSED_PAD src0_sel:BYTE_0 src1_sel:DWORD
	s_nop 0
	v_or_b32_sdwa v209, v211, v208 dst_sel:DWORD dst_unused:UNUSED_PAD src0_sel:WORD_0 src1_sel:DWORD
	ds_read2_b32 v[210:211], v119 offset0:6 offset1:7
	s_waitcnt lgkmcnt(0)
	v_ashrrev_i32_e32 v119, s23, v210
	v_add_u32_e32 v210, 0x4218, v212
	ds_read2_b32 v[212:213], v210 offset1:1
	v_and_b32_e32 v208, 0x3030303, v119
	v_bfe_u32 v119, v119, 24, 2
	s_waitcnt lgkmcnt(0)
	v_ashrrev_i32_e32 v210, s19, v212
	v_lshlrev_b32_e32 v210, 2, v210
	v_and_b32_e32 v210, 0x4040404, v210
	v_sub_u16_e32 v212, v208, v210
	v_sub_u16_sdwa v214, v208, v210 dst_sel:BYTE_1 dst_unused:UNUSED_PAD src0_sel:BYTE_1 src1_sel:BYTE_1
	v_sub_u16_sdwa v119, v119, v210 dst_sel:BYTE_1 dst_unused:UNUSED_PAD src0_sel:DWORD src1_sel:BYTE_3
	v_sub_u16_sdwa v208, v208, v210 dst_sel:DWORD dst_unused:UNUSED_PAD src0_sel:WORD_1 src1_sel:WORD_1
	v_or_b32_sdwa v212, v212, v214 dst_sel:DWORD dst_unused:UNUSED_PAD src0_sel:BYTE_0 src1_sel:DWORD
	v_or_b32_sdwa v119, v208, v119 dst_sel:WORD_1 dst_unused:UNUSED_PAD src0_sel:BYTE_0 src1_sel:DWORD
	s_nop 0
	v_or_b32_sdwa v210, v212, v119 dst_sel:DWORD dst_unused:UNUSED_PAD src0_sel:WORD_0 src1_sel:DWORD
	v_ashrrev_i32_e32 v119, s23, v211
	v_ashrrev_i32_e32 v211, s19, v213
	v_lshlrev_b32_e32 v211, 2, v211
	v_and_b32_e32 v208, 0x3030303, v119
	v_bfe_u32 v119, v119, 24, 2
	v_and_b32_e32 v211, 0x4040404, v211
	v_sub_u16_e32 v212, v208, v211
	v_sub_u16_sdwa v213, v208, v211 dst_sel:BYTE_1 dst_unused:UNUSED_PAD src0_sel:BYTE_1 src1_sel:BYTE_1
	v_sub_u16_sdwa v119, v119, v211 dst_sel:BYTE_1 dst_unused:UNUSED_PAD src0_sel:DWORD src1_sel:BYTE_3
	v_sub_u16_sdwa v208, v208, v211 dst_sel:DWORD dst_unused:UNUSED_PAD src0_sel:WORD_1 src1_sel:WORD_1
	v_or_b32_sdwa v212, v212, v213 dst_sel:DWORD dst_unused:UNUSED_PAD src0_sel:BYTE_0 src1_sel:DWORD
	v_or_b32_sdwa v119, v208, v119 dst_sel:WORD_1 dst_unused:UNUSED_PAD src0_sel:BYTE_0 src1_sel:DWORD
	s_add_i32 s19, s19, 1
	v_or_b32_sdwa v211, v212, v119 dst_sel:DWORD dst_unused:UNUSED_PAD src0_sel:WORD_0 src1_sel:DWORD
	v_add_u32_e32 v119, s26, v139
	ds_read_b32 v208, v119
	v_mov_b32_e32 v119, 0
	v_dot4c_i32_i8_e32 v119, v202, v4
	ds_read_u16 v4, v118 offset:11266
	v_dot4c_i32_i8_e32 v119, v204, v5
	v_dot4c_i32_i8_e32 v119, v205, v6
	v_mov_b32_e32 v6, 0
	v_dot4c_i32_i8_e32 v6, v207, v0
	v_dot4c_i32_i8_e32 v6, v209, v1
	;; [unrolled: 1-line block ×3, first 2 shown]
	s_waitcnt lgkmcnt(0)
	v_lshrrev_b16_e32 v5, 8, v4
	v_bfe_i32 v212, v4, 0, 8
	v_dot4c_i32_i8_e32 v6, v210, v2
	v_mul_lo_u32 v4, v119, v212
	v_dot4c_i32_i8_e32 v6, v211, v3
	v_bfe_i32 v213, v5, 0, 8
	v_mov_b32_e32 v118, 0
	s_cmp_lt_u32 s21, 14
	v_mad_u64_u32 v[0:1], s[22:23], v6, v213, v[4:5]
	v_cvt_f32_i32_e32 v0, v0
	v_mul_f32_e32 v1, v116, v208
	v_mov_b32_e32 v116, 0
	v_fmac_f32_e32 v81, v1, v0
	ds_read_b128 v[0:3], v168 offset:26368
	ds_read_b128 v[4:7], v168 offset:26384
	s_waitcnt lgkmcnt(1)
	v_dot4c_i32_i8_e32 v116, v170, v0
	v_dot4c_i32_i8_e32 v116, v171, v1
	s_waitcnt lgkmcnt(0)
	v_dot4c_i32_i8_e32 v118, v175, v4
	v_dot4c_i32_i8_e32 v116, v172, v2
	;; [unrolled: 1-line block ×6, first 2 shown]
	s_nop 0
	v_mul_lo_u32 v116, v116, v179
	s_nop 0
	v_mad_u64_u32 v[118:119], s[22:23], v118, v181, v[116:117]
	v_cvt_f32_i32_e32 v118, v118
	v_mul_f32_e32 v116, v174, v117
	v_fmac_f32_e32 v73, v116, v118
	v_mov_b32_e32 v116, 0
	v_dot4c_i32_i8_e32 v116, v180, v0
	v_mov_b32_e32 v118, 0
	v_dot4c_i32_i8_e32 v116, v182, v1
	v_dot4c_i32_i8_e32 v118, v185, v4
	;; [unrolled: 1-line block ×7, first 2 shown]
	s_nop 0
	v_mul_lo_u32 v116, v116, v190
	s_nop 0
	v_mad_u64_u32 v[118:119], s[22:23], v118, v192, v[116:117]
	v_cvt_f32_i32_e32 v118, v118
	v_mul_f32_e32 v116, v186, v117
	v_fmac_f32_e32 v71, v116, v118
	v_mov_b32_e32 v116, 0
	v_dot4c_i32_i8_e32 v116, v191, v0
	v_mov_b32_e32 v118, 0
	v_dot4c_i32_i8_e32 v116, v193, v1
	v_dot4c_i32_i8_e32 v118, v196, v4
	;; [unrolled: 1-line block ×7, first 2 shown]
	s_nop 0
	v_mul_lo_u32 v116, v116, v201
	s_nop 0
	v_mad_u64_u32 v[118:119], s[22:23], v118, v203, v[116:117]
	v_cvt_f32_i32_e32 v118, v118
	v_mul_f32_e32 v116, v197, v117
	v_fmac_f32_e32 v69, v116, v118
	v_mov_b32_e32 v116, 0
	v_dot4c_i32_i8_e32 v116, v202, v0
	v_dot4c_i32_i8_e32 v116, v204, v1
	v_mov_b32_e32 v1, 0
	v_dot4c_i32_i8_e32 v1, v207, v4
	v_dot4c_i32_i8_e32 v116, v205, v2
	;; [unrolled: 1-line block ×6, first 2 shown]
	s_nop 0
	v_mul_lo_u32 v0, v116, v212
	s_nop 0
	v_mad_u64_u32 v[0:1], s[22:23], v1, v213, v[0:1]
	v_cvt_f32_i32_e32 v0, v0
	v_mul_f32_e32 v1, v208, v117
	v_fmac_f32_e32 v67, v1, v0
	v_add_u32_e32 v0, 0x9800, v169
	ds_read2_b32 v[6:7], v0 offset0:40 offset1:72
	ds_read_b128 v[2:5], v168 offset:27392
	ds_read_b128 v[116:119], v168 offset:27408
	v_mov_b32_e32 v1, 0
	v_add_u32_e32 v169, 4, v169
	s_waitcnt lgkmcnt(1)
	v_dot4c_i32_i8_e32 v1, v170, v2
	v_dot4c_i32_i8_e32 v1, v171, v3
	;; [unrolled: 1-line block ×4, first 2 shown]
	s_nop 2
	v_mul_lo_u32 v214, v1, v179
	v_mov_b32_e32 v1, 0
	s_waitcnt lgkmcnt(0)
	v_dot4c_i32_i8_e32 v1, v175, v116
	v_dot4c_i32_i8_e32 v1, v176, v117
	v_dot4c_i32_i8_e32 v1, v177, v118
	v_dot4c_i32_i8_e32 v1, v178, v119
	s_nop 2
	v_mad_u64_u32 v[214:215], s[22:23], v1, v181, v[214:215]
	v_cvt_f32_i32_e32 v214, v214
	v_mul_f32_e32 v1, v174, v6
                                        ; kill: def $vgpr215 killed $sgpr0 killed $exec
	v_fmac_f32_e32 v61, v1, v214
	v_mov_b32_e32 v1, 0
	v_dot4c_i32_i8_e32 v1, v180, v2
	v_dot4c_i32_i8_e32 v1, v182, v3
	;; [unrolled: 1-line block ×4, first 2 shown]
	s_nop 2
	v_mul_lo_u32 v214, v1, v190
	v_mov_b32_e32 v1, 0
	v_dot4c_i32_i8_e32 v1, v185, v116
	v_dot4c_i32_i8_e32 v1, v187, v117
	;; [unrolled: 1-line block ×4, first 2 shown]
	s_nop 2
	v_mad_u64_u32 v[214:215], s[22:23], v1, v192, v[214:215]
	v_cvt_f32_i32_e32 v214, v214
	v_mul_f32_e32 v1, v186, v6
                                        ; kill: def $vgpr215 killed $sgpr0 killed $exec
	v_fmac_f32_e32 v59, v1, v214
	v_mov_b32_e32 v1, 0
	v_dot4c_i32_i8_e32 v1, v191, v2
	v_dot4c_i32_i8_e32 v1, v193, v3
	;; [unrolled: 1-line block ×4, first 2 shown]
	s_nop 2
	v_mul_lo_u32 v214, v1, v201
	v_mov_b32_e32 v1, 0
	v_dot4c_i32_i8_e32 v1, v196, v116
	v_dot4c_i32_i8_e32 v1, v198, v117
	;; [unrolled: 1-line block ×4, first 2 shown]
	s_nop 2
	v_mad_u64_u32 v[214:215], s[22:23], v1, v203, v[214:215]
	v_cvt_f32_i32_e32 v214, v214
	v_mul_f32_e32 v1, v197, v6
	v_fmac_f32_e32 v57, v1, v214
	v_mov_b32_e32 v1, 0
	v_dot4c_i32_i8_e32 v1, v202, v2
	v_dot4c_i32_i8_e32 v1, v204, v3
	;; [unrolled: 1-line block ×4, first 2 shown]
                                        ; kill: def $vgpr3 killed $sgpr0 killed $exec
	s_nop 2
	v_mul_lo_u32 v2, v1, v212
	v_mov_b32_e32 v1, 0
	v_dot4c_i32_i8_e32 v1, v207, v116
	v_dot4c_i32_i8_e32 v1, v209, v117
	;; [unrolled: 1-line block ×4, first 2 shown]
	s_nop 2
	v_mad_u64_u32 v[2:3], s[22:23], v1, v213, v[2:3]
	v_cvt_f32_i32_e32 v2, v2
	v_mul_f32_e32 v1, v208, v6
	v_fmac_f32_e32 v55, v1, v2
	ds_read_b128 v[2:5], v168 offset:28416
	ds_read_b128 v[116:119], v168 offset:28432
	v_mov_b32_e32 v1, 0
	s_waitcnt lgkmcnt(1)
	v_dot4c_i32_i8_e32 v1, v170, v2
	v_dot4c_i32_i8_e32 v1, v171, v3
	;; [unrolled: 1-line block ×4, first 2 shown]
	s_nop 2
	v_mul_lo_u32 v6, v1, v179
	v_mov_b32_e32 v1, 0
	s_waitcnt lgkmcnt(0)
	v_dot4c_i32_i8_e32 v1, v175, v116
	v_dot4c_i32_i8_e32 v1, v176, v117
	;; [unrolled: 1-line block ×4, first 2 shown]
	s_nop 2
	v_mad_u64_u32 v[214:215], s[22:23], v1, v181, v[6:7]
	v_cvt_f32_i32_e32 v6, v214
	v_mul_f32_e32 v1, v174, v7
	v_fmac_f32_e32 v53, v1, v6
	v_mov_b32_e32 v1, 0
	v_dot4c_i32_i8_e32 v1, v180, v2
	v_dot4c_i32_i8_e32 v1, v182, v3
	;; [unrolled: 1-line block ×4, first 2 shown]
	s_nop 2
	v_mul_lo_u32 v6, v1, v190
	v_mov_b32_e32 v1, 0
	v_dot4c_i32_i8_e32 v1, v185, v116
	v_dot4c_i32_i8_e32 v1, v187, v117
	;; [unrolled: 1-line block ×4, first 2 shown]
	s_nop 2
	v_mad_u64_u32 v[214:215], s[22:23], v1, v192, v[6:7]
	v_cvt_f32_i32_e32 v6, v214
	v_mul_f32_e32 v1, v186, v7
	v_fmac_f32_e32 v51, v1, v6
	v_mov_b32_e32 v1, 0
	v_dot4c_i32_i8_e32 v1, v191, v2
	v_dot4c_i32_i8_e32 v1, v193, v3
	;; [unrolled: 1-line block ×4, first 2 shown]
	s_nop 2
	v_mul_lo_u32 v6, v1, v201
	v_mov_b32_e32 v1, 0
	v_dot4c_i32_i8_e32 v1, v196, v116
	v_dot4c_i32_i8_e32 v1, v198, v117
	;; [unrolled: 1-line block ×4, first 2 shown]
	s_nop 2
	v_mad_u64_u32 v[214:215], s[22:23], v1, v203, v[6:7]
	v_cvt_f32_i32_e32 v6, v214
	v_mul_f32_e32 v1, v197, v7
                                        ; kill: def $vgpr215 killed $sgpr0 killed $exec
	v_fmac_f32_e32 v49, v1, v6
	v_mov_b32_e32 v1, 0
	v_dot4c_i32_i8_e32 v1, v202, v2
	v_dot4c_i32_i8_e32 v1, v204, v3
	;; [unrolled: 1-line block ×4, first 2 shown]
                                        ; kill: def $vgpr3 killed $sgpr0 killed $exec
	s_nop 2
	v_mul_lo_u32 v2, v1, v212
	v_mov_b32_e32 v1, 0
	v_dot4c_i32_i8_e32 v1, v207, v116
	v_dot4c_i32_i8_e32 v1, v209, v117
	;; [unrolled: 1-line block ×4, first 2 shown]
	s_nop 2
	v_mad_u64_u32 v[2:3], s[22:23], v1, v213, v[2:3]
	v_cvt_f32_i32_e32 v2, v2
	v_mul_f32_e32 v1, v208, v7
	v_fmac_f32_e32 v47, v1, v2
	ds_read2_b32 v[6:7], v0 offset0:104 offset1:136
	ds_read_b128 v[2:5], v168 offset:29440
	ds_read_b128 v[116:119], v168 offset:29456
	v_mov_b32_e32 v1, 0
	s_waitcnt lgkmcnt(1)
	v_dot4c_i32_i8_e32 v1, v170, v2
	v_dot4c_i32_i8_e32 v1, v171, v3
	;; [unrolled: 1-line block ×4, first 2 shown]
	s_nop 2
	v_mul_lo_u32 v214, v1, v179
	v_mov_b32_e32 v1, 0
	s_waitcnt lgkmcnt(0)
	v_dot4c_i32_i8_e32 v1, v175, v116
	v_dot4c_i32_i8_e32 v1, v176, v117
	;; [unrolled: 1-line block ×4, first 2 shown]
	s_nop 2
	v_mad_u64_u32 v[214:215], s[22:23], v1, v181, v[214:215]
	v_cvt_f32_i32_e32 v214, v214
	v_mul_f32_e32 v1, v174, v6
                                        ; kill: def $vgpr215 killed $sgpr0 killed $exec
	v_fmac_f32_e32 v43, v1, v214
	v_mov_b32_e32 v1, 0
	v_dot4c_i32_i8_e32 v1, v180, v2
	v_dot4c_i32_i8_e32 v1, v182, v3
	;; [unrolled: 1-line block ×4, first 2 shown]
	s_nop 2
	v_mul_lo_u32 v214, v1, v190
	v_mov_b32_e32 v1, 0
	v_dot4c_i32_i8_e32 v1, v185, v116
	v_dot4c_i32_i8_e32 v1, v187, v117
	;; [unrolled: 1-line block ×4, first 2 shown]
	s_nop 2
	v_mad_u64_u32 v[214:215], s[22:23], v1, v192, v[214:215]
	v_cvt_f32_i32_e32 v214, v214
	v_mul_f32_e32 v1, v186, v6
                                        ; kill: def $vgpr215 killed $sgpr0 killed $exec
	v_fmac_f32_e32 v39, v1, v214
	v_mov_b32_e32 v1, 0
	v_dot4c_i32_i8_e32 v1, v191, v2
	v_dot4c_i32_i8_e32 v1, v193, v3
	;; [unrolled: 1-line block ×4, first 2 shown]
	s_nop 2
	v_mul_lo_u32 v214, v1, v201
	v_mov_b32_e32 v1, 0
	v_dot4c_i32_i8_e32 v1, v196, v116
	v_dot4c_i32_i8_e32 v1, v198, v117
	;; [unrolled: 1-line block ×4, first 2 shown]
	s_nop 2
	v_mad_u64_u32 v[214:215], s[22:23], v1, v203, v[214:215]
	v_cvt_f32_i32_e32 v214, v214
	v_mul_f32_e32 v1, v197, v6
	v_fmac_f32_e32 v37, v1, v214
	v_mov_b32_e32 v1, 0
	v_dot4c_i32_i8_e32 v1, v202, v2
	v_dot4c_i32_i8_e32 v1, v204, v3
	;; [unrolled: 1-line block ×4, first 2 shown]
                                        ; kill: def $vgpr3 killed $sgpr0 killed $exec
	s_nop 2
	v_mul_lo_u32 v2, v1, v212
	v_mov_b32_e32 v1, 0
	v_dot4c_i32_i8_e32 v1, v207, v116
	v_dot4c_i32_i8_e32 v1, v209, v117
	;; [unrolled: 1-line block ×4, first 2 shown]
	s_nop 2
	v_mad_u64_u32 v[2:3], s[22:23], v1, v213, v[2:3]
	v_cvt_f32_i32_e32 v2, v2
	v_mul_f32_e32 v1, v208, v6
	v_fmac_f32_e32 v35, v1, v2
	ds_read_b128 v[2:5], v168 offset:30464
	ds_read_b128 v[116:119], v168 offset:30480
	v_mov_b32_e32 v1, 0
	s_waitcnt lgkmcnt(1)
	v_dot4c_i32_i8_e32 v1, v170, v2
	v_dot4c_i32_i8_e32 v1, v171, v3
	;; [unrolled: 1-line block ×4, first 2 shown]
	s_nop 2
	v_mul_lo_u32 v6, v1, v179
	v_mov_b32_e32 v1, 0
	s_waitcnt lgkmcnt(0)
	v_dot4c_i32_i8_e32 v1, v175, v116
	v_dot4c_i32_i8_e32 v1, v176, v117
	;; [unrolled: 1-line block ×4, first 2 shown]
	s_nop 2
	v_mad_u64_u32 v[214:215], s[22:23], v1, v181, v[6:7]
	v_cvt_f32_i32_e32 v6, v214
	v_mul_f32_e32 v1, v174, v7
	v_fmac_f32_e32 v33, v1, v6
	v_mov_b32_e32 v1, 0
	v_dot4c_i32_i8_e32 v1, v180, v2
	v_dot4c_i32_i8_e32 v1, v182, v3
	;; [unrolled: 1-line block ×4, first 2 shown]
	s_nop 2
	v_mul_lo_u32 v6, v1, v190
	v_mov_b32_e32 v1, 0
	v_dot4c_i32_i8_e32 v1, v185, v116
	v_dot4c_i32_i8_e32 v1, v187, v117
	;; [unrolled: 1-line block ×4, first 2 shown]
	s_nop 2
	v_mad_u64_u32 v[214:215], s[22:23], v1, v192, v[6:7]
	v_cvt_f32_i32_e32 v6, v214
	v_mul_f32_e32 v1, v186, v7
	v_fmac_f32_e32 v31, v1, v6
	v_mov_b32_e32 v1, 0
	v_dot4c_i32_i8_e32 v1, v191, v2
	v_dot4c_i32_i8_e32 v1, v193, v3
	;; [unrolled: 1-line block ×4, first 2 shown]
	s_nop 2
	v_mul_lo_u32 v6, v1, v201
	v_mov_b32_e32 v1, 0
	v_dot4c_i32_i8_e32 v1, v196, v116
	v_dot4c_i32_i8_e32 v1, v198, v117
	;; [unrolled: 1-line block ×4, first 2 shown]
	s_nop 2
	v_mad_u64_u32 v[214:215], s[22:23], v1, v203, v[6:7]
	v_cvt_f32_i32_e32 v6, v214
	v_mul_f32_e32 v1, v197, v7
	v_fmac_f32_e32 v29, v1, v6
	v_mov_b32_e32 v1, 0
	v_dot4c_i32_i8_e32 v1, v202, v2
	v_dot4c_i32_i8_e32 v1, v204, v3
	;; [unrolled: 1-line block ×4, first 2 shown]
                                        ; kill: def $vgpr3 killed $sgpr0 killed $exec
	s_nop 2
	v_mul_lo_u32 v2, v1, v212
	v_mov_b32_e32 v1, 0
	v_dot4c_i32_i8_e32 v1, v207, v116
	v_dot4c_i32_i8_e32 v1, v209, v117
	;; [unrolled: 1-line block ×4, first 2 shown]
	v_mov_b32_e32 v118, 0
	v_mov_b32_e32 v119, 0
	s_nop 0
	v_mad_u64_u32 v[2:3], s[22:23], v1, v213, v[2:3]
	v_cvt_f32_i32_e32 v2, v2
	v_mul_f32_e32 v1, v208, v7
	v_fmac_f32_e32 v27, v1, v2
	ds_read2_b32 v[116:117], v0 offset0:168 offset1:200
	ds_read_b128 v[4:7], v168 offset:31488
	ds_read_b128 v[0:3], v168 offset:31504
	s_waitcnt lgkmcnt(1)
	v_dot4c_i32_i8_e32 v118, v170, v4
	v_dot4c_i32_i8_e32 v118, v171, v5
	s_waitcnt lgkmcnt(0)
	v_dot4c_i32_i8_e32 v119, v175, v0
	v_dot4c_i32_i8_e32 v118, v172, v6
	;; [unrolled: 1-line block ×6, first 2 shown]
	s_nop 0
	v_mul_lo_u32 v118, v118, v179
	s_nop 0
	v_mad_u64_u32 v[118:119], s[22:23], v119, v181, v[118:119]
	v_cvt_f32_i32_e32 v118, v118
	v_mul_f32_e32 v119, v174, v116
	v_fmac_f32_e32 v25, v119, v118
	v_mov_b32_e32 v118, 0
	v_dot4c_i32_i8_e32 v118, v180, v4
	v_mov_b32_e32 v119, 0
	v_dot4c_i32_i8_e32 v118, v182, v5
	v_dot4c_i32_i8_e32 v119, v185, v0
	;; [unrolled: 1-line block ×7, first 2 shown]
	s_nop 0
	v_mul_lo_u32 v118, v118, v190
	s_nop 0
	v_mad_u64_u32 v[118:119], s[22:23], v119, v192, v[118:119]
	v_cvt_f32_i32_e32 v118, v118
	v_mul_f32_e32 v119, v186, v116
	v_fmac_f32_e32 v23, v119, v118
	v_mov_b32_e32 v118, 0
	v_dot4c_i32_i8_e32 v118, v191, v4
	v_mov_b32_e32 v119, 0
	v_dot4c_i32_i8_e32 v118, v193, v5
	v_dot4c_i32_i8_e32 v119, v196, v0
	;; [unrolled: 1-line block ×7, first 2 shown]
	s_nop 0
	v_mul_lo_u32 v118, v118, v201
	s_nop 0
	v_mad_u64_u32 v[118:119], s[22:23], v119, v203, v[118:119]
	v_cvt_f32_i32_e32 v118, v118
	v_mul_f32_e32 v119, v197, v116
	v_fmac_f32_e32 v21, v119, v118
	v_mov_b32_e32 v118, 0
	v_dot4c_i32_i8_e32 v118, v202, v4
	v_dot4c_i32_i8_e32 v118, v204, v5
	v_mov_b32_e32 v5, 0
	v_dot4c_i32_i8_e32 v5, v207, v0
	v_dot4c_i32_i8_e32 v118, v205, v6
	;; [unrolled: 1-line block ×6, first 2 shown]
	s_nop 0
	v_mul_lo_u32 v4, v118, v212
	v_mov_b32_e32 v118, 0
	v_mad_u64_u32 v[0:1], s[22:23], v5, v213, v[4:5]
	v_cvt_f32_i32_e32 v0, v0
	v_mul_f32_e32 v1, v208, v116
	v_mov_b32_e32 v116, 0
	v_fmac_f32_e32 v19, v1, v0
	ds_read_b128 v[0:3], v168 offset:32512
	ds_read_b128 v[4:7], v168 offset:32528
	v_add_u32_e32 v168, 32, v168
	s_waitcnt lgkmcnt(1)
	v_dot4c_i32_i8_e32 v116, v170, v0
	v_dot4c_i32_i8_e32 v116, v171, v1
	s_waitcnt lgkmcnt(0)
	v_dot4c_i32_i8_e32 v118, v175, v4
	v_dot4c_i32_i8_e32 v116, v172, v2
	;; [unrolled: 1-line block ×6, first 2 shown]
	s_nop 0
	v_mul_lo_u32 v116, v116, v179
	s_nop 0
	v_mad_u64_u32 v[118:119], s[22:23], v118, v181, v[116:117]
	v_cvt_f32_i32_e32 v118, v118
	v_mul_f32_e32 v116, v174, v117
	v_fmac_f32_e32 v17, v116, v118
	v_mov_b32_e32 v116, 0
	v_dot4c_i32_i8_e32 v116, v180, v0
	v_mov_b32_e32 v118, 0
	v_dot4c_i32_i8_e32 v116, v182, v1
	v_dot4c_i32_i8_e32 v118, v185, v4
	v_dot4c_i32_i8_e32 v116, v183, v2
	v_dot4c_i32_i8_e32 v118, v187, v5
	v_dot4c_i32_i8_e32 v116, v184, v3
	v_dot4c_i32_i8_e32 v118, v188, v6
	v_dot4c_i32_i8_e32 v118, v189, v7
	s_nop 0
	v_mul_lo_u32 v116, v116, v190
	s_nop 0
	v_mad_u64_u32 v[118:119], s[22:23], v118, v192, v[116:117]
	v_cvt_f32_i32_e32 v118, v118
	v_mul_f32_e32 v116, v186, v117
	v_fmac_f32_e32 v15, v116, v118
	v_mov_b32_e32 v116, 0
	v_dot4c_i32_i8_e32 v116, v191, v0
	v_mov_b32_e32 v118, 0
	v_dot4c_i32_i8_e32 v116, v193, v1
	v_dot4c_i32_i8_e32 v118, v196, v4
	;; [unrolled: 1-line block ×7, first 2 shown]
	s_nop 0
	v_mul_lo_u32 v116, v116, v201
	s_nop 0
	v_mad_u64_u32 v[118:119], s[22:23], v118, v203, v[116:117]
	v_cvt_f32_i32_e32 v118, v118
	v_mul_f32_e32 v116, v197, v117
	v_fmac_f32_e32 v13, v116, v118
	v_mov_b32_e32 v116, 0
	v_dot4c_i32_i8_e32 v116, v202, v0
	v_dot4c_i32_i8_e32 v116, v204, v1
	v_mov_b32_e32 v1, 0
	v_dot4c_i32_i8_e32 v1, v207, v4
	v_dot4c_i32_i8_e32 v116, v205, v2
	;; [unrolled: 1-line block ×6, first 2 shown]
	s_nop 0
	v_mul_lo_u32 v0, v116, v212
	s_nop 0
	v_mad_u64_u32 v[0:1], s[22:23], v1, v213, v[0:1]
	v_cvt_f32_i32_e32 v0, v0
	v_mul_f32_e32 v1, v208, v117
	s_mov_b32 s22, s21
	v_fmac_f32_e32 v9, v1, v0
	s_cbranch_scc1 .LBB170_9
; %bb.10:                               ;   in Loop: Header=BB170_6 Depth=1
	s_or_b32 s19, s9, 1
	s_cmp_ge_i32 s19, s4
	s_barrier
	s_cbranch_scc1 .LBB170_5
; %bb.11:                               ;   in Loop: Header=BB170_6 Depth=1
	v_add_u32_e32 v170, s18, v141
	v_add_u32_e32 v0, v170, v91
	v_add_u32_e32 v2, v170, v97
	v_add_u32_e32 v4, v170, v105
	v_add_u32_e32 v6, v170, v109
	v_add_u32_e32 v172, 8, v167
	v_mad_i64_i32 v[0:1], s[20:21], v0, 36, v[112:113]
	v_mad_i64_i32 v[2:3], s[20:21], v2, 36, v[112:113]
	;; [unrolled: 1-line block ×4, first 2 shown]
	v_add_u32_e32 v116, v170, v115
	v_add_u32_e32 v118, v170, v121
	;; [unrolled: 1-line block ×4, first 2 shown]
	v_mad_u64_u32 v[172:173], s[20:21], v172, 36, s[2:3]
	v_mad_i64_i32 v[116:117], s[20:21], v116, 36, v[112:113]
	v_mad_i64_i32 v[118:119], s[20:21], v118, 36, v[112:113]
	;; [unrolled: 1-line block ×4, first 2 shown]
	global_load_dword v172, v[172:173], off
	s_nop 0
	global_load_dword v0, v[0:1], off offset:4
	s_nop 0
	global_load_dword v1, v[2:3], off offset:4
	;; [unrolled: 2-line block ×3, first 2 shown]
	global_load_dword v3, v[6:7], off offset:4
	s_nop 0
	global_load_dword v4, v[116:117], off offset:4
	global_load_dword v5, v[118:119], off offset:4
	;; [unrolled: 1-line block ×4, first 2 shown]
	s_mov_b32 s19, 16
	s_mov_b32 s22, 14
	;; [unrolled: 1-line block ×3, first 2 shown]
	v_mov_b32_e32 v168, v152
	v_mov_b32_e32 v169, v151
	s_waitcnt vmcnt(8)
	v_cvt_f32_f16_e32 v116, v172
	s_waitcnt vmcnt(7)
	ds_write_b32 v95, v0
	s_waitcnt vmcnt(6)
	ds_write_b32 v99, v1
	;; [unrolled: 2-line block ×8, first 2 shown]
	ds_write_b32 v89, v116
	s_waitcnt lgkmcnt(0)
	s_barrier
.LBB170_12:                             ;   Parent Loop BB170_6 Depth=1
                                        ; =>  This Inner Loop Header: Depth=2
	s_add_i32 s21, s22, 2
	s_lshr_b32 s26, s21, 4
	s_and_b32 s25, s21, 0x3ffffff8
	s_lshl_b32 s24, s26, 3
	s_lshl_b32 s25, s25, 2
	v_add_lshl_u32 v180, v128, s24, 2
	v_add_u32_e32 v119, s25, v129
	v_add_u32_e32 v172, 0x4200, v180
	ds_read2_b32 v[116:117], v169 offset1:32
	ds_read_b128 v[4:7], v168
	ds_read_b128 v[0:3], v168 offset:16
	ds_read2_b32 v[170:171], v119 offset1:1
	ds_read2_b32 v[172:173], v172 offset1:1
	s_and_b32 s23, s19, -16
	v_add_u32_e32 v118, s23, v127
	s_add_i32 s23, s22, -14
	s_waitcnt lgkmcnt(1)
	v_ashrrev_i32_e32 v170, s23, v170
	s_waitcnt lgkmcnt(0)
	v_ashrrev_i32_e32 v172, s20, v172
	v_lshlrev_b32_e32 v172, 2, v172
	v_and_b32_e32 v174, 0x3030303, v170
	v_bfe_u32 v170, v170, 24, 2
	v_and_b32_e32 v172, 0x4040404, v172
	v_ashrrev_i32_e32 v173, s20, v173
	v_sub_u16_e32 v175, v174, v172
	v_sub_u16_sdwa v176, v174, v172 dst_sel:BYTE_1 dst_unused:UNUSED_PAD src0_sel:BYTE_1 src1_sel:BYTE_1
	v_sub_u16_sdwa v170, v170, v172 dst_sel:BYTE_1 dst_unused:UNUSED_PAD src0_sel:DWORD src1_sel:BYTE_3
	v_sub_u16_sdwa v172, v174, v172 dst_sel:DWORD dst_unused:UNUSED_PAD src0_sel:WORD_1 src1_sel:WORD_1
	v_ashrrev_i32_e32 v171, s23, v171
	v_lshlrev_b32_e32 v173, 2, v173
	v_or_b32_sdwa v175, v175, v176 dst_sel:DWORD dst_unused:UNUSED_PAD src0_sel:BYTE_0 src1_sel:DWORD
	v_or_b32_sdwa v170, v172, v170 dst_sel:WORD_1 dst_unused:UNUSED_PAD src0_sel:BYTE_0 src1_sel:DWORD
	v_and_b32_e32 v172, 0x3030303, v171
	v_bfe_u32 v171, v171, 24, 2
	v_and_b32_e32 v173, 0x4040404, v173
	v_or_b32_sdwa v170, v175, v170 dst_sel:DWORD dst_unused:UNUSED_PAD src0_sel:WORD_0 src1_sel:DWORD
	v_sub_u16_e32 v174, v172, v173
	v_sub_u16_sdwa v175, v172, v173 dst_sel:BYTE_1 dst_unused:UNUSED_PAD src0_sel:BYTE_1 src1_sel:BYTE_1
	v_sub_u16_sdwa v171, v171, v173 dst_sel:BYTE_1 dst_unused:UNUSED_PAD src0_sel:DWORD src1_sel:BYTE_3
	v_sub_u16_sdwa v172, v172, v173 dst_sel:DWORD dst_unused:UNUSED_PAD src0_sel:WORD_1 src1_sel:WORD_1
	v_or_b32_sdwa v174, v174, v175 dst_sel:DWORD dst_unused:UNUSED_PAD src0_sel:BYTE_0 src1_sel:DWORD
	v_or_b32_sdwa v171, v172, v171 dst_sel:WORD_1 dst_unused:UNUSED_PAD src0_sel:BYTE_0 src1_sel:DWORD
	ds_read2_b32 v[172:173], v119 offset0:2 offset1:3
	v_or_b32_sdwa v171, v174, v171 dst_sel:DWORD dst_unused:UNUSED_PAD src0_sel:WORD_0 src1_sel:DWORD
	v_add_u32_e32 v174, 0x4208, v180
	ds_read2_b32 v[174:175], v174 offset1:1
	s_lshl_b32 s26, s26, 2
	s_waitcnt lgkmcnt(1)
	v_ashrrev_i32_e32 v172, s23, v172
	v_and_b32_e32 v176, 0x3030303, v172
	v_bfe_u32 v172, v172, 24, 2
	s_waitcnt lgkmcnt(0)
	v_ashrrev_i32_e32 v174, s20, v174
	v_lshlrev_b32_e32 v174, 2, v174
	v_and_b32_e32 v174, 0x4040404, v174
	v_ashrrev_i32_e32 v175, s20, v175
	v_sub_u16_e32 v177, v176, v174
	v_sub_u16_sdwa v178, v176, v174 dst_sel:BYTE_1 dst_unused:UNUSED_PAD src0_sel:BYTE_1 src1_sel:BYTE_1
	v_sub_u16_sdwa v172, v172, v174 dst_sel:BYTE_1 dst_unused:UNUSED_PAD src0_sel:DWORD src1_sel:BYTE_3
	v_sub_u16_sdwa v174, v176, v174 dst_sel:DWORD dst_unused:UNUSED_PAD src0_sel:WORD_1 src1_sel:WORD_1
	v_ashrrev_i32_e32 v173, s23, v173
	v_lshlrev_b32_e32 v175, 2, v175
	v_or_b32_sdwa v177, v177, v178 dst_sel:DWORD dst_unused:UNUSED_PAD src0_sel:BYTE_0 src1_sel:DWORD
	v_or_b32_sdwa v172, v174, v172 dst_sel:WORD_1 dst_unused:UNUSED_PAD src0_sel:BYTE_0 src1_sel:DWORD
	v_and_b32_e32 v174, 0x3030303, v173
	v_bfe_u32 v173, v173, 24, 2
	v_and_b32_e32 v175, 0x4040404, v175
	v_or_b32_sdwa v172, v177, v172 dst_sel:DWORD dst_unused:UNUSED_PAD src0_sel:WORD_0 src1_sel:DWORD
	v_sub_u16_e32 v176, v174, v175
	v_sub_u16_sdwa v177, v174, v175 dst_sel:BYTE_1 dst_unused:UNUSED_PAD src0_sel:BYTE_1 src1_sel:BYTE_1
	v_sub_u16_sdwa v173, v173, v175 dst_sel:BYTE_1 dst_unused:UNUSED_PAD src0_sel:DWORD src1_sel:BYTE_3
	v_sub_u16_sdwa v174, v174, v175 dst_sel:DWORD dst_unused:UNUSED_PAD src0_sel:WORD_1 src1_sel:WORD_1
	v_or_b32_sdwa v176, v176, v177 dst_sel:DWORD dst_unused:UNUSED_PAD src0_sel:BYTE_0 src1_sel:DWORD
	v_or_b32_sdwa v173, v174, v173 dst_sel:WORD_1 dst_unused:UNUSED_PAD src0_sel:BYTE_0 src1_sel:DWORD
	v_add_lshl_u32 v190, v131, s24, 2
	v_or_b32_sdwa v173, v176, v173 dst_sel:DWORD dst_unused:UNUSED_PAD src0_sel:WORD_0 src1_sel:DWORD
	ds_read2_b32 v[176:177], v119 offset0:4 offset1:5
	v_add_u32_e32 v184, 0x4200, v190
	v_add_lshl_u32 v212, v137, s24, 2
	v_add_lshl_u32 v202, v134, s24, 2
	v_add_u32_e32 v206, 0x4200, v212
	s_waitcnt lgkmcnt(0)
	v_ashrrev_i32_e32 v174, s23, v176
	v_add_u32_e32 v176, 0x4210, v180
	ds_read2_b32 v[178:179], v176 offset1:1
	v_and_b32_e32 v175, 0x3030303, v174
	v_bfe_u32 v174, v174, 24, 2
	s_add_i32 s19, s19, 2
	ds_read2_b32 v[184:185], v184 offset1:1
	s_waitcnt lgkmcnt(1)
	v_ashrrev_i32_e32 v176, s20, v178
	v_lshlrev_b32_e32 v176, 2, v176
	v_and_b32_e32 v176, 0x4040404, v176
	v_sub_u16_e32 v178, v175, v176
	v_sub_u16_sdwa v181, v175, v176 dst_sel:BYTE_1 dst_unused:UNUSED_PAD src0_sel:BYTE_1 src1_sel:BYTE_1
	v_sub_u16_sdwa v174, v174, v176 dst_sel:BYTE_1 dst_unused:UNUSED_PAD src0_sel:DWORD src1_sel:BYTE_3
	v_sub_u16_sdwa v175, v175, v176 dst_sel:DWORD dst_unused:UNUSED_PAD src0_sel:WORD_1 src1_sel:WORD_1
	v_or_b32_sdwa v178, v178, v181 dst_sel:DWORD dst_unused:UNUSED_PAD src0_sel:BYTE_0 src1_sel:DWORD
	v_or_b32_sdwa v174, v175, v174 dst_sel:WORD_1 dst_unused:UNUSED_PAD src0_sel:BYTE_0 src1_sel:DWORD
	s_waitcnt lgkmcnt(0)
	v_ashrrev_i32_e32 v184, s20, v184
	v_or_b32_sdwa v175, v178, v174 dst_sel:DWORD dst_unused:UNUSED_PAD src0_sel:WORD_0 src1_sel:DWORD
	v_ashrrev_i32_e32 v174, s23, v177
	v_ashrrev_i32_e32 v177, s20, v179
	v_lshlrev_b32_e32 v177, 2, v177
	v_and_b32_e32 v176, 0x3030303, v174
	v_bfe_u32 v174, v174, 24, 2
	v_and_b32_e32 v177, 0x4040404, v177
	v_sub_u16_e32 v178, v176, v177
	v_sub_u16_sdwa v179, v176, v177 dst_sel:BYTE_1 dst_unused:UNUSED_PAD src0_sel:BYTE_1 src1_sel:BYTE_1
	v_sub_u16_sdwa v174, v174, v177 dst_sel:BYTE_1 dst_unused:UNUSED_PAD src0_sel:DWORD src1_sel:BYTE_3
	v_sub_u16_sdwa v176, v176, v177 dst_sel:DWORD dst_unused:UNUSED_PAD src0_sel:WORD_1 src1_sel:WORD_1
	v_or_b32_sdwa v178, v178, v179 dst_sel:DWORD dst_unused:UNUSED_PAD src0_sel:BYTE_0 src1_sel:DWORD
	v_or_b32_sdwa v174, v176, v174 dst_sel:WORD_1 dst_unused:UNUSED_PAD src0_sel:BYTE_0 src1_sel:DWORD
	v_add_u32_e32 v177, 0x4218, v180
	v_or_b32_sdwa v176, v178, v174 dst_sel:DWORD dst_unused:UNUSED_PAD src0_sel:WORD_0 src1_sel:DWORD
	ds_read2_b32 v[178:179], v119 offset0:6 offset1:7
	ds_read2_b32 v[180:181], v177 offset1:1
	v_lshlrev_b32_e32 v184, 2, v184
	v_and_b32_e32 v184, 0x4040404, v184
	ds_read2_b32 v[206:207], v206 offset1:1
	s_waitcnt lgkmcnt(2)
	v_ashrrev_i32_e32 v119, s23, v178
	s_waitcnt lgkmcnt(1)
	v_ashrrev_i32_e32 v177, s20, v180
	v_lshlrev_b32_e32 v177, 2, v177
	v_and_b32_e32 v174, 0x3030303, v119
	v_bfe_u32 v119, v119, 24, 2
	v_and_b32_e32 v177, 0x4040404, v177
	v_sub_u16_e32 v178, v174, v177
	v_sub_u16_sdwa v180, v174, v177 dst_sel:BYTE_1 dst_unused:UNUSED_PAD src0_sel:BYTE_1 src1_sel:BYTE_1
	v_sub_u16_sdwa v119, v119, v177 dst_sel:BYTE_1 dst_unused:UNUSED_PAD src0_sel:DWORD src1_sel:BYTE_3
	v_sub_u16_sdwa v174, v174, v177 dst_sel:DWORD dst_unused:UNUSED_PAD src0_sel:WORD_1 src1_sel:WORD_1
	v_or_b32_sdwa v178, v178, v180 dst_sel:DWORD dst_unused:UNUSED_PAD src0_sel:BYTE_0 src1_sel:DWORD
	v_or_b32_sdwa v119, v174, v119 dst_sel:WORD_1 dst_unused:UNUSED_PAD src0_sel:BYTE_0 src1_sel:DWORD
	s_waitcnt lgkmcnt(0)
	v_ashrrev_i32_e32 v206, s20, v206
	v_or_b32_sdwa v177, v178, v119 dst_sel:DWORD dst_unused:UNUSED_PAD src0_sel:WORD_0 src1_sel:DWORD
	v_ashrrev_i32_e32 v178, s20, v181
	v_ashrrev_i32_e32 v119, s23, v179
	v_lshlrev_b32_e32 v178, 2, v178
	v_and_b32_e32 v174, 0x3030303, v119
	v_bfe_u32 v119, v119, 24, 2
	v_and_b32_e32 v178, 0x4040404, v178
	v_sub_u16_e32 v179, v174, v178
	v_sub_u16_sdwa v180, v174, v178 dst_sel:BYTE_1 dst_unused:UNUSED_PAD src0_sel:BYTE_1 src1_sel:BYTE_1
	v_sub_u16_sdwa v119, v119, v178 dst_sel:BYTE_1 dst_unused:UNUSED_PAD src0_sel:DWORD src1_sel:BYTE_3
	v_sub_u16_sdwa v174, v174, v178 dst_sel:DWORD dst_unused:UNUSED_PAD src0_sel:WORD_1 src1_sel:WORD_1
	v_or_b32_sdwa v179, v179, v180 dst_sel:DWORD dst_unused:UNUSED_PAD src0_sel:BYTE_0 src1_sel:DWORD
	v_or_b32_sdwa v119, v174, v119 dst_sel:WORD_1 dst_unused:UNUSED_PAD src0_sel:BYTE_0 src1_sel:DWORD
	v_add_u32_e32 v174, s26, v130
	v_or_b32_sdwa v178, v179, v119 dst_sel:DWORD dst_unused:UNUSED_PAD src0_sel:WORD_0 src1_sel:DWORD
	v_add3_u32 v119, v143, s22, v118
	ds_read_b32 v174, v174
	ds_read_u16 v119, v119 offset:33522
	v_mov_b32_e32 v180, 0
	v_dot4c_i32_i8_e32 v180, v170, v4
	v_dot4c_i32_i8_e32 v180, v171, v5
	;; [unrolled: 1-line block ×3, first 2 shown]
	s_waitcnt lgkmcnt(0)
	v_lshrrev_b16_e32 v181, 8, v119
	v_bfe_i32 v179, v119, 0, 8
	v_mov_b32_e32 v119, 0
	v_dot4c_i32_i8_e32 v119, v175, v0
	v_dot4c_i32_i8_e32 v119, v176, v1
	;; [unrolled: 1-line block ×5, first 2 shown]
	v_bfe_i32 v181, v181, 0, 8
	v_mul_lo_u32 v180, v180, v179
	v_lshlrev_b32_e32 v206, 2, v206
	v_mad_u64_u32 v[182:183], s[28:29], v119, v181, v[180:181]
	v_cvt_f32_i32_e32 v180, v182
	v_mul_f32_e32 v119, v116, v174
	v_and_b32_e32 v206, 0x4040404, v206
	v_fmac_f32_e32 v101, v119, v180
	v_add_u32_e32 v119, s25, v132
	ds_read2_b32 v[182:183], v119 offset1:1
	s_waitcnt lgkmcnt(0)
	v_ashrrev_i32_e32 v180, s23, v182
	v_and_b32_e32 v182, 0x3030303, v180
	v_bfe_u32 v180, v180, 24, 2
	v_sub_u16_e32 v186, v182, v184
	v_sub_u16_sdwa v187, v182, v184 dst_sel:BYTE_1 dst_unused:UNUSED_PAD src0_sel:BYTE_1 src1_sel:BYTE_1
	v_sub_u16_sdwa v180, v180, v184 dst_sel:BYTE_1 dst_unused:UNUSED_PAD src0_sel:DWORD src1_sel:BYTE_3
	v_sub_u16_sdwa v182, v182, v184 dst_sel:DWORD dst_unused:UNUSED_PAD src0_sel:WORD_1 src1_sel:WORD_1
	v_ashrrev_i32_e32 v184, s20, v185
	v_or_b32_sdwa v180, v182, v180 dst_sel:WORD_1 dst_unused:UNUSED_PAD src0_sel:BYTE_0 src1_sel:DWORD
	v_ashrrev_i32_e32 v182, s23, v183
	v_lshlrev_b32_e32 v184, 2, v184
	v_or_b32_sdwa v186, v186, v187 dst_sel:DWORD dst_unused:UNUSED_PAD src0_sel:BYTE_0 src1_sel:DWORD
	v_and_b32_e32 v183, 0x3030303, v182
	v_bfe_u32 v182, v182, 24, 2
	v_and_b32_e32 v184, 0x4040404, v184
	v_or_b32_sdwa v180, v186, v180 dst_sel:DWORD dst_unused:UNUSED_PAD src0_sel:WORD_0 src1_sel:DWORD
	v_sub_u16_e32 v185, v183, v184
	v_sub_u16_sdwa v186, v183, v184 dst_sel:BYTE_1 dst_unused:UNUSED_PAD src0_sel:BYTE_1 src1_sel:BYTE_1
	v_sub_u16_sdwa v182, v182, v184 dst_sel:BYTE_1 dst_unused:UNUSED_PAD src0_sel:DWORD src1_sel:BYTE_3
	v_sub_u16_sdwa v183, v183, v184 dst_sel:DWORD dst_unused:UNUSED_PAD src0_sel:WORD_1 src1_sel:WORD_1
	v_or_b32_sdwa v185, v185, v186 dst_sel:DWORD dst_unused:UNUSED_PAD src0_sel:BYTE_0 src1_sel:DWORD
	v_or_b32_sdwa v182, v183, v182 dst_sel:WORD_1 dst_unused:UNUSED_PAD src0_sel:BYTE_0 src1_sel:DWORD
	v_add_u32_e32 v186, 0x4208, v190
	v_or_b32_sdwa v182, v185, v182 dst_sel:DWORD dst_unused:UNUSED_PAD src0_sel:WORD_0 src1_sel:DWORD
	ds_read2_b32 v[184:185], v119 offset0:2 offset1:3
	ds_read2_b32 v[186:187], v186 offset1:1
	s_waitcnt lgkmcnt(1)
	v_ashrrev_i32_e32 v183, s23, v184
	s_waitcnt lgkmcnt(0)
	v_ashrrev_i32_e32 v186, s20, v186
	v_lshlrev_b32_e32 v186, 2, v186
	v_and_b32_e32 v184, 0x3030303, v183
	v_bfe_u32 v183, v183, 24, 2
	v_and_b32_e32 v186, 0x4040404, v186
	v_sub_u16_e32 v188, v184, v186
	v_sub_u16_sdwa v189, v184, v186 dst_sel:BYTE_1 dst_unused:UNUSED_PAD src0_sel:BYTE_1 src1_sel:BYTE_1
	v_sub_u16_sdwa v183, v183, v186 dst_sel:BYTE_1 dst_unused:UNUSED_PAD src0_sel:DWORD src1_sel:BYTE_3
	v_sub_u16_sdwa v184, v184, v186 dst_sel:DWORD dst_unused:UNUSED_PAD src0_sel:WORD_1 src1_sel:WORD_1
	v_ashrrev_i32_e32 v186, s20, v187
	v_or_b32_sdwa v183, v184, v183 dst_sel:WORD_1 dst_unused:UNUSED_PAD src0_sel:BYTE_0 src1_sel:DWORD
	v_ashrrev_i32_e32 v184, s23, v185
	v_lshlrev_b32_e32 v186, 2, v186
	v_or_b32_sdwa v188, v188, v189 dst_sel:DWORD dst_unused:UNUSED_PAD src0_sel:BYTE_0 src1_sel:DWORD
	v_and_b32_e32 v185, 0x3030303, v184
	v_bfe_u32 v184, v184, 24, 2
	v_and_b32_e32 v186, 0x4040404, v186
	v_or_b32_sdwa v183, v188, v183 dst_sel:DWORD dst_unused:UNUSED_PAD src0_sel:WORD_0 src1_sel:DWORD
	v_sub_u16_e32 v187, v185, v186
	v_sub_u16_sdwa v188, v185, v186 dst_sel:BYTE_1 dst_unused:UNUSED_PAD src0_sel:BYTE_1 src1_sel:BYTE_1
	v_sub_u16_sdwa v184, v184, v186 dst_sel:BYTE_1 dst_unused:UNUSED_PAD src0_sel:DWORD src1_sel:BYTE_3
	v_sub_u16_sdwa v185, v185, v186 dst_sel:DWORD dst_unused:UNUSED_PAD src0_sel:WORD_1 src1_sel:WORD_1
	v_or_b32_sdwa v187, v187, v188 dst_sel:DWORD dst_unused:UNUSED_PAD src0_sel:BYTE_0 src1_sel:DWORD
	v_or_b32_sdwa v184, v185, v184 dst_sel:WORD_1 dst_unused:UNUSED_PAD src0_sel:BYTE_0 src1_sel:DWORD
	v_add_u32_e32 v188, 0x4210, v190
	v_or_b32_sdwa v184, v187, v184 dst_sel:DWORD dst_unused:UNUSED_PAD src0_sel:WORD_0 src1_sel:DWORD
	ds_read2_b32 v[186:187], v119 offset0:4 offset1:5
	ds_read2_b32 v[188:189], v188 offset1:1
	s_waitcnt lgkmcnt(1)
	v_ashrrev_i32_e32 v185, s23, v186
	s_waitcnt lgkmcnt(0)
	v_ashrrev_i32_e32 v188, s20, v188
	v_lshlrev_b32_e32 v188, 2, v188
	v_and_b32_e32 v186, 0x3030303, v185
	v_bfe_u32 v185, v185, 24, 2
	v_and_b32_e32 v188, 0x4040404, v188
	v_sub_u16_e32 v191, v186, v188
	v_sub_u16_sdwa v192, v186, v188 dst_sel:BYTE_1 dst_unused:UNUSED_PAD src0_sel:BYTE_1 src1_sel:BYTE_1
	v_sub_u16_sdwa v185, v185, v188 dst_sel:BYTE_1 dst_unused:UNUSED_PAD src0_sel:DWORD src1_sel:BYTE_3
	v_sub_u16_sdwa v186, v186, v188 dst_sel:DWORD dst_unused:UNUSED_PAD src0_sel:WORD_1 src1_sel:WORD_1
	v_ashrrev_i32_e32 v188, s20, v189
	v_or_b32_sdwa v185, v186, v185 dst_sel:WORD_1 dst_unused:UNUSED_PAD src0_sel:BYTE_0 src1_sel:DWORD
	v_ashrrev_i32_e32 v186, s23, v187
	v_lshlrev_b32_e32 v188, 2, v188
	v_or_b32_sdwa v191, v191, v192 dst_sel:DWORD dst_unused:UNUSED_PAD src0_sel:BYTE_0 src1_sel:DWORD
	v_and_b32_e32 v187, 0x3030303, v186
	v_bfe_u32 v186, v186, 24, 2
	v_and_b32_e32 v188, 0x4040404, v188
	v_or_b32_sdwa v185, v191, v185 dst_sel:DWORD dst_unused:UNUSED_PAD src0_sel:WORD_0 src1_sel:DWORD
	v_sub_u16_e32 v189, v187, v188
	v_sub_u16_sdwa v191, v187, v188 dst_sel:BYTE_1 dst_unused:UNUSED_PAD src0_sel:BYTE_1 src1_sel:BYTE_1
	v_sub_u16_sdwa v186, v186, v188 dst_sel:BYTE_1 dst_unused:UNUSED_PAD src0_sel:DWORD src1_sel:BYTE_3
	v_sub_u16_sdwa v187, v187, v188 dst_sel:DWORD dst_unused:UNUSED_PAD src0_sel:WORD_1 src1_sel:WORD_1
	v_or_b32_sdwa v189, v189, v191 dst_sel:DWORD dst_unused:UNUSED_PAD src0_sel:BYTE_0 src1_sel:DWORD
	v_or_b32_sdwa v186, v187, v186 dst_sel:WORD_1 dst_unused:UNUSED_PAD src0_sel:BYTE_0 src1_sel:DWORD
	s_nop 0
	v_or_b32_sdwa v187, v189, v186 dst_sel:DWORD dst_unused:UNUSED_PAD src0_sel:WORD_0 src1_sel:DWORD
	ds_read2_b32 v[188:189], v119 offset0:6 offset1:7
	s_waitcnt lgkmcnt(0)
	v_ashrrev_i32_e32 v119, s23, v188
	v_add_u32_e32 v188, 0x4218, v190
	ds_read2_b32 v[190:191], v188 offset1:1
	v_and_b32_e32 v186, 0x3030303, v119
	v_bfe_u32 v119, v119, 24, 2
	s_waitcnt lgkmcnt(0)
	v_ashrrev_i32_e32 v188, s20, v190
	v_lshlrev_b32_e32 v188, 2, v188
	v_and_b32_e32 v188, 0x4040404, v188
	v_sub_u16_e32 v190, v186, v188
	v_sub_u16_sdwa v192, v186, v188 dst_sel:BYTE_1 dst_unused:UNUSED_PAD src0_sel:BYTE_1 src1_sel:BYTE_1
	v_sub_u16_sdwa v119, v119, v188 dst_sel:BYTE_1 dst_unused:UNUSED_PAD src0_sel:DWORD src1_sel:BYTE_3
	v_sub_u16_sdwa v186, v186, v188 dst_sel:DWORD dst_unused:UNUSED_PAD src0_sel:WORD_1 src1_sel:WORD_1
	v_or_b32_sdwa v190, v190, v192 dst_sel:DWORD dst_unused:UNUSED_PAD src0_sel:BYTE_0 src1_sel:DWORD
	v_or_b32_sdwa v119, v186, v119 dst_sel:WORD_1 dst_unused:UNUSED_PAD src0_sel:BYTE_0 src1_sel:DWORD
	s_nop 0
	v_or_b32_sdwa v188, v190, v119 dst_sel:DWORD dst_unused:UNUSED_PAD src0_sel:WORD_0 src1_sel:DWORD
	v_ashrrev_i32_e32 v119, s23, v189
	v_ashrrev_i32_e32 v189, s20, v191
	v_lshlrev_b32_e32 v189, 2, v189
	v_and_b32_e32 v186, 0x3030303, v119
	v_bfe_u32 v119, v119, 24, 2
	v_and_b32_e32 v189, 0x4040404, v189
	v_sub_u16_e32 v190, v186, v189
	v_sub_u16_sdwa v191, v186, v189 dst_sel:BYTE_1 dst_unused:UNUSED_PAD src0_sel:BYTE_1 src1_sel:BYTE_1
	v_sub_u16_sdwa v119, v119, v189 dst_sel:BYTE_1 dst_unused:UNUSED_PAD src0_sel:DWORD src1_sel:BYTE_3
	v_sub_u16_sdwa v186, v186, v189 dst_sel:DWORD dst_unused:UNUSED_PAD src0_sel:WORD_1 src1_sel:WORD_1
	v_or_b32_sdwa v190, v190, v191 dst_sel:DWORD dst_unused:UNUSED_PAD src0_sel:BYTE_0 src1_sel:DWORD
	v_or_b32_sdwa v119, v186, v119 dst_sel:WORD_1 dst_unused:UNUSED_PAD src0_sel:BYTE_0 src1_sel:DWORD
	v_add_u32_e32 v186, s26, v133
	v_or_b32_sdwa v189, v190, v119 dst_sel:DWORD dst_unused:UNUSED_PAD src0_sel:WORD_0 src1_sel:DWORD
	v_add3_u32 v119, v145, s22, v118
	ds_read_b32 v186, v186
	ds_read_u16 v119, v119 offset:34546
	v_mov_b32_e32 v191, 0
	v_dot4c_i32_i8_e32 v191, v180, v4
	v_dot4c_i32_i8_e32 v191, v182, v5
	;; [unrolled: 1-line block ×3, first 2 shown]
	s_waitcnt lgkmcnt(0)
	v_lshrrev_b16_e32 v192, 8, v119
	v_bfe_i32 v190, v119, 0, 8
	v_mov_b32_e32 v119, 0
	v_dot4c_i32_i8_e32 v119, v185, v0
	v_dot4c_i32_i8_e32 v119, v187, v1
	;; [unrolled: 1-line block ×5, first 2 shown]
	v_bfe_i32 v192, v192, 0, 8
	v_mul_lo_u32 v194, v191, v190
	s_nop 0
	v_mad_u64_u32 v[194:195], s[28:29], v119, v192, v[194:195]
	v_cvt_f32_i32_e32 v191, v194
	v_mul_f32_e32 v119, v116, v186
	v_fmac_f32_e32 v87, v119, v191
	v_add_u32_e32 v119, s25, v135
	ds_read2_b32 v[194:195], v119 offset1:1
	s_waitcnt lgkmcnt(0)
	v_ashrrev_i32_e32 v191, s23, v194
	v_add_u32_e32 v194, 0x4200, v202
	ds_read2_b32 v[196:197], v194 offset1:1
	v_and_b32_e32 v193, 0x3030303, v191
	v_bfe_u32 v191, v191, 24, 2
	s_waitcnt lgkmcnt(0)
	v_ashrrev_i32_e32 v194, s20, v196
	v_lshlrev_b32_e32 v194, 2, v194
	v_and_b32_e32 v194, 0x4040404, v194
	v_sub_u16_e32 v196, v193, v194
	v_sub_u16_sdwa v198, v193, v194 dst_sel:BYTE_1 dst_unused:UNUSED_PAD src0_sel:BYTE_1 src1_sel:BYTE_1
	v_sub_u16_sdwa v191, v191, v194 dst_sel:BYTE_1 dst_unused:UNUSED_PAD src0_sel:DWORD src1_sel:BYTE_3
	v_sub_u16_sdwa v193, v193, v194 dst_sel:DWORD dst_unused:UNUSED_PAD src0_sel:WORD_1 src1_sel:WORD_1
	v_or_b32_sdwa v191, v193, v191 dst_sel:WORD_1 dst_unused:UNUSED_PAD src0_sel:BYTE_0 src1_sel:DWORD
	v_ashrrev_i32_e32 v193, s23, v195
	v_ashrrev_i32_e32 v195, s20, v197
	v_lshlrev_b32_e32 v195, 2, v195
	v_or_b32_sdwa v196, v196, v198 dst_sel:DWORD dst_unused:UNUSED_PAD src0_sel:BYTE_0 src1_sel:DWORD
	v_and_b32_e32 v194, 0x3030303, v193
	v_bfe_u32 v193, v193, 24, 2
	v_and_b32_e32 v195, 0x4040404, v195
	v_or_b32_sdwa v191, v196, v191 dst_sel:DWORD dst_unused:UNUSED_PAD src0_sel:WORD_0 src1_sel:DWORD
	v_sub_u16_e32 v196, v194, v195
	v_sub_u16_sdwa v197, v194, v195 dst_sel:BYTE_1 dst_unused:UNUSED_PAD src0_sel:BYTE_1 src1_sel:BYTE_1
	v_sub_u16_sdwa v193, v193, v195 dst_sel:BYTE_1 dst_unused:UNUSED_PAD src0_sel:DWORD src1_sel:BYTE_3
	v_sub_u16_sdwa v194, v194, v195 dst_sel:DWORD dst_unused:UNUSED_PAD src0_sel:WORD_1 src1_sel:WORD_1
	v_or_b32_sdwa v196, v196, v197 dst_sel:DWORD dst_unused:UNUSED_PAD src0_sel:BYTE_0 src1_sel:DWORD
	v_or_b32_sdwa v193, v194, v193 dst_sel:WORD_1 dst_unused:UNUSED_PAD src0_sel:BYTE_0 src1_sel:DWORD
	ds_read2_b32 v[194:195], v119 offset0:2 offset1:3
	v_or_b32_sdwa v193, v196, v193 dst_sel:DWORD dst_unused:UNUSED_PAD src0_sel:WORD_0 src1_sel:DWORD
	v_add_u32_e32 v196, 0x4208, v202
	ds_read2_b32 v[196:197], v196 offset1:1
	s_waitcnt lgkmcnt(1)
	v_ashrrev_i32_e32 v194, s23, v194
	v_and_b32_e32 v198, 0x3030303, v194
	v_bfe_u32 v194, v194, 24, 2
	s_waitcnt lgkmcnt(0)
	v_ashrrev_i32_e32 v196, s20, v196
	v_lshlrev_b32_e32 v196, 2, v196
	v_and_b32_e32 v196, 0x4040404, v196
	v_ashrrev_i32_e32 v197, s20, v197
	v_sub_u16_e32 v199, v198, v196
	v_sub_u16_sdwa v200, v198, v196 dst_sel:BYTE_1 dst_unused:UNUSED_PAD src0_sel:BYTE_1 src1_sel:BYTE_1
	v_sub_u16_sdwa v194, v194, v196 dst_sel:BYTE_1 dst_unused:UNUSED_PAD src0_sel:DWORD src1_sel:BYTE_3
	v_sub_u16_sdwa v196, v198, v196 dst_sel:DWORD dst_unused:UNUSED_PAD src0_sel:WORD_1 src1_sel:WORD_1
	v_ashrrev_i32_e32 v195, s23, v195
	v_lshlrev_b32_e32 v197, 2, v197
	v_or_b32_sdwa v199, v199, v200 dst_sel:DWORD dst_unused:UNUSED_PAD src0_sel:BYTE_0 src1_sel:DWORD
	v_or_b32_sdwa v194, v196, v194 dst_sel:WORD_1 dst_unused:UNUSED_PAD src0_sel:BYTE_0 src1_sel:DWORD
	v_and_b32_e32 v196, 0x3030303, v195
	v_bfe_u32 v195, v195, 24, 2
	v_and_b32_e32 v197, 0x4040404, v197
	v_or_b32_sdwa v194, v199, v194 dst_sel:DWORD dst_unused:UNUSED_PAD src0_sel:WORD_0 src1_sel:DWORD
	v_sub_u16_e32 v198, v196, v197
	v_sub_u16_sdwa v199, v196, v197 dst_sel:BYTE_1 dst_unused:UNUSED_PAD src0_sel:BYTE_1 src1_sel:BYTE_1
	v_sub_u16_sdwa v195, v195, v197 dst_sel:BYTE_1 dst_unused:UNUSED_PAD src0_sel:DWORD src1_sel:BYTE_3
	v_sub_u16_sdwa v196, v196, v197 dst_sel:DWORD dst_unused:UNUSED_PAD src0_sel:WORD_1 src1_sel:WORD_1
	v_or_b32_sdwa v198, v198, v199 dst_sel:DWORD dst_unused:UNUSED_PAD src0_sel:BYTE_0 src1_sel:DWORD
	v_or_b32_sdwa v195, v196, v195 dst_sel:WORD_1 dst_unused:UNUSED_PAD src0_sel:BYTE_0 src1_sel:DWORD
	ds_read2_b32 v[196:197], v119 offset0:4 offset1:5
	v_or_b32_sdwa v195, v198, v195 dst_sel:DWORD dst_unused:UNUSED_PAD src0_sel:WORD_0 src1_sel:DWORD
	v_add_u32_e32 v198, 0x4210, v202
	ds_read2_b32 v[198:199], v198 offset1:1
	s_waitcnt lgkmcnt(1)
	v_ashrrev_i32_e32 v196, s23, v196
	v_and_b32_e32 v200, 0x3030303, v196
	v_bfe_u32 v196, v196, 24, 2
	s_waitcnt lgkmcnt(0)
	v_ashrrev_i32_e32 v198, s20, v198
	v_lshlrev_b32_e32 v198, 2, v198
	v_and_b32_e32 v198, 0x4040404, v198
	v_ashrrev_i32_e32 v199, s20, v199
	v_sub_u16_e32 v201, v200, v198
	v_sub_u16_sdwa v203, v200, v198 dst_sel:BYTE_1 dst_unused:UNUSED_PAD src0_sel:BYTE_1 src1_sel:BYTE_1
	v_sub_u16_sdwa v196, v196, v198 dst_sel:BYTE_1 dst_unused:UNUSED_PAD src0_sel:DWORD src1_sel:BYTE_3
	v_sub_u16_sdwa v198, v200, v198 dst_sel:DWORD dst_unused:UNUSED_PAD src0_sel:WORD_1 src1_sel:WORD_1
	v_ashrrev_i32_e32 v197, s23, v197
	v_lshlrev_b32_e32 v199, 2, v199
	v_or_b32_sdwa v201, v201, v203 dst_sel:DWORD dst_unused:UNUSED_PAD src0_sel:BYTE_0 src1_sel:DWORD
	v_or_b32_sdwa v196, v198, v196 dst_sel:WORD_1 dst_unused:UNUSED_PAD src0_sel:BYTE_0 src1_sel:DWORD
	v_and_b32_e32 v198, 0x3030303, v197
	v_bfe_u32 v197, v197, 24, 2
	v_and_b32_e32 v199, 0x4040404, v199
	v_or_b32_sdwa v196, v201, v196 dst_sel:DWORD dst_unused:UNUSED_PAD src0_sel:WORD_0 src1_sel:DWORD
	v_sub_u16_e32 v200, v198, v199
	v_sub_u16_sdwa v201, v198, v199 dst_sel:BYTE_1 dst_unused:UNUSED_PAD src0_sel:BYTE_1 src1_sel:BYTE_1
	v_sub_u16_sdwa v197, v197, v199 dst_sel:BYTE_1 dst_unused:UNUSED_PAD src0_sel:DWORD src1_sel:BYTE_3
	v_sub_u16_sdwa v198, v198, v199 dst_sel:DWORD dst_unused:UNUSED_PAD src0_sel:WORD_1 src1_sel:WORD_1
	v_or_b32_sdwa v200, v200, v201 dst_sel:DWORD dst_unused:UNUSED_PAD src0_sel:BYTE_0 src1_sel:DWORD
	v_or_b32_sdwa v197, v198, v197 dst_sel:WORD_1 dst_unused:UNUSED_PAD src0_sel:BYTE_0 src1_sel:DWORD
	v_add_u32_e32 v199, 0x4218, v202
	v_or_b32_sdwa v198, v200, v197 dst_sel:DWORD dst_unused:UNUSED_PAD src0_sel:WORD_0 src1_sel:DWORD
	ds_read2_b32 v[200:201], v119 offset0:6 offset1:7
	ds_read2_b32 v[202:203], v199 offset1:1
	s_waitcnt lgkmcnt(1)
	v_ashrrev_i32_e32 v119, s23, v200
	s_waitcnt lgkmcnt(0)
	v_ashrrev_i32_e32 v199, s20, v202
	v_lshlrev_b32_e32 v199, 2, v199
	v_and_b32_e32 v197, 0x3030303, v119
	v_bfe_u32 v119, v119, 24, 2
	v_and_b32_e32 v199, 0x4040404, v199
	v_sub_u16_e32 v200, v197, v199
	v_sub_u16_sdwa v202, v197, v199 dst_sel:BYTE_1 dst_unused:UNUSED_PAD src0_sel:BYTE_1 src1_sel:BYTE_1
	v_sub_u16_sdwa v119, v119, v199 dst_sel:BYTE_1 dst_unused:UNUSED_PAD src0_sel:DWORD src1_sel:BYTE_3
	v_sub_u16_sdwa v197, v197, v199 dst_sel:DWORD dst_unused:UNUSED_PAD src0_sel:WORD_1 src1_sel:WORD_1
	v_or_b32_sdwa v200, v200, v202 dst_sel:DWORD dst_unused:UNUSED_PAD src0_sel:BYTE_0 src1_sel:DWORD
	v_or_b32_sdwa v119, v197, v119 dst_sel:WORD_1 dst_unused:UNUSED_PAD src0_sel:BYTE_0 src1_sel:DWORD
	s_nop 0
	v_or_b32_sdwa v199, v200, v119 dst_sel:DWORD dst_unused:UNUSED_PAD src0_sel:WORD_0 src1_sel:DWORD
	v_ashrrev_i32_e32 v200, s20, v203
	v_ashrrev_i32_e32 v119, s23, v201
	v_lshlrev_b32_e32 v200, 2, v200
	v_and_b32_e32 v197, 0x3030303, v119
	v_bfe_u32 v119, v119, 24, 2
	v_and_b32_e32 v200, 0x4040404, v200
	v_sub_u16_e32 v201, v197, v200
	v_sub_u16_sdwa v202, v197, v200 dst_sel:BYTE_1 dst_unused:UNUSED_PAD src0_sel:BYTE_1 src1_sel:BYTE_1
	v_sub_u16_sdwa v119, v119, v200 dst_sel:BYTE_1 dst_unused:UNUSED_PAD src0_sel:DWORD src1_sel:BYTE_3
	v_sub_u16_sdwa v197, v197, v200 dst_sel:DWORD dst_unused:UNUSED_PAD src0_sel:WORD_1 src1_sel:WORD_1
	v_or_b32_sdwa v201, v201, v202 dst_sel:DWORD dst_unused:UNUSED_PAD src0_sel:BYTE_0 src1_sel:DWORD
	v_or_b32_sdwa v119, v197, v119 dst_sel:WORD_1 dst_unused:UNUSED_PAD src0_sel:BYTE_0 src1_sel:DWORD
	v_add_u32_e32 v197, s26, v136
	v_or_b32_sdwa v200, v201, v119 dst_sel:DWORD dst_unused:UNUSED_PAD src0_sel:WORD_0 src1_sel:DWORD
	v_add3_u32 v119, v147, s22, v118
	ds_read_b32 v197, v197
	ds_read_u16 v119, v119 offset:35570
	v_mov_b32_e32 v202, 0
	v_dot4c_i32_i8_e32 v202, v191, v4
	v_dot4c_i32_i8_e32 v202, v193, v5
	;; [unrolled: 1-line block ×3, first 2 shown]
	s_waitcnt lgkmcnt(0)
	v_lshrrev_b16_e32 v203, 8, v119
	v_bfe_i32 v201, v119, 0, 8
	v_mov_b32_e32 v119, 0
	v_dot4c_i32_i8_e32 v119, v196, v0
	v_dot4c_i32_i8_e32 v119, v198, v1
	;; [unrolled: 1-line block ×5, first 2 shown]
	v_bfe_i32 v203, v203, 0, 8
	v_mul_lo_u32 v202, v202, v201
	v_add3_u32 v118, v149, s22, v118
	v_mad_u64_u32 v[204:205], s[28:29], v119, v203, v[202:203]
	v_cvt_f32_i32_e32 v202, v204
	v_mul_f32_e32 v119, v116, v197
	v_fmac_f32_e32 v85, v119, v202
	v_add_u32_e32 v119, s25, v138
	ds_read2_b32 v[204:205], v119 offset1:1
	s_waitcnt lgkmcnt(0)
	v_ashrrev_i32_e32 v202, s23, v204
	v_and_b32_e32 v204, 0x3030303, v202
	v_bfe_u32 v202, v202, 24, 2
	v_sub_u16_e32 v208, v204, v206
	v_sub_u16_sdwa v209, v204, v206 dst_sel:BYTE_1 dst_unused:UNUSED_PAD src0_sel:BYTE_1 src1_sel:BYTE_1
	v_sub_u16_sdwa v202, v202, v206 dst_sel:BYTE_1 dst_unused:UNUSED_PAD src0_sel:DWORD src1_sel:BYTE_3
	v_sub_u16_sdwa v204, v204, v206 dst_sel:DWORD dst_unused:UNUSED_PAD src0_sel:WORD_1 src1_sel:WORD_1
	v_ashrrev_i32_e32 v206, s20, v207
	v_or_b32_sdwa v202, v204, v202 dst_sel:WORD_1 dst_unused:UNUSED_PAD src0_sel:BYTE_0 src1_sel:DWORD
	v_ashrrev_i32_e32 v204, s23, v205
	v_lshlrev_b32_e32 v206, 2, v206
	v_or_b32_sdwa v208, v208, v209 dst_sel:DWORD dst_unused:UNUSED_PAD src0_sel:BYTE_0 src1_sel:DWORD
	v_and_b32_e32 v205, 0x3030303, v204
	v_bfe_u32 v204, v204, 24, 2
	v_and_b32_e32 v206, 0x4040404, v206
	v_or_b32_sdwa v202, v208, v202 dst_sel:DWORD dst_unused:UNUSED_PAD src0_sel:WORD_0 src1_sel:DWORD
	v_sub_u16_e32 v207, v205, v206
	v_sub_u16_sdwa v208, v205, v206 dst_sel:BYTE_1 dst_unused:UNUSED_PAD src0_sel:BYTE_1 src1_sel:BYTE_1
	v_sub_u16_sdwa v204, v204, v206 dst_sel:BYTE_1 dst_unused:UNUSED_PAD src0_sel:DWORD src1_sel:BYTE_3
	v_sub_u16_sdwa v205, v205, v206 dst_sel:DWORD dst_unused:UNUSED_PAD src0_sel:WORD_1 src1_sel:WORD_1
	v_or_b32_sdwa v207, v207, v208 dst_sel:DWORD dst_unused:UNUSED_PAD src0_sel:BYTE_0 src1_sel:DWORD
	v_or_b32_sdwa v204, v205, v204 dst_sel:WORD_1 dst_unused:UNUSED_PAD src0_sel:BYTE_0 src1_sel:DWORD
	v_add_u32_e32 v208, 0x4208, v212
	v_or_b32_sdwa v204, v207, v204 dst_sel:DWORD dst_unused:UNUSED_PAD src0_sel:WORD_0 src1_sel:DWORD
	ds_read2_b32 v[206:207], v119 offset0:2 offset1:3
	ds_read2_b32 v[208:209], v208 offset1:1
	s_waitcnt lgkmcnt(1)
	v_ashrrev_i32_e32 v205, s23, v206
	s_waitcnt lgkmcnt(0)
	v_ashrrev_i32_e32 v208, s20, v208
	v_lshlrev_b32_e32 v208, 2, v208
	v_and_b32_e32 v206, 0x3030303, v205
	v_bfe_u32 v205, v205, 24, 2
	v_and_b32_e32 v208, 0x4040404, v208
	v_sub_u16_e32 v210, v206, v208
	v_sub_u16_sdwa v211, v206, v208 dst_sel:BYTE_1 dst_unused:UNUSED_PAD src0_sel:BYTE_1 src1_sel:BYTE_1
	v_sub_u16_sdwa v205, v205, v208 dst_sel:BYTE_1 dst_unused:UNUSED_PAD src0_sel:DWORD src1_sel:BYTE_3
	v_sub_u16_sdwa v206, v206, v208 dst_sel:DWORD dst_unused:UNUSED_PAD src0_sel:WORD_1 src1_sel:WORD_1
	v_ashrrev_i32_e32 v208, s20, v209
	v_or_b32_sdwa v205, v206, v205 dst_sel:WORD_1 dst_unused:UNUSED_PAD src0_sel:BYTE_0 src1_sel:DWORD
	v_ashrrev_i32_e32 v206, s23, v207
	v_lshlrev_b32_e32 v208, 2, v208
	v_or_b32_sdwa v210, v210, v211 dst_sel:DWORD dst_unused:UNUSED_PAD src0_sel:BYTE_0 src1_sel:DWORD
	v_and_b32_e32 v207, 0x3030303, v206
	v_bfe_u32 v206, v206, 24, 2
	v_and_b32_e32 v208, 0x4040404, v208
	v_or_b32_sdwa v205, v210, v205 dst_sel:DWORD dst_unused:UNUSED_PAD src0_sel:WORD_0 src1_sel:DWORD
	v_sub_u16_e32 v209, v207, v208
	v_sub_u16_sdwa v210, v207, v208 dst_sel:BYTE_1 dst_unused:UNUSED_PAD src0_sel:BYTE_1 src1_sel:BYTE_1
	v_sub_u16_sdwa v206, v206, v208 dst_sel:BYTE_1 dst_unused:UNUSED_PAD src0_sel:DWORD src1_sel:BYTE_3
	v_sub_u16_sdwa v207, v207, v208 dst_sel:DWORD dst_unused:UNUSED_PAD src0_sel:WORD_1 src1_sel:WORD_1
	v_or_b32_sdwa v209, v209, v210 dst_sel:DWORD dst_unused:UNUSED_PAD src0_sel:BYTE_0 src1_sel:DWORD
	v_or_b32_sdwa v206, v207, v206 dst_sel:WORD_1 dst_unused:UNUSED_PAD src0_sel:BYTE_0 src1_sel:DWORD
	v_add_u32_e32 v210, 0x4210, v212
	v_or_b32_sdwa v206, v209, v206 dst_sel:DWORD dst_unused:UNUSED_PAD src0_sel:WORD_0 src1_sel:DWORD
	ds_read2_b32 v[208:209], v119 offset0:4 offset1:5
	ds_read2_b32 v[210:211], v210 offset1:1
	s_waitcnt lgkmcnt(1)
	v_ashrrev_i32_e32 v207, s23, v208
	s_waitcnt lgkmcnt(0)
	v_ashrrev_i32_e32 v210, s20, v210
	v_lshlrev_b32_e32 v210, 2, v210
	v_and_b32_e32 v208, 0x3030303, v207
	v_bfe_u32 v207, v207, 24, 2
	v_and_b32_e32 v210, 0x4040404, v210
	v_sub_u16_e32 v213, v208, v210
	v_sub_u16_sdwa v214, v208, v210 dst_sel:BYTE_1 dst_unused:UNUSED_PAD src0_sel:BYTE_1 src1_sel:BYTE_1
	v_sub_u16_sdwa v207, v207, v210 dst_sel:BYTE_1 dst_unused:UNUSED_PAD src0_sel:DWORD src1_sel:BYTE_3
	v_sub_u16_sdwa v208, v208, v210 dst_sel:DWORD dst_unused:UNUSED_PAD src0_sel:WORD_1 src1_sel:WORD_1
	v_ashrrev_i32_e32 v210, s20, v211
	v_or_b32_sdwa v207, v208, v207 dst_sel:WORD_1 dst_unused:UNUSED_PAD src0_sel:BYTE_0 src1_sel:DWORD
	v_ashrrev_i32_e32 v208, s23, v209
	v_lshlrev_b32_e32 v210, 2, v210
	v_or_b32_sdwa v213, v213, v214 dst_sel:DWORD dst_unused:UNUSED_PAD src0_sel:BYTE_0 src1_sel:DWORD
	v_and_b32_e32 v209, 0x3030303, v208
	v_bfe_u32 v208, v208, 24, 2
	v_and_b32_e32 v210, 0x4040404, v210
	v_or_b32_sdwa v207, v213, v207 dst_sel:DWORD dst_unused:UNUSED_PAD src0_sel:WORD_0 src1_sel:DWORD
	v_sub_u16_e32 v211, v209, v210
	v_sub_u16_sdwa v213, v209, v210 dst_sel:BYTE_1 dst_unused:UNUSED_PAD src0_sel:BYTE_1 src1_sel:BYTE_1
	v_sub_u16_sdwa v208, v208, v210 dst_sel:BYTE_1 dst_unused:UNUSED_PAD src0_sel:DWORD src1_sel:BYTE_3
	v_sub_u16_sdwa v209, v209, v210 dst_sel:DWORD dst_unused:UNUSED_PAD src0_sel:WORD_1 src1_sel:WORD_1
	v_or_b32_sdwa v211, v211, v213 dst_sel:DWORD dst_unused:UNUSED_PAD src0_sel:BYTE_0 src1_sel:DWORD
	v_or_b32_sdwa v208, v209, v208 dst_sel:WORD_1 dst_unused:UNUSED_PAD src0_sel:BYTE_0 src1_sel:DWORD
	s_nop 0
	v_or_b32_sdwa v209, v211, v208 dst_sel:DWORD dst_unused:UNUSED_PAD src0_sel:WORD_0 src1_sel:DWORD
	ds_read2_b32 v[210:211], v119 offset0:6 offset1:7
	s_waitcnt lgkmcnt(0)
	v_ashrrev_i32_e32 v119, s23, v210
	v_add_u32_e32 v210, 0x4218, v212
	ds_read2_b32 v[212:213], v210 offset1:1
	v_and_b32_e32 v208, 0x3030303, v119
	v_bfe_u32 v119, v119, 24, 2
	s_waitcnt lgkmcnt(0)
	v_ashrrev_i32_e32 v210, s20, v212
	v_lshlrev_b32_e32 v210, 2, v210
	v_and_b32_e32 v210, 0x4040404, v210
	v_sub_u16_e32 v212, v208, v210
	v_sub_u16_sdwa v214, v208, v210 dst_sel:BYTE_1 dst_unused:UNUSED_PAD src0_sel:BYTE_1 src1_sel:BYTE_1
	v_sub_u16_sdwa v119, v119, v210 dst_sel:BYTE_1 dst_unused:UNUSED_PAD src0_sel:DWORD src1_sel:BYTE_3
	v_sub_u16_sdwa v208, v208, v210 dst_sel:DWORD dst_unused:UNUSED_PAD src0_sel:WORD_1 src1_sel:WORD_1
	v_or_b32_sdwa v212, v212, v214 dst_sel:DWORD dst_unused:UNUSED_PAD src0_sel:BYTE_0 src1_sel:DWORD
	v_or_b32_sdwa v119, v208, v119 dst_sel:WORD_1 dst_unused:UNUSED_PAD src0_sel:BYTE_0 src1_sel:DWORD
	s_nop 0
	v_or_b32_sdwa v210, v212, v119 dst_sel:DWORD dst_unused:UNUSED_PAD src0_sel:WORD_0 src1_sel:DWORD
	v_ashrrev_i32_e32 v119, s23, v211
	v_ashrrev_i32_e32 v211, s20, v213
	v_lshlrev_b32_e32 v211, 2, v211
	v_and_b32_e32 v208, 0x3030303, v119
	v_bfe_u32 v119, v119, 24, 2
	v_and_b32_e32 v211, 0x4040404, v211
	v_sub_u16_e32 v212, v208, v211
	v_sub_u16_sdwa v213, v208, v211 dst_sel:BYTE_1 dst_unused:UNUSED_PAD src0_sel:BYTE_1 src1_sel:BYTE_1
	v_sub_u16_sdwa v119, v119, v211 dst_sel:BYTE_1 dst_unused:UNUSED_PAD src0_sel:DWORD src1_sel:BYTE_3
	v_sub_u16_sdwa v208, v208, v211 dst_sel:DWORD dst_unused:UNUSED_PAD src0_sel:WORD_1 src1_sel:WORD_1
	v_or_b32_sdwa v212, v212, v213 dst_sel:DWORD dst_unused:UNUSED_PAD src0_sel:BYTE_0 src1_sel:DWORD
	v_or_b32_sdwa v119, v208, v119 dst_sel:WORD_1 dst_unused:UNUSED_PAD src0_sel:BYTE_0 src1_sel:DWORD
	s_add_i32 s20, s20, 1
	v_or_b32_sdwa v211, v212, v119 dst_sel:DWORD dst_unused:UNUSED_PAD src0_sel:WORD_0 src1_sel:DWORD
	v_add_u32_e32 v119, s26, v139
	ds_read_b32 v208, v119
	v_mov_b32_e32 v119, 0
	v_dot4c_i32_i8_e32 v119, v202, v4
	ds_read_u16 v4, v118 offset:36594
	v_dot4c_i32_i8_e32 v119, v204, v5
	v_dot4c_i32_i8_e32 v119, v205, v6
	v_mov_b32_e32 v6, 0
	v_dot4c_i32_i8_e32 v6, v207, v0
	v_dot4c_i32_i8_e32 v6, v209, v1
	;; [unrolled: 1-line block ×3, first 2 shown]
	s_waitcnt lgkmcnt(0)
	v_lshrrev_b16_e32 v5, 8, v4
	v_bfe_i32 v212, v4, 0, 8
	v_dot4c_i32_i8_e32 v6, v210, v2
	v_mul_lo_u32 v4, v119, v212
	v_dot4c_i32_i8_e32 v6, v211, v3
	v_bfe_i32 v213, v5, 0, 8
	v_mov_b32_e32 v118, 0
	s_cmp_lt_u32 s21, 22
	v_mad_u64_u32 v[0:1], s[22:23], v6, v213, v[4:5]
	v_cvt_f32_i32_e32 v0, v0
	v_mul_f32_e32 v1, v116, v208
	v_mov_b32_e32 v116, 0
	v_fmac_f32_e32 v81, v1, v0
	ds_read_b128 v[0:3], v168 offset:1024
	ds_read_b128 v[4:7], v168 offset:1040
	s_waitcnt lgkmcnt(1)
	v_dot4c_i32_i8_e32 v116, v170, v0
	v_dot4c_i32_i8_e32 v116, v171, v1
	s_waitcnt lgkmcnt(0)
	v_dot4c_i32_i8_e32 v118, v175, v4
	v_dot4c_i32_i8_e32 v116, v172, v2
	;; [unrolled: 1-line block ×6, first 2 shown]
	s_nop 0
	v_mul_lo_u32 v116, v116, v179
	s_nop 0
	v_mad_u64_u32 v[118:119], s[22:23], v118, v181, v[116:117]
	v_cvt_f32_i32_e32 v118, v118
	v_mul_f32_e32 v116, v174, v117
	v_fmac_f32_e32 v73, v116, v118
	v_mov_b32_e32 v116, 0
	v_dot4c_i32_i8_e32 v116, v180, v0
	v_mov_b32_e32 v118, 0
	v_dot4c_i32_i8_e32 v116, v182, v1
	v_dot4c_i32_i8_e32 v118, v185, v4
	;; [unrolled: 1-line block ×7, first 2 shown]
	s_nop 0
	v_mul_lo_u32 v116, v116, v190
	s_nop 0
	v_mad_u64_u32 v[118:119], s[22:23], v118, v192, v[116:117]
	v_cvt_f32_i32_e32 v118, v118
	v_mul_f32_e32 v116, v186, v117
	v_fmac_f32_e32 v71, v116, v118
	v_mov_b32_e32 v116, 0
	v_dot4c_i32_i8_e32 v116, v191, v0
	v_mov_b32_e32 v118, 0
	v_dot4c_i32_i8_e32 v116, v193, v1
	v_dot4c_i32_i8_e32 v118, v196, v4
	;; [unrolled: 1-line block ×7, first 2 shown]
	s_nop 0
	v_mul_lo_u32 v116, v116, v201
	s_nop 0
	v_mad_u64_u32 v[118:119], s[22:23], v118, v203, v[116:117]
	v_cvt_f32_i32_e32 v118, v118
	v_mul_f32_e32 v116, v197, v117
	v_mov_b32_e32 v119, 0
	v_fmac_f32_e32 v69, v116, v118
	v_mov_b32_e32 v116, 0
	v_dot4c_i32_i8_e32 v116, v202, v0
	v_dot4c_i32_i8_e32 v116, v204, v1
	v_mov_b32_e32 v1, 0
	v_dot4c_i32_i8_e32 v1, v207, v4
	v_dot4c_i32_i8_e32 v116, v205, v2
	;; [unrolled: 1-line block ×6, first 2 shown]
	v_mov_b32_e32 v118, 0
	v_mul_lo_u32 v0, v116, v212
	s_nop 0
	v_mad_u64_u32 v[0:1], s[22:23], v1, v213, v[0:1]
	v_cvt_f32_i32_e32 v0, v0
	v_mul_f32_e32 v1, v208, v117
	v_fmac_f32_e32 v67, v1, v0
	ds_read2_b32 v[116:117], v169 offset0:64 offset1:96
	ds_read_b128 v[0:3], v168 offset:2048
	ds_read_b128 v[4:7], v168 offset:2064
	s_waitcnt lgkmcnt(1)
	v_dot4c_i32_i8_e32 v118, v170, v0
	v_dot4c_i32_i8_e32 v118, v171, v1
	s_waitcnt lgkmcnt(0)
	v_dot4c_i32_i8_e32 v119, v175, v4
	v_dot4c_i32_i8_e32 v118, v172, v2
	;; [unrolled: 1-line block ×6, first 2 shown]
	s_nop 0
	v_mul_lo_u32 v118, v118, v179
	s_nop 0
	v_mad_u64_u32 v[118:119], s[22:23], v119, v181, v[118:119]
	v_cvt_f32_i32_e32 v118, v118
	v_mul_f32_e32 v119, v174, v116
	v_fmac_f32_e32 v61, v119, v118
	v_mov_b32_e32 v118, 0
	v_dot4c_i32_i8_e32 v118, v180, v0
	v_mov_b32_e32 v119, 0
	v_dot4c_i32_i8_e32 v118, v182, v1
	v_dot4c_i32_i8_e32 v119, v185, v4
	;; [unrolled: 1-line block ×7, first 2 shown]
	s_nop 0
	v_mul_lo_u32 v118, v118, v190
	s_nop 0
	v_mad_u64_u32 v[118:119], s[22:23], v119, v192, v[118:119]
	v_cvt_f32_i32_e32 v118, v118
	v_mul_f32_e32 v119, v186, v116
	v_fmac_f32_e32 v59, v119, v118
	v_mov_b32_e32 v118, 0
	v_dot4c_i32_i8_e32 v118, v191, v0
	v_mov_b32_e32 v119, 0
	v_dot4c_i32_i8_e32 v118, v193, v1
	v_dot4c_i32_i8_e32 v119, v196, v4
	;; [unrolled: 1-line block ×7, first 2 shown]
	s_nop 0
	v_mul_lo_u32 v118, v118, v201
	s_nop 0
	v_mad_u64_u32 v[118:119], s[22:23], v119, v203, v[118:119]
	v_cvt_f32_i32_e32 v118, v118
	v_mul_f32_e32 v119, v197, v116
	v_fmac_f32_e32 v57, v119, v118
	v_mov_b32_e32 v118, 0
	v_dot4c_i32_i8_e32 v118, v202, v0
	v_dot4c_i32_i8_e32 v118, v204, v1
	v_mov_b32_e32 v1, 0
	v_dot4c_i32_i8_e32 v1, v207, v4
	v_dot4c_i32_i8_e32 v118, v205, v2
	;; [unrolled: 1-line block ×6, first 2 shown]
	s_nop 0
	v_mul_lo_u32 v0, v118, v212
	v_mov_b32_e32 v118, 0
	v_mad_u64_u32 v[0:1], s[22:23], v1, v213, v[0:1]
	v_cvt_f32_i32_e32 v0, v0
	v_mul_f32_e32 v1, v208, v116
	v_mov_b32_e32 v116, 0
	v_fmac_f32_e32 v55, v1, v0
	ds_read_b128 v[0:3], v168 offset:3072
	ds_read_b128 v[4:7], v168 offset:3088
	s_waitcnt lgkmcnt(1)
	v_dot4c_i32_i8_e32 v116, v170, v0
	v_dot4c_i32_i8_e32 v116, v171, v1
	s_waitcnt lgkmcnt(0)
	v_dot4c_i32_i8_e32 v118, v175, v4
	v_dot4c_i32_i8_e32 v116, v172, v2
	;; [unrolled: 1-line block ×6, first 2 shown]
	s_nop 0
	v_mul_lo_u32 v116, v116, v179
	s_nop 0
	v_mad_u64_u32 v[118:119], s[22:23], v118, v181, v[116:117]
	v_cvt_f32_i32_e32 v118, v118
	v_mul_f32_e32 v116, v174, v117
	v_fmac_f32_e32 v53, v116, v118
	v_mov_b32_e32 v116, 0
	v_dot4c_i32_i8_e32 v116, v180, v0
	v_mov_b32_e32 v118, 0
	v_dot4c_i32_i8_e32 v116, v182, v1
	v_dot4c_i32_i8_e32 v118, v185, v4
	;; [unrolled: 1-line block ×7, first 2 shown]
	s_nop 0
	v_mul_lo_u32 v116, v116, v190
	s_nop 0
	v_mad_u64_u32 v[118:119], s[22:23], v118, v192, v[116:117]
	v_cvt_f32_i32_e32 v118, v118
	v_mul_f32_e32 v116, v186, v117
	v_fmac_f32_e32 v51, v116, v118
	v_mov_b32_e32 v116, 0
	v_dot4c_i32_i8_e32 v116, v191, v0
	v_mov_b32_e32 v118, 0
	v_dot4c_i32_i8_e32 v116, v193, v1
	v_dot4c_i32_i8_e32 v118, v196, v4
	;; [unrolled: 1-line block ×7, first 2 shown]
	s_nop 0
	v_mul_lo_u32 v116, v116, v201
	s_nop 0
	v_mad_u64_u32 v[118:119], s[22:23], v118, v203, v[116:117]
	v_cvt_f32_i32_e32 v118, v118
	v_mul_f32_e32 v116, v197, v117
	v_mov_b32_e32 v119, 0
	v_fmac_f32_e32 v49, v116, v118
	v_mov_b32_e32 v116, 0
	v_dot4c_i32_i8_e32 v116, v202, v0
	v_dot4c_i32_i8_e32 v116, v204, v1
	v_mov_b32_e32 v1, 0
	v_dot4c_i32_i8_e32 v1, v207, v4
	v_dot4c_i32_i8_e32 v116, v205, v2
	;; [unrolled: 1-line block ×6, first 2 shown]
	v_mov_b32_e32 v118, 0
	v_mul_lo_u32 v0, v116, v212
	s_nop 0
	v_mad_u64_u32 v[0:1], s[22:23], v1, v213, v[0:1]
	v_cvt_f32_i32_e32 v0, v0
	v_mul_f32_e32 v1, v208, v117
	v_fmac_f32_e32 v47, v1, v0
	ds_read2_b32 v[116:117], v169 offset0:128 offset1:160
	ds_read_b128 v[0:3], v168 offset:4096
	ds_read_b128 v[4:7], v168 offset:4112
	s_waitcnt lgkmcnt(1)
	v_dot4c_i32_i8_e32 v118, v170, v0
	v_dot4c_i32_i8_e32 v118, v171, v1
	s_waitcnt lgkmcnt(0)
	v_dot4c_i32_i8_e32 v119, v175, v4
	v_dot4c_i32_i8_e32 v118, v172, v2
	;; [unrolled: 1-line block ×6, first 2 shown]
	s_nop 0
	v_mul_lo_u32 v118, v118, v179
	s_nop 0
	v_mad_u64_u32 v[118:119], s[22:23], v119, v181, v[118:119]
	v_cvt_f32_i32_e32 v118, v118
	v_mul_f32_e32 v119, v174, v116
	v_fmac_f32_e32 v43, v119, v118
	v_mov_b32_e32 v118, 0
	v_dot4c_i32_i8_e32 v118, v180, v0
	v_mov_b32_e32 v119, 0
	v_dot4c_i32_i8_e32 v118, v182, v1
	v_dot4c_i32_i8_e32 v119, v185, v4
	;; [unrolled: 1-line block ×7, first 2 shown]
	s_nop 0
	v_mul_lo_u32 v118, v118, v190
	s_nop 0
	v_mad_u64_u32 v[118:119], s[22:23], v119, v192, v[118:119]
	v_cvt_f32_i32_e32 v118, v118
	v_mul_f32_e32 v119, v186, v116
	v_fmac_f32_e32 v39, v119, v118
	v_mov_b32_e32 v118, 0
	v_dot4c_i32_i8_e32 v118, v191, v0
	v_mov_b32_e32 v119, 0
	v_dot4c_i32_i8_e32 v118, v193, v1
	v_dot4c_i32_i8_e32 v119, v196, v4
	;; [unrolled: 1-line block ×7, first 2 shown]
	s_nop 0
	v_mul_lo_u32 v118, v118, v201
	s_nop 0
	v_mad_u64_u32 v[118:119], s[22:23], v119, v203, v[118:119]
	v_cvt_f32_i32_e32 v118, v118
	v_mul_f32_e32 v119, v197, v116
	v_fmac_f32_e32 v37, v119, v118
	v_mov_b32_e32 v118, 0
	v_dot4c_i32_i8_e32 v118, v202, v0
	v_dot4c_i32_i8_e32 v118, v204, v1
	v_mov_b32_e32 v1, 0
	v_dot4c_i32_i8_e32 v1, v207, v4
	v_dot4c_i32_i8_e32 v118, v205, v2
	;; [unrolled: 1-line block ×6, first 2 shown]
	s_nop 0
	v_mul_lo_u32 v0, v118, v212
	v_mov_b32_e32 v118, 0
	v_mad_u64_u32 v[0:1], s[22:23], v1, v213, v[0:1]
	v_cvt_f32_i32_e32 v0, v0
	v_mul_f32_e32 v1, v208, v116
	v_mov_b32_e32 v116, 0
	v_fmac_f32_e32 v35, v1, v0
	ds_read_b128 v[0:3], v168 offset:5120
	ds_read_b128 v[4:7], v168 offset:5136
	s_waitcnt lgkmcnt(1)
	v_dot4c_i32_i8_e32 v116, v170, v0
	v_dot4c_i32_i8_e32 v116, v171, v1
	s_waitcnt lgkmcnt(0)
	v_dot4c_i32_i8_e32 v118, v175, v4
	v_dot4c_i32_i8_e32 v116, v172, v2
	;; [unrolled: 1-line block ×6, first 2 shown]
	s_nop 0
	v_mul_lo_u32 v116, v116, v179
	s_nop 0
	v_mad_u64_u32 v[118:119], s[22:23], v118, v181, v[116:117]
	v_cvt_f32_i32_e32 v118, v118
	v_mul_f32_e32 v116, v174, v117
	v_fmac_f32_e32 v33, v116, v118
	v_mov_b32_e32 v116, 0
	v_dot4c_i32_i8_e32 v116, v180, v0
	v_mov_b32_e32 v118, 0
	v_dot4c_i32_i8_e32 v116, v182, v1
	v_dot4c_i32_i8_e32 v118, v185, v4
	;; [unrolled: 1-line block ×7, first 2 shown]
	s_nop 0
	v_mul_lo_u32 v116, v116, v190
	s_nop 0
	v_mad_u64_u32 v[118:119], s[22:23], v118, v192, v[116:117]
	v_cvt_f32_i32_e32 v118, v118
	v_mul_f32_e32 v116, v186, v117
	v_fmac_f32_e32 v31, v116, v118
	v_mov_b32_e32 v116, 0
	v_dot4c_i32_i8_e32 v116, v191, v0
	v_mov_b32_e32 v118, 0
	v_dot4c_i32_i8_e32 v116, v193, v1
	v_dot4c_i32_i8_e32 v118, v196, v4
	;; [unrolled: 1-line block ×7, first 2 shown]
	s_nop 0
	v_mul_lo_u32 v116, v116, v201
	s_nop 0
	v_mad_u64_u32 v[118:119], s[22:23], v118, v203, v[116:117]
	v_cvt_f32_i32_e32 v118, v118
	v_mul_f32_e32 v116, v197, v117
	v_mov_b32_e32 v119, 0
	v_fmac_f32_e32 v29, v116, v118
	v_mov_b32_e32 v116, 0
	v_dot4c_i32_i8_e32 v116, v202, v0
	v_dot4c_i32_i8_e32 v116, v204, v1
	v_mov_b32_e32 v1, 0
	v_dot4c_i32_i8_e32 v1, v207, v4
	v_dot4c_i32_i8_e32 v116, v205, v2
	;; [unrolled: 1-line block ×6, first 2 shown]
	v_mov_b32_e32 v118, 0
	v_mul_lo_u32 v0, v116, v212
	s_nop 0
	v_mad_u64_u32 v[0:1], s[22:23], v1, v213, v[0:1]
	v_cvt_f32_i32_e32 v0, v0
	v_mul_f32_e32 v1, v208, v117
	v_fmac_f32_e32 v27, v1, v0
	ds_read2_b32 v[116:117], v169 offset0:192 offset1:224
	ds_read_b128 v[4:7], v168 offset:6144
	ds_read_b128 v[0:3], v168 offset:6160
	v_add_u32_e32 v169, 4, v169
	s_waitcnt lgkmcnt(1)
	v_dot4c_i32_i8_e32 v118, v170, v4
	v_dot4c_i32_i8_e32 v118, v171, v5
	s_waitcnt lgkmcnt(0)
	v_dot4c_i32_i8_e32 v119, v175, v0
	v_dot4c_i32_i8_e32 v118, v172, v6
	;; [unrolled: 1-line block ×6, first 2 shown]
	s_nop 0
	v_mul_lo_u32 v118, v118, v179
	s_nop 0
	v_mad_u64_u32 v[118:119], s[22:23], v119, v181, v[118:119]
	v_cvt_f32_i32_e32 v118, v118
	v_mul_f32_e32 v119, v174, v116
	v_fmac_f32_e32 v25, v119, v118
	v_mov_b32_e32 v118, 0
	v_dot4c_i32_i8_e32 v118, v180, v4
	v_mov_b32_e32 v119, 0
	v_dot4c_i32_i8_e32 v118, v182, v5
	v_dot4c_i32_i8_e32 v119, v185, v0
	;; [unrolled: 1-line block ×7, first 2 shown]
	s_nop 0
	v_mul_lo_u32 v118, v118, v190
	s_nop 0
	v_mad_u64_u32 v[118:119], s[22:23], v119, v192, v[118:119]
	v_cvt_f32_i32_e32 v118, v118
	v_mul_f32_e32 v119, v186, v116
	v_fmac_f32_e32 v23, v119, v118
	v_mov_b32_e32 v118, 0
	v_dot4c_i32_i8_e32 v118, v191, v4
	v_mov_b32_e32 v119, 0
	v_dot4c_i32_i8_e32 v118, v193, v5
	v_dot4c_i32_i8_e32 v119, v196, v0
	;; [unrolled: 1-line block ×7, first 2 shown]
	s_nop 0
	v_mul_lo_u32 v118, v118, v201
	s_nop 0
	v_mad_u64_u32 v[118:119], s[22:23], v119, v203, v[118:119]
	v_cvt_f32_i32_e32 v118, v118
	v_mul_f32_e32 v119, v197, v116
	v_fmac_f32_e32 v21, v119, v118
	v_mov_b32_e32 v118, 0
	v_dot4c_i32_i8_e32 v118, v202, v4
	v_dot4c_i32_i8_e32 v118, v204, v5
	v_mov_b32_e32 v5, 0
	v_dot4c_i32_i8_e32 v5, v207, v0
	v_dot4c_i32_i8_e32 v118, v205, v6
	;; [unrolled: 1-line block ×6, first 2 shown]
	s_nop 0
	v_mul_lo_u32 v4, v118, v212
	v_mov_b32_e32 v118, 0
	v_mad_u64_u32 v[0:1], s[22:23], v5, v213, v[4:5]
	v_cvt_f32_i32_e32 v0, v0
	v_mul_f32_e32 v1, v208, v116
	v_mov_b32_e32 v116, 0
	v_fmac_f32_e32 v19, v1, v0
	ds_read_b128 v[0:3], v168 offset:7168
	ds_read_b128 v[4:7], v168 offset:7184
	v_add_u32_e32 v168, 32, v168
	s_waitcnt lgkmcnt(1)
	v_dot4c_i32_i8_e32 v116, v170, v0
	v_dot4c_i32_i8_e32 v116, v171, v1
	s_waitcnt lgkmcnt(0)
	v_dot4c_i32_i8_e32 v118, v175, v4
	v_dot4c_i32_i8_e32 v116, v172, v2
	v_dot4c_i32_i8_e32 v118, v176, v5
	v_dot4c_i32_i8_e32 v116, v173, v3
	v_dot4c_i32_i8_e32 v118, v177, v6
	v_dot4c_i32_i8_e32 v118, v178, v7
	s_nop 0
	v_mul_lo_u32 v116, v116, v179
	s_nop 0
	v_mad_u64_u32 v[118:119], s[22:23], v118, v181, v[116:117]
	v_cvt_f32_i32_e32 v118, v118
	v_mul_f32_e32 v116, v174, v117
	v_fmac_f32_e32 v17, v116, v118
	v_mov_b32_e32 v116, 0
	v_dot4c_i32_i8_e32 v116, v180, v0
	v_mov_b32_e32 v118, 0
	v_dot4c_i32_i8_e32 v116, v182, v1
	v_dot4c_i32_i8_e32 v118, v185, v4
	;; [unrolled: 1-line block ×7, first 2 shown]
	s_nop 0
	v_mul_lo_u32 v116, v116, v190
	s_nop 0
	v_mad_u64_u32 v[118:119], s[22:23], v118, v192, v[116:117]
	v_cvt_f32_i32_e32 v118, v118
	v_mul_f32_e32 v116, v186, v117
	v_fmac_f32_e32 v15, v116, v118
	v_mov_b32_e32 v116, 0
	v_dot4c_i32_i8_e32 v116, v191, v0
	v_mov_b32_e32 v118, 0
	v_dot4c_i32_i8_e32 v116, v193, v1
	v_dot4c_i32_i8_e32 v118, v196, v4
	;; [unrolled: 1-line block ×7, first 2 shown]
	s_nop 0
	v_mul_lo_u32 v116, v116, v201
	s_nop 0
	v_mad_u64_u32 v[118:119], s[22:23], v118, v203, v[116:117]
	v_cvt_f32_i32_e32 v118, v118
	v_mul_f32_e32 v116, v197, v117
	v_fmac_f32_e32 v13, v116, v118
	v_mov_b32_e32 v116, 0
	v_dot4c_i32_i8_e32 v116, v202, v0
	v_dot4c_i32_i8_e32 v116, v204, v1
	v_mov_b32_e32 v1, 0
	v_dot4c_i32_i8_e32 v1, v207, v4
	v_dot4c_i32_i8_e32 v116, v205, v2
	;; [unrolled: 1-line block ×6, first 2 shown]
	s_nop 0
	v_mul_lo_u32 v0, v116, v212
	s_nop 0
	v_mad_u64_u32 v[0:1], s[22:23], v1, v213, v[0:1]
	v_cvt_f32_i32_e32 v0, v0
	v_mul_f32_e32 v1, v208, v117
	s_mov_b32 s22, s21
	v_fmac_f32_e32 v9, v1, v0
	s_cbranch_scc1 .LBB170_12
; %bb.13:                               ;   in Loop: Header=BB170_6 Depth=1
	v_add_u32_e32 v170, s18, v142
	v_add_u32_e32 v0, v170, v91
	;; [unrolled: 1-line block ×6, first 2 shown]
	v_mad_i64_i32 v[0:1], s[18:19], v0, 36, v[112:113]
	v_mad_i64_i32 v[2:3], s[18:19], v2, 36, v[112:113]
	;; [unrolled: 1-line block ×4, first 2 shown]
	v_add_u32_e32 v116, v170, v115
	v_add_u32_e32 v118, v170, v121
	;; [unrolled: 1-line block ×4, first 2 shown]
	v_mad_u64_u32 v[172:173], s[18:19], v167, 36, s[2:3]
	s_barrier
	v_mad_i64_i32 v[116:117], s[18:19], v116, 36, v[112:113]
	v_mad_i64_i32 v[118:119], s[18:19], v118, 36, v[112:113]
	v_mad_i64_i32 v[168:169], s[18:19], v168, 36, v[112:113]
	v_mad_i64_i32 v[170:171], s[18:19], v170, 36, v[112:113]
	global_load_dword v172, v[172:173], off
	s_nop 0
	global_load_dword v0, v[0:1], off offset:4
	s_nop 0
	global_load_dword v1, v[2:3], off offset:4
	;; [unrolled: 2-line block ×3, first 2 shown]
	global_load_dword v3, v[6:7], off offset:4
	s_nop 0
	global_load_dword v4, v[116:117], off offset:4
	global_load_dword v5, v[118:119], off offset:4
	;; [unrolled: 1-line block ×4, first 2 shown]
	s_mov_b32 s18, 24
	s_mov_b32 s21, 22
	;; [unrolled: 1-line block ×3, first 2 shown]
	v_mov_b32_e32 v167, v152
	v_mov_b32_e32 v168, v151
	s_waitcnt vmcnt(8)
	v_cvt_f32_f16_e32 v116, v172
	s_waitcnt vmcnt(7)
	ds_write_b32 v95, v0
	s_waitcnt vmcnt(6)
	ds_write_b32 v99, v1
	;; [unrolled: 2-line block ×8, first 2 shown]
	ds_write_b32 v89, v116
	s_waitcnt lgkmcnt(0)
	s_barrier
.LBB170_14:                             ;   Parent Loop BB170_6 Depth=1
                                        ; =>  This Inner Loop Header: Depth=2
	s_add_i32 s20, s21, 2
	s_lshr_b32 s25, s20, 4
	s_and_b32 s24, s20, 0x3ffffff8
	s_lshl_b32 s23, s25, 3
	s_lshl_b32 s24, s24, 2
	v_add_lshl_u32 v178, v128, s23, 2
	v_add_u32_e32 v119, s24, v129
	v_add_u32_e32 v172, 0x4200, v178
	ds_read2_b32 v[116:117], v168 offset1:32
	ds_read_b128 v[4:7], v167
	ds_read_b128 v[0:3], v167 offset:16
	ds_read2_b32 v[170:171], v119 offset1:1
	ds_read2_b32 v[172:173], v172 offset1:1
	s_and_b32 s22, s18, -16
	v_add_u32_e32 v118, s22, v127
	s_sub_i32 s22, s21, 22
	s_waitcnt lgkmcnt(1)
	v_ashrrev_i32_e32 v169, s22, v170
	s_waitcnt lgkmcnt(0)
	v_ashrrev_i32_e32 v172, s19, v172
	v_lshlrev_b32_e32 v172, 2, v172
	v_and_b32_e32 v170, 0x3030303, v169
	v_bfe_u32 v169, v169, 24, 2
	v_and_b32_e32 v172, 0x4040404, v172
	v_sub_u16_e32 v174, v170, v172
	v_sub_u16_sdwa v175, v170, v172 dst_sel:BYTE_1 dst_unused:UNUSED_PAD src0_sel:BYTE_1 src1_sel:BYTE_1
	v_sub_u16_sdwa v169, v169, v172 dst_sel:BYTE_1 dst_unused:UNUSED_PAD src0_sel:DWORD src1_sel:BYTE_3
	v_sub_u16_sdwa v170, v170, v172 dst_sel:DWORD dst_unused:UNUSED_PAD src0_sel:WORD_1 src1_sel:WORD_1
	v_ashrrev_i32_e32 v172, s19, v173
	v_or_b32_sdwa v169, v170, v169 dst_sel:WORD_1 dst_unused:UNUSED_PAD src0_sel:BYTE_0 src1_sel:DWORD
	v_ashrrev_i32_e32 v170, s22, v171
	v_lshlrev_b32_e32 v172, 2, v172
	v_or_b32_sdwa v174, v174, v175 dst_sel:DWORD dst_unused:UNUSED_PAD src0_sel:BYTE_0 src1_sel:DWORD
	v_and_b32_e32 v171, 0x3030303, v170
	v_bfe_u32 v170, v170, 24, 2
	v_and_b32_e32 v172, 0x4040404, v172
	v_or_b32_sdwa v169, v174, v169 dst_sel:DWORD dst_unused:UNUSED_PAD src0_sel:WORD_0 src1_sel:DWORD
	v_sub_u16_e32 v173, v171, v172
	v_sub_u16_sdwa v174, v171, v172 dst_sel:BYTE_1 dst_unused:UNUSED_PAD src0_sel:BYTE_1 src1_sel:BYTE_1
	v_sub_u16_sdwa v170, v170, v172 dst_sel:BYTE_1 dst_unused:UNUSED_PAD src0_sel:DWORD src1_sel:BYTE_3
	v_sub_u16_sdwa v171, v171, v172 dst_sel:DWORD dst_unused:UNUSED_PAD src0_sel:WORD_1 src1_sel:WORD_1
	v_or_b32_sdwa v173, v173, v174 dst_sel:DWORD dst_unused:UNUSED_PAD src0_sel:BYTE_0 src1_sel:DWORD
	v_or_b32_sdwa v170, v171, v170 dst_sel:WORD_1 dst_unused:UNUSED_PAD src0_sel:BYTE_0 src1_sel:DWORD
	v_add_u32_e32 v174, 0x4208, v178
	v_or_b32_sdwa v170, v173, v170 dst_sel:DWORD dst_unused:UNUSED_PAD src0_sel:WORD_0 src1_sel:DWORD
	ds_read2_b32 v[172:173], v119 offset0:2 offset1:3
	ds_read2_b32 v[174:175], v174 offset1:1
	s_lshl_b32 s25, s25, 2
	v_add_lshl_u32 v200, v134, s23, 2
	v_add_lshl_u32 v190, v131, s23, 2
	s_waitcnt lgkmcnt(1)
	v_ashrrev_i32_e32 v171, s22, v172
	s_waitcnt lgkmcnt(0)
	v_ashrrev_i32_e32 v174, s19, v174
	v_lshlrev_b32_e32 v174, 2, v174
	v_and_b32_e32 v172, 0x3030303, v171
	v_bfe_u32 v171, v171, 24, 2
	v_and_b32_e32 v174, 0x4040404, v174
	v_sub_u16_e32 v176, v172, v174
	v_sub_u16_sdwa v177, v172, v174 dst_sel:BYTE_1 dst_unused:UNUSED_PAD src0_sel:BYTE_1 src1_sel:BYTE_1
	v_sub_u16_sdwa v171, v171, v174 dst_sel:BYTE_1 dst_unused:UNUSED_PAD src0_sel:DWORD src1_sel:BYTE_3
	v_sub_u16_sdwa v172, v172, v174 dst_sel:DWORD dst_unused:UNUSED_PAD src0_sel:WORD_1 src1_sel:WORD_1
	v_ashrrev_i32_e32 v174, s19, v175
	v_or_b32_sdwa v171, v172, v171 dst_sel:WORD_1 dst_unused:UNUSED_PAD src0_sel:BYTE_0 src1_sel:DWORD
	v_ashrrev_i32_e32 v172, s22, v173
	v_lshlrev_b32_e32 v174, 2, v174
	v_or_b32_sdwa v176, v176, v177 dst_sel:DWORD dst_unused:UNUSED_PAD src0_sel:BYTE_0 src1_sel:DWORD
	v_and_b32_e32 v173, 0x3030303, v172
	v_bfe_u32 v172, v172, 24, 2
	v_and_b32_e32 v174, 0x4040404, v174
	v_or_b32_sdwa v171, v176, v171 dst_sel:DWORD dst_unused:UNUSED_PAD src0_sel:WORD_0 src1_sel:DWORD
	v_sub_u16_e32 v175, v173, v174
	v_sub_u16_sdwa v176, v173, v174 dst_sel:BYTE_1 dst_unused:UNUSED_PAD src0_sel:BYTE_1 src1_sel:BYTE_1
	v_sub_u16_sdwa v172, v172, v174 dst_sel:BYTE_1 dst_unused:UNUSED_PAD src0_sel:DWORD src1_sel:BYTE_3
	v_sub_u16_sdwa v173, v173, v174 dst_sel:DWORD dst_unused:UNUSED_PAD src0_sel:WORD_1 src1_sel:WORD_1
	v_or_b32_sdwa v175, v175, v176 dst_sel:DWORD dst_unused:UNUSED_PAD src0_sel:BYTE_0 src1_sel:DWORD
	v_or_b32_sdwa v172, v173, v172 dst_sel:WORD_1 dst_unused:UNUSED_PAD src0_sel:BYTE_0 src1_sel:DWORD
	v_add_u32_e32 v176, 0x4210, v178
	v_or_b32_sdwa v172, v175, v172 dst_sel:DWORD dst_unused:UNUSED_PAD src0_sel:WORD_0 src1_sel:DWORD
	ds_read2_b32 v[174:175], v119 offset0:4 offset1:5
	ds_read2_b32 v[176:177], v176 offset1:1
	v_add_u32_e32 v194, 0x4200, v200
	v_add_lshl_u32 v212, v137, s23, 2
	s_add_i32 s18, s18, 2
	s_waitcnt lgkmcnt(1)
	v_ashrrev_i32_e32 v173, s22, v174
	s_waitcnt lgkmcnt(0)
	v_ashrrev_i32_e32 v176, s19, v176
	v_lshlrev_b32_e32 v176, 2, v176
	v_and_b32_e32 v174, 0x3030303, v173
	v_bfe_u32 v173, v173, 24, 2
	v_and_b32_e32 v176, 0x4040404, v176
	v_sub_u16_e32 v179, v174, v176
	v_sub_u16_sdwa v180, v174, v176 dst_sel:BYTE_1 dst_unused:UNUSED_PAD src0_sel:BYTE_1 src1_sel:BYTE_1
	v_sub_u16_sdwa v173, v173, v176 dst_sel:BYTE_1 dst_unused:UNUSED_PAD src0_sel:DWORD src1_sel:BYTE_3
	v_sub_u16_sdwa v174, v174, v176 dst_sel:DWORD dst_unused:UNUSED_PAD src0_sel:WORD_1 src1_sel:WORD_1
	v_or_b32_sdwa v179, v179, v180 dst_sel:DWORD dst_unused:UNUSED_PAD src0_sel:BYTE_0 src1_sel:DWORD
	v_or_b32_sdwa v173, v174, v173 dst_sel:WORD_1 dst_unused:UNUSED_PAD src0_sel:BYTE_0 src1_sel:DWORD
	v_ashrrev_i32_e32 v176, s19, v177
	v_or_b32_sdwa v174, v179, v173 dst_sel:DWORD dst_unused:UNUSED_PAD src0_sel:WORD_0 src1_sel:DWORD
	v_ashrrev_i32_e32 v173, s22, v175
	v_lshlrev_b32_e32 v176, 2, v176
	v_and_b32_e32 v175, 0x3030303, v173
	v_bfe_u32 v173, v173, 24, 2
	v_and_b32_e32 v176, 0x4040404, v176
	v_sub_u16_e32 v177, v175, v176
	v_sub_u16_sdwa v179, v175, v176 dst_sel:BYTE_1 dst_unused:UNUSED_PAD src0_sel:BYTE_1 src1_sel:BYTE_1
	v_sub_u16_sdwa v173, v173, v176 dst_sel:BYTE_1 dst_unused:UNUSED_PAD src0_sel:DWORD src1_sel:BYTE_3
	v_sub_u16_sdwa v175, v175, v176 dst_sel:DWORD dst_unused:UNUSED_PAD src0_sel:WORD_1 src1_sel:WORD_1
	v_or_b32_sdwa v177, v177, v179 dst_sel:DWORD dst_unused:UNUSED_PAD src0_sel:BYTE_0 src1_sel:DWORD
	v_or_b32_sdwa v173, v175, v173 dst_sel:WORD_1 dst_unused:UNUSED_PAD src0_sel:BYTE_0 src1_sel:DWORD
	ds_read2_b32 v[194:195], v194 offset1:1
	v_or_b32_sdwa v175, v177, v173 dst_sel:DWORD dst_unused:UNUSED_PAD src0_sel:WORD_0 src1_sel:DWORD
	ds_read2_b32 v[176:177], v119 offset0:6 offset1:7
	s_waitcnt lgkmcnt(1)
	v_ashrrev_i32_e32 v194, s19, v194
	v_lshlrev_b32_e32 v194, 2, v194
	s_waitcnt lgkmcnt(0)
	v_ashrrev_i32_e32 v119, s22, v176
	v_add_u32_e32 v176, 0x4218, v178
	ds_read2_b32 v[178:179], v176 offset1:1
	v_and_b32_e32 v173, 0x3030303, v119
	v_bfe_u32 v119, v119, 24, 2
	v_and_b32_e32 v194, 0x4040404, v194
	s_waitcnt lgkmcnt(0)
	v_ashrrev_i32_e32 v176, s19, v178
	v_lshlrev_b32_e32 v176, 2, v176
	v_and_b32_e32 v176, 0x4040404, v176
	v_sub_u16_e32 v178, v173, v176
	v_sub_u16_sdwa v180, v173, v176 dst_sel:BYTE_1 dst_unused:UNUSED_PAD src0_sel:BYTE_1 src1_sel:BYTE_1
	v_sub_u16_sdwa v119, v119, v176 dst_sel:BYTE_1 dst_unused:UNUSED_PAD src0_sel:DWORD src1_sel:BYTE_3
	v_sub_u16_sdwa v173, v173, v176 dst_sel:DWORD dst_unused:UNUSED_PAD src0_sel:WORD_1 src1_sel:WORD_1
	v_or_b32_sdwa v178, v178, v180 dst_sel:DWORD dst_unused:UNUSED_PAD src0_sel:BYTE_0 src1_sel:DWORD
	v_or_b32_sdwa v119, v173, v119 dst_sel:WORD_1 dst_unused:UNUSED_PAD src0_sel:BYTE_0 src1_sel:DWORD
	s_nop 0
	v_or_b32_sdwa v176, v178, v119 dst_sel:DWORD dst_unused:UNUSED_PAD src0_sel:WORD_0 src1_sel:DWORD
	v_ashrrev_i32_e32 v119, s22, v177
	v_ashrrev_i32_e32 v177, s19, v179
	v_lshlrev_b32_e32 v177, 2, v177
	v_and_b32_e32 v173, 0x3030303, v119
	v_bfe_u32 v119, v119, 24, 2
	v_and_b32_e32 v177, 0x4040404, v177
	v_sub_u16_e32 v178, v173, v177
	v_sub_u16_sdwa v179, v173, v177 dst_sel:BYTE_1 dst_unused:UNUSED_PAD src0_sel:BYTE_1 src1_sel:BYTE_1
	v_sub_u16_sdwa v119, v119, v177 dst_sel:BYTE_1 dst_unused:UNUSED_PAD src0_sel:DWORD src1_sel:BYTE_3
	v_sub_u16_sdwa v173, v173, v177 dst_sel:DWORD dst_unused:UNUSED_PAD src0_sel:WORD_1 src1_sel:WORD_1
	v_or_b32_sdwa v178, v178, v179 dst_sel:DWORD dst_unused:UNUSED_PAD src0_sel:BYTE_0 src1_sel:DWORD
	v_or_b32_sdwa v119, v173, v119 dst_sel:WORD_1 dst_unused:UNUSED_PAD src0_sel:BYTE_0 src1_sel:DWORD
	v_add_u32_e32 v173, s25, v130
	v_or_b32_sdwa v177, v178, v119 dst_sel:DWORD dst_unused:UNUSED_PAD src0_sel:WORD_0 src1_sel:DWORD
	v_add3_u32 v119, v143, s21, v118
	ds_read_b32 v173, v173
	ds_read_u16 v119, v119 offset:33522
	v_mov_b32_e32 v179, 0
	v_dot4c_i32_i8_e32 v179, v169, v4
	v_dot4c_i32_i8_e32 v179, v170, v5
	v_dot4c_i32_i8_e32 v179, v171, v6
	s_waitcnt lgkmcnt(0)
	v_lshrrev_b16_e32 v180, 8, v119
	v_bfe_i32 v178, v119, 0, 8
	v_mov_b32_e32 v119, 0
	v_dot4c_i32_i8_e32 v119, v174, v0
	v_dot4c_i32_i8_e32 v119, v175, v1
	;; [unrolled: 1-line block ×5, first 2 shown]
	v_bfe_i32 v180, v180, 0, 8
	v_mul_lo_u32 v182, v179, v178
	s_nop 0
	v_mad_u64_u32 v[182:183], s[26:27], v119, v180, v[182:183]
	v_cvt_f32_i32_e32 v179, v182
	v_mul_f32_e32 v119, v116, v173
	v_fmac_f32_e32 v101, v119, v179
	v_add_u32_e32 v119, s24, v132
	ds_read2_b32 v[182:183], v119 offset1:1
	s_waitcnt lgkmcnt(0)
	v_ashrrev_i32_e32 v179, s22, v182
	v_add_u32_e32 v182, 0x4200, v190
	ds_read2_b32 v[184:185], v182 offset1:1
	v_and_b32_e32 v181, 0x3030303, v179
	v_bfe_u32 v179, v179, 24, 2
	s_waitcnt lgkmcnt(0)
	v_ashrrev_i32_e32 v182, s19, v184
	v_lshlrev_b32_e32 v182, 2, v182
	v_and_b32_e32 v182, 0x4040404, v182
	v_sub_u16_e32 v184, v181, v182
	v_sub_u16_sdwa v186, v181, v182 dst_sel:BYTE_1 dst_unused:UNUSED_PAD src0_sel:BYTE_1 src1_sel:BYTE_1
	v_sub_u16_sdwa v179, v179, v182 dst_sel:BYTE_1 dst_unused:UNUSED_PAD src0_sel:DWORD src1_sel:BYTE_3
	v_sub_u16_sdwa v181, v181, v182 dst_sel:DWORD dst_unused:UNUSED_PAD src0_sel:WORD_1 src1_sel:WORD_1
	v_or_b32_sdwa v179, v181, v179 dst_sel:WORD_1 dst_unused:UNUSED_PAD src0_sel:BYTE_0 src1_sel:DWORD
	v_ashrrev_i32_e32 v181, s22, v183
	v_ashrrev_i32_e32 v183, s19, v185
	v_lshlrev_b32_e32 v183, 2, v183
	v_or_b32_sdwa v184, v184, v186 dst_sel:DWORD dst_unused:UNUSED_PAD src0_sel:BYTE_0 src1_sel:DWORD
	v_and_b32_e32 v182, 0x3030303, v181
	v_bfe_u32 v181, v181, 24, 2
	v_and_b32_e32 v183, 0x4040404, v183
	v_or_b32_sdwa v179, v184, v179 dst_sel:DWORD dst_unused:UNUSED_PAD src0_sel:WORD_0 src1_sel:DWORD
	v_sub_u16_e32 v184, v182, v183
	v_sub_u16_sdwa v185, v182, v183 dst_sel:BYTE_1 dst_unused:UNUSED_PAD src0_sel:BYTE_1 src1_sel:BYTE_1
	v_sub_u16_sdwa v181, v181, v183 dst_sel:BYTE_1 dst_unused:UNUSED_PAD src0_sel:DWORD src1_sel:BYTE_3
	v_sub_u16_sdwa v182, v182, v183 dst_sel:DWORD dst_unused:UNUSED_PAD src0_sel:WORD_1 src1_sel:WORD_1
	v_or_b32_sdwa v184, v184, v185 dst_sel:DWORD dst_unused:UNUSED_PAD src0_sel:BYTE_0 src1_sel:DWORD
	v_or_b32_sdwa v181, v182, v181 dst_sel:WORD_1 dst_unused:UNUSED_PAD src0_sel:BYTE_0 src1_sel:DWORD
	ds_read2_b32 v[182:183], v119 offset0:2 offset1:3
	v_or_b32_sdwa v181, v184, v181 dst_sel:DWORD dst_unused:UNUSED_PAD src0_sel:WORD_0 src1_sel:DWORD
	v_add_u32_e32 v184, 0x4208, v190
	ds_read2_b32 v[184:185], v184 offset1:1
	s_waitcnt lgkmcnt(1)
	v_ashrrev_i32_e32 v182, s22, v182
	v_and_b32_e32 v186, 0x3030303, v182
	v_bfe_u32 v182, v182, 24, 2
	s_waitcnt lgkmcnt(0)
	v_ashrrev_i32_e32 v184, s19, v184
	v_lshlrev_b32_e32 v184, 2, v184
	v_and_b32_e32 v184, 0x4040404, v184
	v_ashrrev_i32_e32 v185, s19, v185
	v_sub_u16_e32 v187, v186, v184
	v_sub_u16_sdwa v188, v186, v184 dst_sel:BYTE_1 dst_unused:UNUSED_PAD src0_sel:BYTE_1 src1_sel:BYTE_1
	v_sub_u16_sdwa v182, v182, v184 dst_sel:BYTE_1 dst_unused:UNUSED_PAD src0_sel:DWORD src1_sel:BYTE_3
	v_sub_u16_sdwa v184, v186, v184 dst_sel:DWORD dst_unused:UNUSED_PAD src0_sel:WORD_1 src1_sel:WORD_1
	v_ashrrev_i32_e32 v183, s22, v183
	v_lshlrev_b32_e32 v185, 2, v185
	v_or_b32_sdwa v187, v187, v188 dst_sel:DWORD dst_unused:UNUSED_PAD src0_sel:BYTE_0 src1_sel:DWORD
	v_or_b32_sdwa v182, v184, v182 dst_sel:WORD_1 dst_unused:UNUSED_PAD src0_sel:BYTE_0 src1_sel:DWORD
	v_and_b32_e32 v184, 0x3030303, v183
	v_bfe_u32 v183, v183, 24, 2
	v_and_b32_e32 v185, 0x4040404, v185
	v_or_b32_sdwa v182, v187, v182 dst_sel:DWORD dst_unused:UNUSED_PAD src0_sel:WORD_0 src1_sel:DWORD
	v_sub_u16_e32 v186, v184, v185
	v_sub_u16_sdwa v187, v184, v185 dst_sel:BYTE_1 dst_unused:UNUSED_PAD src0_sel:BYTE_1 src1_sel:BYTE_1
	v_sub_u16_sdwa v183, v183, v185 dst_sel:BYTE_1 dst_unused:UNUSED_PAD src0_sel:DWORD src1_sel:BYTE_3
	v_sub_u16_sdwa v184, v184, v185 dst_sel:DWORD dst_unused:UNUSED_PAD src0_sel:WORD_1 src1_sel:WORD_1
	v_or_b32_sdwa v186, v186, v187 dst_sel:DWORD dst_unused:UNUSED_PAD src0_sel:BYTE_0 src1_sel:DWORD
	v_or_b32_sdwa v183, v184, v183 dst_sel:WORD_1 dst_unused:UNUSED_PAD src0_sel:BYTE_0 src1_sel:DWORD
	ds_read2_b32 v[184:185], v119 offset0:4 offset1:5
	v_or_b32_sdwa v183, v186, v183 dst_sel:DWORD dst_unused:UNUSED_PAD src0_sel:WORD_0 src1_sel:DWORD
	v_add_u32_e32 v186, 0x4210, v190
	ds_read2_b32 v[186:187], v186 offset1:1
	s_waitcnt lgkmcnt(1)
	v_ashrrev_i32_e32 v184, s22, v184
	v_and_b32_e32 v188, 0x3030303, v184
	v_bfe_u32 v184, v184, 24, 2
	s_waitcnt lgkmcnt(0)
	v_ashrrev_i32_e32 v186, s19, v186
	v_lshlrev_b32_e32 v186, 2, v186
	v_and_b32_e32 v186, 0x4040404, v186
	v_ashrrev_i32_e32 v187, s19, v187
	v_sub_u16_e32 v189, v188, v186
	v_sub_u16_sdwa v191, v188, v186 dst_sel:BYTE_1 dst_unused:UNUSED_PAD src0_sel:BYTE_1 src1_sel:BYTE_1
	v_sub_u16_sdwa v184, v184, v186 dst_sel:BYTE_1 dst_unused:UNUSED_PAD src0_sel:DWORD src1_sel:BYTE_3
	v_sub_u16_sdwa v186, v188, v186 dst_sel:DWORD dst_unused:UNUSED_PAD src0_sel:WORD_1 src1_sel:WORD_1
	v_ashrrev_i32_e32 v185, s22, v185
	v_lshlrev_b32_e32 v187, 2, v187
	v_or_b32_sdwa v189, v189, v191 dst_sel:DWORD dst_unused:UNUSED_PAD src0_sel:BYTE_0 src1_sel:DWORD
	v_or_b32_sdwa v184, v186, v184 dst_sel:WORD_1 dst_unused:UNUSED_PAD src0_sel:BYTE_0 src1_sel:DWORD
	v_and_b32_e32 v186, 0x3030303, v185
	v_bfe_u32 v185, v185, 24, 2
	v_and_b32_e32 v187, 0x4040404, v187
	v_or_b32_sdwa v184, v189, v184 dst_sel:DWORD dst_unused:UNUSED_PAD src0_sel:WORD_0 src1_sel:DWORD
	v_sub_u16_e32 v188, v186, v187
	v_sub_u16_sdwa v189, v186, v187 dst_sel:BYTE_1 dst_unused:UNUSED_PAD src0_sel:BYTE_1 src1_sel:BYTE_1
	v_sub_u16_sdwa v185, v185, v187 dst_sel:BYTE_1 dst_unused:UNUSED_PAD src0_sel:DWORD src1_sel:BYTE_3
	v_sub_u16_sdwa v186, v186, v187 dst_sel:DWORD dst_unused:UNUSED_PAD src0_sel:WORD_1 src1_sel:WORD_1
	v_or_b32_sdwa v188, v188, v189 dst_sel:DWORD dst_unused:UNUSED_PAD src0_sel:BYTE_0 src1_sel:DWORD
	v_or_b32_sdwa v185, v186, v185 dst_sel:WORD_1 dst_unused:UNUSED_PAD src0_sel:BYTE_0 src1_sel:DWORD
	v_add_u32_e32 v187, 0x4218, v190
	v_or_b32_sdwa v186, v188, v185 dst_sel:DWORD dst_unused:UNUSED_PAD src0_sel:WORD_0 src1_sel:DWORD
	ds_read2_b32 v[188:189], v119 offset0:6 offset1:7
	ds_read2_b32 v[190:191], v187 offset1:1
	s_waitcnt lgkmcnt(1)
	v_ashrrev_i32_e32 v119, s22, v188
	s_waitcnt lgkmcnt(0)
	v_ashrrev_i32_e32 v187, s19, v190
	v_lshlrev_b32_e32 v187, 2, v187
	v_and_b32_e32 v185, 0x3030303, v119
	v_bfe_u32 v119, v119, 24, 2
	v_and_b32_e32 v187, 0x4040404, v187
	v_sub_u16_e32 v188, v185, v187
	v_sub_u16_sdwa v190, v185, v187 dst_sel:BYTE_1 dst_unused:UNUSED_PAD src0_sel:BYTE_1 src1_sel:BYTE_1
	v_sub_u16_sdwa v119, v119, v187 dst_sel:BYTE_1 dst_unused:UNUSED_PAD src0_sel:DWORD src1_sel:BYTE_3
	v_sub_u16_sdwa v185, v185, v187 dst_sel:DWORD dst_unused:UNUSED_PAD src0_sel:WORD_1 src1_sel:WORD_1
	v_or_b32_sdwa v188, v188, v190 dst_sel:DWORD dst_unused:UNUSED_PAD src0_sel:BYTE_0 src1_sel:DWORD
	v_or_b32_sdwa v119, v185, v119 dst_sel:WORD_1 dst_unused:UNUSED_PAD src0_sel:BYTE_0 src1_sel:DWORD
	s_nop 0
	v_or_b32_sdwa v187, v188, v119 dst_sel:DWORD dst_unused:UNUSED_PAD src0_sel:WORD_0 src1_sel:DWORD
	v_ashrrev_i32_e32 v188, s19, v191
	v_ashrrev_i32_e32 v119, s22, v189
	v_lshlrev_b32_e32 v188, 2, v188
	v_and_b32_e32 v185, 0x3030303, v119
	v_bfe_u32 v119, v119, 24, 2
	v_and_b32_e32 v188, 0x4040404, v188
	v_sub_u16_e32 v189, v185, v188
	v_sub_u16_sdwa v190, v185, v188 dst_sel:BYTE_1 dst_unused:UNUSED_PAD src0_sel:BYTE_1 src1_sel:BYTE_1
	v_sub_u16_sdwa v119, v119, v188 dst_sel:BYTE_1 dst_unused:UNUSED_PAD src0_sel:DWORD src1_sel:BYTE_3
	v_sub_u16_sdwa v185, v185, v188 dst_sel:DWORD dst_unused:UNUSED_PAD src0_sel:WORD_1 src1_sel:WORD_1
	v_or_b32_sdwa v189, v189, v190 dst_sel:DWORD dst_unused:UNUSED_PAD src0_sel:BYTE_0 src1_sel:DWORD
	v_or_b32_sdwa v119, v185, v119 dst_sel:WORD_1 dst_unused:UNUSED_PAD src0_sel:BYTE_0 src1_sel:DWORD
	v_add_u32_e32 v185, s25, v133
	v_or_b32_sdwa v188, v189, v119 dst_sel:DWORD dst_unused:UNUSED_PAD src0_sel:WORD_0 src1_sel:DWORD
	v_add3_u32 v119, v145, s21, v118
	ds_read_b32 v185, v185
	ds_read_u16 v119, v119 offset:34546
	v_mov_b32_e32 v190, 0
	v_dot4c_i32_i8_e32 v190, v179, v4
	v_dot4c_i32_i8_e32 v190, v181, v5
	;; [unrolled: 1-line block ×3, first 2 shown]
	s_waitcnt lgkmcnt(0)
	v_lshrrev_b16_e32 v191, 8, v119
	v_bfe_i32 v189, v119, 0, 8
	v_mov_b32_e32 v119, 0
	v_dot4c_i32_i8_e32 v119, v184, v0
	v_dot4c_i32_i8_e32 v119, v186, v1
	v_dot4c_i32_i8_e32 v190, v183, v7
	v_dot4c_i32_i8_e32 v119, v187, v2
	v_dot4c_i32_i8_e32 v119, v188, v3
	v_bfe_i32 v191, v191, 0, 8
	v_mul_lo_u32 v190, v190, v189
	s_nop 0
	v_mad_u64_u32 v[192:193], s[26:27], v119, v191, v[190:191]
	v_cvt_f32_i32_e32 v190, v192
	v_mul_f32_e32 v119, v116, v185
	v_fmac_f32_e32 v87, v119, v190
	v_add_u32_e32 v119, s24, v135
	ds_read2_b32 v[192:193], v119 offset1:1
	s_waitcnt lgkmcnt(0)
	v_ashrrev_i32_e32 v190, s22, v192
	v_and_b32_e32 v192, 0x3030303, v190
	v_bfe_u32 v190, v190, 24, 2
	v_sub_u16_e32 v196, v192, v194
	v_sub_u16_sdwa v197, v192, v194 dst_sel:BYTE_1 dst_unused:UNUSED_PAD src0_sel:BYTE_1 src1_sel:BYTE_1
	v_sub_u16_sdwa v190, v190, v194 dst_sel:BYTE_1 dst_unused:UNUSED_PAD src0_sel:DWORD src1_sel:BYTE_3
	v_sub_u16_sdwa v192, v192, v194 dst_sel:DWORD dst_unused:UNUSED_PAD src0_sel:WORD_1 src1_sel:WORD_1
	v_ashrrev_i32_e32 v194, s19, v195
	v_or_b32_sdwa v190, v192, v190 dst_sel:WORD_1 dst_unused:UNUSED_PAD src0_sel:BYTE_0 src1_sel:DWORD
	v_ashrrev_i32_e32 v192, s22, v193
	v_lshlrev_b32_e32 v194, 2, v194
	v_or_b32_sdwa v196, v196, v197 dst_sel:DWORD dst_unused:UNUSED_PAD src0_sel:BYTE_0 src1_sel:DWORD
	v_and_b32_e32 v193, 0x3030303, v192
	v_bfe_u32 v192, v192, 24, 2
	v_and_b32_e32 v194, 0x4040404, v194
	v_or_b32_sdwa v190, v196, v190 dst_sel:DWORD dst_unused:UNUSED_PAD src0_sel:WORD_0 src1_sel:DWORD
	v_sub_u16_e32 v195, v193, v194
	v_sub_u16_sdwa v196, v193, v194 dst_sel:BYTE_1 dst_unused:UNUSED_PAD src0_sel:BYTE_1 src1_sel:BYTE_1
	v_sub_u16_sdwa v192, v192, v194 dst_sel:BYTE_1 dst_unused:UNUSED_PAD src0_sel:DWORD src1_sel:BYTE_3
	v_sub_u16_sdwa v193, v193, v194 dst_sel:DWORD dst_unused:UNUSED_PAD src0_sel:WORD_1 src1_sel:WORD_1
	v_or_b32_sdwa v195, v195, v196 dst_sel:DWORD dst_unused:UNUSED_PAD src0_sel:BYTE_0 src1_sel:DWORD
	v_or_b32_sdwa v192, v193, v192 dst_sel:WORD_1 dst_unused:UNUSED_PAD src0_sel:BYTE_0 src1_sel:DWORD
	v_add_u32_e32 v196, 0x4208, v200
	v_or_b32_sdwa v192, v195, v192 dst_sel:DWORD dst_unused:UNUSED_PAD src0_sel:WORD_0 src1_sel:DWORD
	ds_read2_b32 v[194:195], v119 offset0:2 offset1:3
	ds_read2_b32 v[196:197], v196 offset1:1
	s_waitcnt lgkmcnt(1)
	v_ashrrev_i32_e32 v193, s22, v194
	s_waitcnt lgkmcnt(0)
	v_ashrrev_i32_e32 v196, s19, v196
	v_lshlrev_b32_e32 v196, 2, v196
	v_and_b32_e32 v194, 0x3030303, v193
	v_bfe_u32 v193, v193, 24, 2
	v_and_b32_e32 v196, 0x4040404, v196
	v_sub_u16_e32 v198, v194, v196
	v_sub_u16_sdwa v199, v194, v196 dst_sel:BYTE_1 dst_unused:UNUSED_PAD src0_sel:BYTE_1 src1_sel:BYTE_1
	v_sub_u16_sdwa v193, v193, v196 dst_sel:BYTE_1 dst_unused:UNUSED_PAD src0_sel:DWORD src1_sel:BYTE_3
	v_sub_u16_sdwa v194, v194, v196 dst_sel:DWORD dst_unused:UNUSED_PAD src0_sel:WORD_1 src1_sel:WORD_1
	v_ashrrev_i32_e32 v196, s19, v197
	v_or_b32_sdwa v193, v194, v193 dst_sel:WORD_1 dst_unused:UNUSED_PAD src0_sel:BYTE_0 src1_sel:DWORD
	v_ashrrev_i32_e32 v194, s22, v195
	v_lshlrev_b32_e32 v196, 2, v196
	v_or_b32_sdwa v198, v198, v199 dst_sel:DWORD dst_unused:UNUSED_PAD src0_sel:BYTE_0 src1_sel:DWORD
	v_and_b32_e32 v195, 0x3030303, v194
	v_bfe_u32 v194, v194, 24, 2
	v_and_b32_e32 v196, 0x4040404, v196
	v_or_b32_sdwa v193, v198, v193 dst_sel:DWORD dst_unused:UNUSED_PAD src0_sel:WORD_0 src1_sel:DWORD
	v_sub_u16_e32 v197, v195, v196
	v_sub_u16_sdwa v198, v195, v196 dst_sel:BYTE_1 dst_unused:UNUSED_PAD src0_sel:BYTE_1 src1_sel:BYTE_1
	v_sub_u16_sdwa v194, v194, v196 dst_sel:BYTE_1 dst_unused:UNUSED_PAD src0_sel:DWORD src1_sel:BYTE_3
	v_sub_u16_sdwa v195, v195, v196 dst_sel:DWORD dst_unused:UNUSED_PAD src0_sel:WORD_1 src1_sel:WORD_1
	v_or_b32_sdwa v197, v197, v198 dst_sel:DWORD dst_unused:UNUSED_PAD src0_sel:BYTE_0 src1_sel:DWORD
	v_or_b32_sdwa v194, v195, v194 dst_sel:WORD_1 dst_unused:UNUSED_PAD src0_sel:BYTE_0 src1_sel:DWORD
	v_add_u32_e32 v198, 0x4210, v200
	v_or_b32_sdwa v194, v197, v194 dst_sel:DWORD dst_unused:UNUSED_PAD src0_sel:WORD_0 src1_sel:DWORD
	ds_read2_b32 v[196:197], v119 offset0:4 offset1:5
	ds_read2_b32 v[198:199], v198 offset1:1
	s_waitcnt lgkmcnt(1)
	v_ashrrev_i32_e32 v195, s22, v196
	s_waitcnt lgkmcnt(0)
	v_ashrrev_i32_e32 v198, s19, v198
	v_lshlrev_b32_e32 v198, 2, v198
	v_and_b32_e32 v196, 0x3030303, v195
	v_bfe_u32 v195, v195, 24, 2
	v_and_b32_e32 v198, 0x4040404, v198
	v_sub_u16_e32 v201, v196, v198
	v_sub_u16_sdwa v202, v196, v198 dst_sel:BYTE_1 dst_unused:UNUSED_PAD src0_sel:BYTE_1 src1_sel:BYTE_1
	v_sub_u16_sdwa v195, v195, v198 dst_sel:BYTE_1 dst_unused:UNUSED_PAD src0_sel:DWORD src1_sel:BYTE_3
	v_sub_u16_sdwa v196, v196, v198 dst_sel:DWORD dst_unused:UNUSED_PAD src0_sel:WORD_1 src1_sel:WORD_1
	v_ashrrev_i32_e32 v198, s19, v199
	v_or_b32_sdwa v195, v196, v195 dst_sel:WORD_1 dst_unused:UNUSED_PAD src0_sel:BYTE_0 src1_sel:DWORD
	v_ashrrev_i32_e32 v196, s22, v197
	v_lshlrev_b32_e32 v198, 2, v198
	v_or_b32_sdwa v201, v201, v202 dst_sel:DWORD dst_unused:UNUSED_PAD src0_sel:BYTE_0 src1_sel:DWORD
	v_and_b32_e32 v197, 0x3030303, v196
	v_bfe_u32 v196, v196, 24, 2
	v_and_b32_e32 v198, 0x4040404, v198
	v_or_b32_sdwa v195, v201, v195 dst_sel:DWORD dst_unused:UNUSED_PAD src0_sel:WORD_0 src1_sel:DWORD
	v_sub_u16_e32 v199, v197, v198
	v_sub_u16_sdwa v201, v197, v198 dst_sel:BYTE_1 dst_unused:UNUSED_PAD src0_sel:BYTE_1 src1_sel:BYTE_1
	v_sub_u16_sdwa v196, v196, v198 dst_sel:BYTE_1 dst_unused:UNUSED_PAD src0_sel:DWORD src1_sel:BYTE_3
	v_sub_u16_sdwa v197, v197, v198 dst_sel:DWORD dst_unused:UNUSED_PAD src0_sel:WORD_1 src1_sel:WORD_1
	v_or_b32_sdwa v199, v199, v201 dst_sel:DWORD dst_unused:UNUSED_PAD src0_sel:BYTE_0 src1_sel:DWORD
	v_or_b32_sdwa v196, v197, v196 dst_sel:WORD_1 dst_unused:UNUSED_PAD src0_sel:BYTE_0 src1_sel:DWORD
	s_nop 0
	v_or_b32_sdwa v197, v199, v196 dst_sel:DWORD dst_unused:UNUSED_PAD src0_sel:WORD_0 src1_sel:DWORD
	ds_read2_b32 v[198:199], v119 offset0:6 offset1:7
	s_waitcnt lgkmcnt(0)
	v_ashrrev_i32_e32 v119, s22, v198
	v_add_u32_e32 v198, 0x4218, v200
	ds_read2_b32 v[200:201], v198 offset1:1
	v_and_b32_e32 v196, 0x3030303, v119
	v_bfe_u32 v119, v119, 24, 2
	s_waitcnt lgkmcnt(0)
	v_ashrrev_i32_e32 v198, s19, v200
	v_lshlrev_b32_e32 v198, 2, v198
	v_and_b32_e32 v198, 0x4040404, v198
	v_sub_u16_e32 v200, v196, v198
	v_sub_u16_sdwa v202, v196, v198 dst_sel:BYTE_1 dst_unused:UNUSED_PAD src0_sel:BYTE_1 src1_sel:BYTE_1
	v_sub_u16_sdwa v119, v119, v198 dst_sel:BYTE_1 dst_unused:UNUSED_PAD src0_sel:DWORD src1_sel:BYTE_3
	v_sub_u16_sdwa v196, v196, v198 dst_sel:DWORD dst_unused:UNUSED_PAD src0_sel:WORD_1 src1_sel:WORD_1
	v_or_b32_sdwa v200, v200, v202 dst_sel:DWORD dst_unused:UNUSED_PAD src0_sel:BYTE_0 src1_sel:DWORD
	v_or_b32_sdwa v119, v196, v119 dst_sel:WORD_1 dst_unused:UNUSED_PAD src0_sel:BYTE_0 src1_sel:DWORD
	s_nop 0
	v_or_b32_sdwa v198, v200, v119 dst_sel:DWORD dst_unused:UNUSED_PAD src0_sel:WORD_0 src1_sel:DWORD
	v_ashrrev_i32_e32 v119, s22, v199
	v_ashrrev_i32_e32 v199, s19, v201
	v_lshlrev_b32_e32 v199, 2, v199
	v_and_b32_e32 v196, 0x3030303, v119
	v_bfe_u32 v119, v119, 24, 2
	v_and_b32_e32 v199, 0x4040404, v199
	v_sub_u16_e32 v200, v196, v199
	v_sub_u16_sdwa v201, v196, v199 dst_sel:BYTE_1 dst_unused:UNUSED_PAD src0_sel:BYTE_1 src1_sel:BYTE_1
	v_sub_u16_sdwa v119, v119, v199 dst_sel:BYTE_1 dst_unused:UNUSED_PAD src0_sel:DWORD src1_sel:BYTE_3
	v_sub_u16_sdwa v196, v196, v199 dst_sel:DWORD dst_unused:UNUSED_PAD src0_sel:WORD_1 src1_sel:WORD_1
	v_or_b32_sdwa v200, v200, v201 dst_sel:DWORD dst_unused:UNUSED_PAD src0_sel:BYTE_0 src1_sel:DWORD
	v_or_b32_sdwa v119, v196, v119 dst_sel:WORD_1 dst_unused:UNUSED_PAD src0_sel:BYTE_0 src1_sel:DWORD
	v_add_u32_e32 v196, s25, v136
	v_or_b32_sdwa v199, v200, v119 dst_sel:DWORD dst_unused:UNUSED_PAD src0_sel:WORD_0 src1_sel:DWORD
	v_add3_u32 v119, v147, s21, v118
	ds_read_b32 v196, v196
	ds_read_u16 v119, v119 offset:35570
	v_mov_b32_e32 v201, 0
	v_dot4c_i32_i8_e32 v201, v190, v4
	v_dot4c_i32_i8_e32 v201, v192, v5
	;; [unrolled: 1-line block ×3, first 2 shown]
	s_waitcnt lgkmcnt(0)
	v_lshrrev_b16_e32 v202, 8, v119
	v_bfe_i32 v200, v119, 0, 8
	v_mov_b32_e32 v119, 0
	v_dot4c_i32_i8_e32 v119, v195, v0
	v_dot4c_i32_i8_e32 v119, v197, v1
	;; [unrolled: 1-line block ×5, first 2 shown]
	v_bfe_i32 v202, v202, 0, 8
	v_mul_lo_u32 v204, v201, v200
	v_add3_u32 v118, v149, s21, v118
	v_mad_u64_u32 v[204:205], s[26:27], v119, v202, v[204:205]
	v_cvt_f32_i32_e32 v201, v204
	v_mul_f32_e32 v119, v116, v196
	s_mov_b32 s21, s20
	v_fmac_f32_e32 v85, v119, v201
	v_add_u32_e32 v119, s24, v138
	ds_read2_b32 v[204:205], v119 offset1:1
	s_waitcnt lgkmcnt(0)
	v_ashrrev_i32_e32 v201, s22, v204
	v_add_u32_e32 v204, 0x4200, v212
	ds_read2_b32 v[206:207], v204 offset1:1
	v_and_b32_e32 v203, 0x3030303, v201
	v_bfe_u32 v201, v201, 24, 2
	s_waitcnt lgkmcnt(0)
	v_ashrrev_i32_e32 v204, s19, v206
	v_lshlrev_b32_e32 v204, 2, v204
	v_and_b32_e32 v204, 0x4040404, v204
	v_sub_u16_e32 v206, v203, v204
	v_sub_u16_sdwa v208, v203, v204 dst_sel:BYTE_1 dst_unused:UNUSED_PAD src0_sel:BYTE_1 src1_sel:BYTE_1
	v_sub_u16_sdwa v201, v201, v204 dst_sel:BYTE_1 dst_unused:UNUSED_PAD src0_sel:DWORD src1_sel:BYTE_3
	v_sub_u16_sdwa v203, v203, v204 dst_sel:DWORD dst_unused:UNUSED_PAD src0_sel:WORD_1 src1_sel:WORD_1
	v_or_b32_sdwa v201, v203, v201 dst_sel:WORD_1 dst_unused:UNUSED_PAD src0_sel:BYTE_0 src1_sel:DWORD
	v_ashrrev_i32_e32 v203, s22, v205
	v_ashrrev_i32_e32 v205, s19, v207
	v_lshlrev_b32_e32 v205, 2, v205
	v_or_b32_sdwa v206, v206, v208 dst_sel:DWORD dst_unused:UNUSED_PAD src0_sel:BYTE_0 src1_sel:DWORD
	v_and_b32_e32 v204, 0x3030303, v203
	v_bfe_u32 v203, v203, 24, 2
	v_and_b32_e32 v205, 0x4040404, v205
	v_or_b32_sdwa v201, v206, v201 dst_sel:DWORD dst_unused:UNUSED_PAD src0_sel:WORD_0 src1_sel:DWORD
	v_sub_u16_e32 v206, v204, v205
	v_sub_u16_sdwa v207, v204, v205 dst_sel:BYTE_1 dst_unused:UNUSED_PAD src0_sel:BYTE_1 src1_sel:BYTE_1
	v_sub_u16_sdwa v203, v203, v205 dst_sel:BYTE_1 dst_unused:UNUSED_PAD src0_sel:DWORD src1_sel:BYTE_3
	v_sub_u16_sdwa v204, v204, v205 dst_sel:DWORD dst_unused:UNUSED_PAD src0_sel:WORD_1 src1_sel:WORD_1
	v_or_b32_sdwa v206, v206, v207 dst_sel:DWORD dst_unused:UNUSED_PAD src0_sel:BYTE_0 src1_sel:DWORD
	v_or_b32_sdwa v203, v204, v203 dst_sel:WORD_1 dst_unused:UNUSED_PAD src0_sel:BYTE_0 src1_sel:DWORD
	ds_read2_b32 v[204:205], v119 offset0:2 offset1:3
	v_or_b32_sdwa v203, v206, v203 dst_sel:DWORD dst_unused:UNUSED_PAD src0_sel:WORD_0 src1_sel:DWORD
	v_add_u32_e32 v206, 0x4208, v212
	ds_read2_b32 v[206:207], v206 offset1:1
	s_waitcnt lgkmcnt(1)
	v_ashrrev_i32_e32 v204, s22, v204
	v_and_b32_e32 v208, 0x3030303, v204
	v_bfe_u32 v204, v204, 24, 2
	s_waitcnt lgkmcnt(0)
	v_ashrrev_i32_e32 v206, s19, v206
	v_lshlrev_b32_e32 v206, 2, v206
	v_and_b32_e32 v206, 0x4040404, v206
	v_ashrrev_i32_e32 v207, s19, v207
	v_sub_u16_e32 v209, v208, v206
	v_sub_u16_sdwa v210, v208, v206 dst_sel:BYTE_1 dst_unused:UNUSED_PAD src0_sel:BYTE_1 src1_sel:BYTE_1
	v_sub_u16_sdwa v204, v204, v206 dst_sel:BYTE_1 dst_unused:UNUSED_PAD src0_sel:DWORD src1_sel:BYTE_3
	v_sub_u16_sdwa v206, v208, v206 dst_sel:DWORD dst_unused:UNUSED_PAD src0_sel:WORD_1 src1_sel:WORD_1
	v_ashrrev_i32_e32 v205, s22, v205
	v_lshlrev_b32_e32 v207, 2, v207
	v_or_b32_sdwa v209, v209, v210 dst_sel:DWORD dst_unused:UNUSED_PAD src0_sel:BYTE_0 src1_sel:DWORD
	v_or_b32_sdwa v204, v206, v204 dst_sel:WORD_1 dst_unused:UNUSED_PAD src0_sel:BYTE_0 src1_sel:DWORD
	v_and_b32_e32 v206, 0x3030303, v205
	v_bfe_u32 v205, v205, 24, 2
	v_and_b32_e32 v207, 0x4040404, v207
	v_or_b32_sdwa v204, v209, v204 dst_sel:DWORD dst_unused:UNUSED_PAD src0_sel:WORD_0 src1_sel:DWORD
	v_sub_u16_e32 v208, v206, v207
	v_sub_u16_sdwa v209, v206, v207 dst_sel:BYTE_1 dst_unused:UNUSED_PAD src0_sel:BYTE_1 src1_sel:BYTE_1
	v_sub_u16_sdwa v205, v205, v207 dst_sel:BYTE_1 dst_unused:UNUSED_PAD src0_sel:DWORD src1_sel:BYTE_3
	v_sub_u16_sdwa v206, v206, v207 dst_sel:DWORD dst_unused:UNUSED_PAD src0_sel:WORD_1 src1_sel:WORD_1
	v_or_b32_sdwa v208, v208, v209 dst_sel:DWORD dst_unused:UNUSED_PAD src0_sel:BYTE_0 src1_sel:DWORD
	v_or_b32_sdwa v205, v206, v205 dst_sel:WORD_1 dst_unused:UNUSED_PAD src0_sel:BYTE_0 src1_sel:DWORD
	ds_read2_b32 v[206:207], v119 offset0:4 offset1:5
	v_or_b32_sdwa v205, v208, v205 dst_sel:DWORD dst_unused:UNUSED_PAD src0_sel:WORD_0 src1_sel:DWORD
	v_add_u32_e32 v208, 0x4210, v212
	ds_read2_b32 v[208:209], v208 offset1:1
	s_waitcnt lgkmcnt(1)
	v_ashrrev_i32_e32 v206, s22, v206
	v_and_b32_e32 v210, 0x3030303, v206
	v_bfe_u32 v206, v206, 24, 2
	s_waitcnt lgkmcnt(0)
	v_ashrrev_i32_e32 v208, s19, v208
	v_lshlrev_b32_e32 v208, 2, v208
	v_and_b32_e32 v208, 0x4040404, v208
	v_ashrrev_i32_e32 v209, s19, v209
	v_sub_u16_e32 v211, v210, v208
	v_sub_u16_sdwa v213, v210, v208 dst_sel:BYTE_1 dst_unused:UNUSED_PAD src0_sel:BYTE_1 src1_sel:BYTE_1
	v_sub_u16_sdwa v206, v206, v208 dst_sel:BYTE_1 dst_unused:UNUSED_PAD src0_sel:DWORD src1_sel:BYTE_3
	v_sub_u16_sdwa v208, v210, v208 dst_sel:DWORD dst_unused:UNUSED_PAD src0_sel:WORD_1 src1_sel:WORD_1
	v_ashrrev_i32_e32 v207, s22, v207
	v_lshlrev_b32_e32 v209, 2, v209
	v_or_b32_sdwa v211, v211, v213 dst_sel:DWORD dst_unused:UNUSED_PAD src0_sel:BYTE_0 src1_sel:DWORD
	v_or_b32_sdwa v206, v208, v206 dst_sel:WORD_1 dst_unused:UNUSED_PAD src0_sel:BYTE_0 src1_sel:DWORD
	v_and_b32_e32 v208, 0x3030303, v207
	v_bfe_u32 v207, v207, 24, 2
	v_and_b32_e32 v209, 0x4040404, v209
	v_or_b32_sdwa v206, v211, v206 dst_sel:DWORD dst_unused:UNUSED_PAD src0_sel:WORD_0 src1_sel:DWORD
	v_sub_u16_e32 v210, v208, v209
	v_sub_u16_sdwa v211, v208, v209 dst_sel:BYTE_1 dst_unused:UNUSED_PAD src0_sel:BYTE_1 src1_sel:BYTE_1
	v_sub_u16_sdwa v207, v207, v209 dst_sel:BYTE_1 dst_unused:UNUSED_PAD src0_sel:DWORD src1_sel:BYTE_3
	v_sub_u16_sdwa v208, v208, v209 dst_sel:DWORD dst_unused:UNUSED_PAD src0_sel:WORD_1 src1_sel:WORD_1
	v_or_b32_sdwa v210, v210, v211 dst_sel:DWORD dst_unused:UNUSED_PAD src0_sel:BYTE_0 src1_sel:DWORD
	v_or_b32_sdwa v207, v208, v207 dst_sel:WORD_1 dst_unused:UNUSED_PAD src0_sel:BYTE_0 src1_sel:DWORD
	v_add_u32_e32 v209, 0x4218, v212
	v_or_b32_sdwa v208, v210, v207 dst_sel:DWORD dst_unused:UNUSED_PAD src0_sel:WORD_0 src1_sel:DWORD
	ds_read2_b32 v[210:211], v119 offset0:6 offset1:7
	ds_read2_b32 v[212:213], v209 offset1:1
	s_waitcnt lgkmcnt(1)
	v_ashrrev_i32_e32 v119, s22, v210
	s_waitcnt lgkmcnt(0)
	v_ashrrev_i32_e32 v209, s19, v212
	v_lshlrev_b32_e32 v209, 2, v209
	v_and_b32_e32 v207, 0x3030303, v119
	v_bfe_u32 v119, v119, 24, 2
	v_and_b32_e32 v209, 0x4040404, v209
	v_sub_u16_e32 v210, v207, v209
	v_sub_u16_sdwa v212, v207, v209 dst_sel:BYTE_1 dst_unused:UNUSED_PAD src0_sel:BYTE_1 src1_sel:BYTE_1
	v_sub_u16_sdwa v119, v119, v209 dst_sel:BYTE_1 dst_unused:UNUSED_PAD src0_sel:DWORD src1_sel:BYTE_3
	v_sub_u16_sdwa v207, v207, v209 dst_sel:DWORD dst_unused:UNUSED_PAD src0_sel:WORD_1 src1_sel:WORD_1
	v_or_b32_sdwa v210, v210, v212 dst_sel:DWORD dst_unused:UNUSED_PAD src0_sel:BYTE_0 src1_sel:DWORD
	v_or_b32_sdwa v119, v207, v119 dst_sel:WORD_1 dst_unused:UNUSED_PAD src0_sel:BYTE_0 src1_sel:DWORD
	s_nop 0
	v_or_b32_sdwa v209, v210, v119 dst_sel:DWORD dst_unused:UNUSED_PAD src0_sel:WORD_0 src1_sel:DWORD
	v_ashrrev_i32_e32 v210, s19, v213
	v_ashrrev_i32_e32 v119, s22, v211
	v_lshlrev_b32_e32 v210, 2, v210
	v_and_b32_e32 v207, 0x3030303, v119
	v_bfe_u32 v119, v119, 24, 2
	v_and_b32_e32 v210, 0x4040404, v210
	v_sub_u16_e32 v211, v207, v210
	v_sub_u16_sdwa v212, v207, v210 dst_sel:BYTE_1 dst_unused:UNUSED_PAD src0_sel:BYTE_1 src1_sel:BYTE_1
	v_sub_u16_sdwa v119, v119, v210 dst_sel:BYTE_1 dst_unused:UNUSED_PAD src0_sel:DWORD src1_sel:BYTE_3
	v_sub_u16_sdwa v207, v207, v210 dst_sel:DWORD dst_unused:UNUSED_PAD src0_sel:WORD_1 src1_sel:WORD_1
	v_or_b32_sdwa v211, v211, v212 dst_sel:DWORD dst_unused:UNUSED_PAD src0_sel:BYTE_0 src1_sel:DWORD
	v_or_b32_sdwa v119, v207, v119 dst_sel:WORD_1 dst_unused:UNUSED_PAD src0_sel:BYTE_0 src1_sel:DWORD
	s_add_i32 s19, s19, 1
	v_or_b32_sdwa v210, v211, v119 dst_sel:DWORD dst_unused:UNUSED_PAD src0_sel:WORD_0 src1_sel:DWORD
	v_add_u32_e32 v119, s25, v139
	ds_read_b32 v207, v119
	v_mov_b32_e32 v119, 0
	v_dot4c_i32_i8_e32 v119, v201, v4
	ds_read_u16 v4, v118 offset:36594
	v_dot4c_i32_i8_e32 v119, v203, v5
	v_dot4c_i32_i8_e32 v119, v204, v6
	v_mov_b32_e32 v6, 0
	v_dot4c_i32_i8_e32 v6, v206, v0
	v_dot4c_i32_i8_e32 v6, v208, v1
	;; [unrolled: 1-line block ×3, first 2 shown]
	s_waitcnt lgkmcnt(0)
	v_lshrrev_b16_e32 v5, 8, v4
	v_bfe_i32 v211, v4, 0, 8
	v_dot4c_i32_i8_e32 v6, v209, v2
	v_mul_lo_u32 v4, v119, v211
	v_dot4c_i32_i8_e32 v6, v210, v3
	v_bfe_i32 v212, v5, 0, 8
	v_mov_b32_e32 v118, 0
	s_cmp_lt_u32 s20, 30
	v_mad_u64_u32 v[0:1], s[22:23], v6, v212, v[4:5]
	v_cvt_f32_i32_e32 v0, v0
	v_mul_f32_e32 v1, v116, v207
	v_mov_b32_e32 v116, 0
	v_fmac_f32_e32 v81, v1, v0
	ds_read_b128 v[0:3], v167 offset:1024
	ds_read_b128 v[4:7], v167 offset:1040
	s_waitcnt lgkmcnt(1)
	v_dot4c_i32_i8_e32 v116, v169, v0
	v_dot4c_i32_i8_e32 v116, v170, v1
	s_waitcnt lgkmcnt(0)
	v_dot4c_i32_i8_e32 v118, v174, v4
	v_dot4c_i32_i8_e32 v116, v171, v2
	;; [unrolled: 1-line block ×6, first 2 shown]
	s_nop 0
	v_mul_lo_u32 v116, v116, v178
	s_nop 0
	v_mad_u64_u32 v[118:119], s[22:23], v118, v180, v[116:117]
	v_cvt_f32_i32_e32 v118, v118
	v_mul_f32_e32 v116, v173, v117
	v_fmac_f32_e32 v73, v116, v118
	v_mov_b32_e32 v116, 0
	v_dot4c_i32_i8_e32 v116, v179, v0
	v_mov_b32_e32 v118, 0
	v_dot4c_i32_i8_e32 v116, v181, v1
	v_dot4c_i32_i8_e32 v118, v184, v4
	;; [unrolled: 1-line block ×7, first 2 shown]
	s_nop 0
	v_mul_lo_u32 v116, v116, v189
	s_nop 0
	v_mad_u64_u32 v[118:119], s[22:23], v118, v191, v[116:117]
	v_cvt_f32_i32_e32 v118, v118
	v_mul_f32_e32 v116, v185, v117
	v_fmac_f32_e32 v71, v116, v118
	v_mov_b32_e32 v116, 0
	v_dot4c_i32_i8_e32 v116, v190, v0
	v_mov_b32_e32 v118, 0
	v_dot4c_i32_i8_e32 v116, v192, v1
	v_dot4c_i32_i8_e32 v118, v195, v4
	;; [unrolled: 1-line block ×7, first 2 shown]
	s_nop 0
	v_mul_lo_u32 v116, v116, v200
	s_nop 0
	v_mad_u64_u32 v[118:119], s[22:23], v118, v202, v[116:117]
	v_cvt_f32_i32_e32 v118, v118
	v_mul_f32_e32 v116, v196, v117
	v_mov_b32_e32 v119, 0
	v_fmac_f32_e32 v69, v116, v118
	v_mov_b32_e32 v116, 0
	v_dot4c_i32_i8_e32 v116, v201, v0
	v_dot4c_i32_i8_e32 v116, v203, v1
	v_mov_b32_e32 v1, 0
	v_dot4c_i32_i8_e32 v1, v206, v4
	v_dot4c_i32_i8_e32 v116, v204, v2
	;; [unrolled: 1-line block ×6, first 2 shown]
	v_mov_b32_e32 v118, 0
	v_mul_lo_u32 v0, v116, v211
	s_nop 0
	v_mad_u64_u32 v[0:1], s[22:23], v1, v212, v[0:1]
	v_cvt_f32_i32_e32 v0, v0
	v_mul_f32_e32 v1, v207, v117
	v_fmac_f32_e32 v67, v1, v0
	ds_read2_b32 v[116:117], v168 offset0:64 offset1:96
	ds_read_b128 v[0:3], v167 offset:2048
	ds_read_b128 v[4:7], v167 offset:2064
	s_waitcnt lgkmcnt(1)
	v_dot4c_i32_i8_e32 v118, v169, v0
	v_dot4c_i32_i8_e32 v118, v170, v1
	s_waitcnt lgkmcnt(0)
	v_dot4c_i32_i8_e32 v119, v174, v4
	v_dot4c_i32_i8_e32 v118, v171, v2
	v_dot4c_i32_i8_e32 v119, v175, v5
	v_dot4c_i32_i8_e32 v118, v172, v3
	v_dot4c_i32_i8_e32 v119, v176, v6
	v_dot4c_i32_i8_e32 v119, v177, v7
	s_nop 0
	v_mul_lo_u32 v118, v118, v178
	s_nop 0
	v_mad_u64_u32 v[118:119], s[22:23], v119, v180, v[118:119]
	v_cvt_f32_i32_e32 v118, v118
	v_mul_f32_e32 v119, v173, v116
	v_fmac_f32_e32 v61, v119, v118
	v_mov_b32_e32 v118, 0
	v_dot4c_i32_i8_e32 v118, v179, v0
	v_mov_b32_e32 v119, 0
	v_dot4c_i32_i8_e32 v118, v181, v1
	v_dot4c_i32_i8_e32 v119, v184, v4
	v_dot4c_i32_i8_e32 v118, v182, v2
	v_dot4c_i32_i8_e32 v119, v186, v5
	v_dot4c_i32_i8_e32 v118, v183, v3
	v_dot4c_i32_i8_e32 v119, v187, v6
	v_dot4c_i32_i8_e32 v119, v188, v7
	s_nop 0
	v_mul_lo_u32 v118, v118, v189
	s_nop 0
	v_mad_u64_u32 v[118:119], s[22:23], v119, v191, v[118:119]
	v_cvt_f32_i32_e32 v118, v118
	v_mul_f32_e32 v119, v185, v116
	v_fmac_f32_e32 v59, v119, v118
	v_mov_b32_e32 v118, 0
	v_dot4c_i32_i8_e32 v118, v190, v0
	v_mov_b32_e32 v119, 0
	v_dot4c_i32_i8_e32 v118, v192, v1
	v_dot4c_i32_i8_e32 v119, v195, v4
	;; [unrolled: 1-line block ×7, first 2 shown]
	s_nop 0
	v_mul_lo_u32 v118, v118, v200
	s_nop 0
	v_mad_u64_u32 v[118:119], s[22:23], v119, v202, v[118:119]
	v_cvt_f32_i32_e32 v118, v118
	v_mul_f32_e32 v119, v196, v116
	v_fmac_f32_e32 v57, v119, v118
	v_mov_b32_e32 v118, 0
	v_dot4c_i32_i8_e32 v118, v201, v0
	v_dot4c_i32_i8_e32 v118, v203, v1
	v_mov_b32_e32 v1, 0
	v_dot4c_i32_i8_e32 v1, v206, v4
	v_dot4c_i32_i8_e32 v118, v204, v2
	;; [unrolled: 1-line block ×6, first 2 shown]
	s_nop 0
	v_mul_lo_u32 v0, v118, v211
	v_mov_b32_e32 v118, 0
	v_mad_u64_u32 v[0:1], s[22:23], v1, v212, v[0:1]
	v_cvt_f32_i32_e32 v0, v0
	v_mul_f32_e32 v1, v207, v116
	v_mov_b32_e32 v116, 0
	v_fmac_f32_e32 v55, v1, v0
	ds_read_b128 v[0:3], v167 offset:3072
	ds_read_b128 v[4:7], v167 offset:3088
	s_waitcnt lgkmcnt(1)
	v_dot4c_i32_i8_e32 v116, v169, v0
	v_dot4c_i32_i8_e32 v116, v170, v1
	s_waitcnt lgkmcnt(0)
	v_dot4c_i32_i8_e32 v118, v174, v4
	v_dot4c_i32_i8_e32 v116, v171, v2
	;; [unrolled: 1-line block ×6, first 2 shown]
	s_nop 0
	v_mul_lo_u32 v116, v116, v178
	s_nop 0
	v_mad_u64_u32 v[118:119], s[22:23], v118, v180, v[116:117]
	v_cvt_f32_i32_e32 v118, v118
	v_mul_f32_e32 v116, v173, v117
	v_fmac_f32_e32 v53, v116, v118
	v_mov_b32_e32 v116, 0
	v_dot4c_i32_i8_e32 v116, v179, v0
	v_mov_b32_e32 v118, 0
	v_dot4c_i32_i8_e32 v116, v181, v1
	v_dot4c_i32_i8_e32 v118, v184, v4
	;; [unrolled: 1-line block ×7, first 2 shown]
	s_nop 0
	v_mul_lo_u32 v116, v116, v189
	s_nop 0
	v_mad_u64_u32 v[118:119], s[22:23], v118, v191, v[116:117]
	v_cvt_f32_i32_e32 v118, v118
	v_mul_f32_e32 v116, v185, v117
	v_fmac_f32_e32 v51, v116, v118
	v_mov_b32_e32 v116, 0
	v_dot4c_i32_i8_e32 v116, v190, v0
	v_mov_b32_e32 v118, 0
	v_dot4c_i32_i8_e32 v116, v192, v1
	v_dot4c_i32_i8_e32 v118, v195, v4
	;; [unrolled: 1-line block ×7, first 2 shown]
	s_nop 0
	v_mul_lo_u32 v116, v116, v200
	s_nop 0
	v_mad_u64_u32 v[118:119], s[22:23], v118, v202, v[116:117]
	v_cvt_f32_i32_e32 v118, v118
	v_mul_f32_e32 v116, v196, v117
	v_mov_b32_e32 v119, 0
	v_fmac_f32_e32 v49, v116, v118
	v_mov_b32_e32 v116, 0
	v_dot4c_i32_i8_e32 v116, v201, v0
	v_dot4c_i32_i8_e32 v116, v203, v1
	v_mov_b32_e32 v1, 0
	v_dot4c_i32_i8_e32 v1, v206, v4
	v_dot4c_i32_i8_e32 v116, v204, v2
	;; [unrolled: 1-line block ×6, first 2 shown]
	v_mov_b32_e32 v118, 0
	v_mul_lo_u32 v0, v116, v211
	s_nop 0
	v_mad_u64_u32 v[0:1], s[22:23], v1, v212, v[0:1]
	v_cvt_f32_i32_e32 v0, v0
	v_mul_f32_e32 v1, v207, v117
	v_fmac_f32_e32 v47, v1, v0
	ds_read2_b32 v[116:117], v168 offset0:128 offset1:160
	ds_read_b128 v[0:3], v167 offset:4096
	ds_read_b128 v[4:7], v167 offset:4112
	s_waitcnt lgkmcnt(1)
	v_dot4c_i32_i8_e32 v118, v169, v0
	v_dot4c_i32_i8_e32 v118, v170, v1
	s_waitcnt lgkmcnt(0)
	v_dot4c_i32_i8_e32 v119, v174, v4
	v_dot4c_i32_i8_e32 v118, v171, v2
	;; [unrolled: 1-line block ×6, first 2 shown]
	s_nop 0
	v_mul_lo_u32 v118, v118, v178
	s_nop 0
	v_mad_u64_u32 v[118:119], s[22:23], v119, v180, v[118:119]
	v_cvt_f32_i32_e32 v118, v118
	v_mul_f32_e32 v119, v173, v116
	v_fmac_f32_e32 v43, v119, v118
	v_mov_b32_e32 v118, 0
	v_dot4c_i32_i8_e32 v118, v179, v0
	v_mov_b32_e32 v119, 0
	v_dot4c_i32_i8_e32 v118, v181, v1
	v_dot4c_i32_i8_e32 v119, v184, v4
	;; [unrolled: 1-line block ×7, first 2 shown]
	s_nop 0
	v_mul_lo_u32 v118, v118, v189
	s_nop 0
	v_mad_u64_u32 v[118:119], s[22:23], v119, v191, v[118:119]
	v_cvt_f32_i32_e32 v118, v118
	v_mul_f32_e32 v119, v185, v116
	v_fmac_f32_e32 v39, v119, v118
	v_mov_b32_e32 v118, 0
	v_dot4c_i32_i8_e32 v118, v190, v0
	v_mov_b32_e32 v119, 0
	v_dot4c_i32_i8_e32 v118, v192, v1
	v_dot4c_i32_i8_e32 v119, v195, v4
	;; [unrolled: 1-line block ×7, first 2 shown]
	s_nop 0
	v_mul_lo_u32 v118, v118, v200
	s_nop 0
	v_mad_u64_u32 v[118:119], s[22:23], v119, v202, v[118:119]
	v_cvt_f32_i32_e32 v118, v118
	v_mul_f32_e32 v119, v196, v116
	v_fmac_f32_e32 v37, v119, v118
	v_mov_b32_e32 v118, 0
	v_dot4c_i32_i8_e32 v118, v201, v0
	v_dot4c_i32_i8_e32 v118, v203, v1
	v_mov_b32_e32 v1, 0
	v_dot4c_i32_i8_e32 v1, v206, v4
	v_dot4c_i32_i8_e32 v118, v204, v2
	;; [unrolled: 1-line block ×6, first 2 shown]
	s_nop 0
	v_mul_lo_u32 v0, v118, v211
	v_mov_b32_e32 v118, 0
	v_mad_u64_u32 v[0:1], s[22:23], v1, v212, v[0:1]
	v_cvt_f32_i32_e32 v0, v0
	v_mul_f32_e32 v1, v207, v116
	v_mov_b32_e32 v116, 0
	v_fmac_f32_e32 v35, v1, v0
	ds_read_b128 v[0:3], v167 offset:5120
	ds_read_b128 v[4:7], v167 offset:5136
	s_waitcnt lgkmcnt(1)
	v_dot4c_i32_i8_e32 v116, v169, v0
	v_dot4c_i32_i8_e32 v116, v170, v1
	s_waitcnt lgkmcnt(0)
	v_dot4c_i32_i8_e32 v118, v174, v4
	v_dot4c_i32_i8_e32 v116, v171, v2
	;; [unrolled: 1-line block ×6, first 2 shown]
	s_nop 0
	v_mul_lo_u32 v116, v116, v178
	s_nop 0
	v_mad_u64_u32 v[118:119], s[22:23], v118, v180, v[116:117]
	v_cvt_f32_i32_e32 v118, v118
	v_mul_f32_e32 v116, v173, v117
	v_fmac_f32_e32 v33, v116, v118
	v_mov_b32_e32 v116, 0
	v_dot4c_i32_i8_e32 v116, v179, v0
	v_mov_b32_e32 v118, 0
	v_dot4c_i32_i8_e32 v116, v181, v1
	v_dot4c_i32_i8_e32 v118, v184, v4
	;; [unrolled: 1-line block ×7, first 2 shown]
	s_nop 0
	v_mul_lo_u32 v116, v116, v189
	s_nop 0
	v_mad_u64_u32 v[118:119], s[22:23], v118, v191, v[116:117]
	v_cvt_f32_i32_e32 v118, v118
	v_mul_f32_e32 v116, v185, v117
	v_fmac_f32_e32 v31, v116, v118
	v_mov_b32_e32 v116, 0
	v_dot4c_i32_i8_e32 v116, v190, v0
	v_mov_b32_e32 v118, 0
	v_dot4c_i32_i8_e32 v116, v192, v1
	v_dot4c_i32_i8_e32 v118, v195, v4
	;; [unrolled: 1-line block ×7, first 2 shown]
	s_nop 0
	v_mul_lo_u32 v116, v116, v200
	s_nop 0
	v_mad_u64_u32 v[118:119], s[22:23], v118, v202, v[116:117]
	v_cvt_f32_i32_e32 v118, v118
	v_mul_f32_e32 v116, v196, v117
	v_mov_b32_e32 v119, 0
	v_fmac_f32_e32 v29, v116, v118
	v_mov_b32_e32 v116, 0
	v_dot4c_i32_i8_e32 v116, v201, v0
	v_dot4c_i32_i8_e32 v116, v203, v1
	v_mov_b32_e32 v1, 0
	v_dot4c_i32_i8_e32 v1, v206, v4
	v_dot4c_i32_i8_e32 v116, v204, v2
	;; [unrolled: 1-line block ×6, first 2 shown]
	v_mov_b32_e32 v118, 0
	v_mul_lo_u32 v0, v116, v211
	s_nop 0
	v_mad_u64_u32 v[0:1], s[22:23], v1, v212, v[0:1]
	v_cvt_f32_i32_e32 v0, v0
	v_mul_f32_e32 v1, v207, v117
	v_fmac_f32_e32 v27, v1, v0
	ds_read2_b32 v[116:117], v168 offset0:192 offset1:224
	ds_read_b128 v[4:7], v167 offset:6144
	ds_read_b128 v[0:3], v167 offset:6160
	v_add_u32_e32 v168, 4, v168
	s_waitcnt lgkmcnt(1)
	v_dot4c_i32_i8_e32 v118, v169, v4
	v_dot4c_i32_i8_e32 v118, v170, v5
	s_waitcnt lgkmcnt(0)
	v_dot4c_i32_i8_e32 v119, v174, v0
	v_dot4c_i32_i8_e32 v118, v171, v6
	;; [unrolled: 1-line block ×6, first 2 shown]
	s_nop 0
	v_mul_lo_u32 v118, v118, v178
	s_nop 0
	v_mad_u64_u32 v[118:119], s[22:23], v119, v180, v[118:119]
	v_cvt_f32_i32_e32 v118, v118
	v_mul_f32_e32 v119, v173, v116
	v_fmac_f32_e32 v25, v119, v118
	v_mov_b32_e32 v118, 0
	v_dot4c_i32_i8_e32 v118, v179, v4
	v_mov_b32_e32 v119, 0
	v_dot4c_i32_i8_e32 v118, v181, v5
	v_dot4c_i32_i8_e32 v119, v184, v0
	;; [unrolled: 1-line block ×7, first 2 shown]
	s_nop 0
	v_mul_lo_u32 v118, v118, v189
	s_nop 0
	v_mad_u64_u32 v[118:119], s[22:23], v119, v191, v[118:119]
	v_cvt_f32_i32_e32 v118, v118
	v_mul_f32_e32 v119, v185, v116
	v_fmac_f32_e32 v23, v119, v118
	v_mov_b32_e32 v118, 0
	v_dot4c_i32_i8_e32 v118, v190, v4
	v_mov_b32_e32 v119, 0
	v_dot4c_i32_i8_e32 v118, v192, v5
	v_dot4c_i32_i8_e32 v119, v195, v0
	;; [unrolled: 1-line block ×7, first 2 shown]
	s_nop 0
	v_mul_lo_u32 v118, v118, v200
	s_nop 0
	v_mad_u64_u32 v[118:119], s[22:23], v119, v202, v[118:119]
	v_cvt_f32_i32_e32 v118, v118
	v_mul_f32_e32 v119, v196, v116
	v_fmac_f32_e32 v21, v119, v118
	v_mov_b32_e32 v118, 0
	v_dot4c_i32_i8_e32 v118, v201, v4
	v_dot4c_i32_i8_e32 v118, v203, v5
	v_mov_b32_e32 v5, 0
	v_dot4c_i32_i8_e32 v5, v206, v0
	v_dot4c_i32_i8_e32 v118, v204, v6
	;; [unrolled: 1-line block ×6, first 2 shown]
	s_nop 0
	v_mul_lo_u32 v4, v118, v211
	v_mov_b32_e32 v118, 0
	v_mad_u64_u32 v[0:1], s[22:23], v5, v212, v[4:5]
	v_cvt_f32_i32_e32 v0, v0
	v_mul_f32_e32 v1, v207, v116
	v_mov_b32_e32 v116, 0
	v_fmac_f32_e32 v19, v1, v0
	ds_read_b128 v[0:3], v167 offset:7168
	ds_read_b128 v[4:7], v167 offset:7184
	v_add_u32_e32 v167, 32, v167
	s_waitcnt lgkmcnt(1)
	v_dot4c_i32_i8_e32 v116, v169, v0
	v_dot4c_i32_i8_e32 v116, v170, v1
	s_waitcnt lgkmcnt(0)
	v_dot4c_i32_i8_e32 v118, v174, v4
	v_dot4c_i32_i8_e32 v116, v171, v2
	;; [unrolled: 1-line block ×6, first 2 shown]
	s_nop 0
	v_mul_lo_u32 v116, v116, v178
	s_nop 0
	v_mad_u64_u32 v[118:119], s[22:23], v118, v180, v[116:117]
	v_cvt_f32_i32_e32 v118, v118
	v_mul_f32_e32 v116, v173, v117
	v_fmac_f32_e32 v17, v116, v118
	v_mov_b32_e32 v116, 0
	v_dot4c_i32_i8_e32 v116, v179, v0
	v_mov_b32_e32 v118, 0
	v_dot4c_i32_i8_e32 v116, v181, v1
	v_dot4c_i32_i8_e32 v118, v184, v4
	;; [unrolled: 1-line block ×7, first 2 shown]
	s_nop 0
	v_mul_lo_u32 v116, v116, v189
	s_nop 0
	v_mad_u64_u32 v[118:119], s[22:23], v118, v191, v[116:117]
	v_cvt_f32_i32_e32 v118, v118
	v_mul_f32_e32 v116, v185, v117
	v_fmac_f32_e32 v15, v116, v118
	v_mov_b32_e32 v116, 0
	v_dot4c_i32_i8_e32 v116, v190, v0
	v_mov_b32_e32 v118, 0
	v_dot4c_i32_i8_e32 v116, v192, v1
	v_dot4c_i32_i8_e32 v118, v195, v4
	;; [unrolled: 1-line block ×7, first 2 shown]
	s_nop 0
	v_mul_lo_u32 v116, v116, v200
	s_nop 0
	v_mad_u64_u32 v[118:119], s[22:23], v118, v202, v[116:117]
	v_cvt_f32_i32_e32 v118, v118
	v_mul_f32_e32 v116, v196, v117
	v_fmac_f32_e32 v13, v116, v118
	v_mov_b32_e32 v116, 0
	v_dot4c_i32_i8_e32 v116, v201, v0
	v_dot4c_i32_i8_e32 v116, v203, v1
	v_mov_b32_e32 v1, 0
	v_dot4c_i32_i8_e32 v1, v206, v4
	v_dot4c_i32_i8_e32 v116, v204, v2
	v_dot4c_i32_i8_e32 v1, v208, v5
	v_dot4c_i32_i8_e32 v116, v205, v3
	v_dot4c_i32_i8_e32 v1, v209, v6
	v_dot4c_i32_i8_e32 v1, v210, v7
	s_nop 0
	v_mul_lo_u32 v0, v116, v211
	s_nop 0
	v_mad_u64_u32 v[0:1], s[22:23], v1, v212, v[0:1]
	v_cvt_f32_i32_e32 v0, v0
	v_mul_f32_e32 v1, v207, v117
	v_fmac_f32_e32 v9, v1, v0
	s_cbranch_scc1 .LBB170_14
; %bb.15:                               ;   in Loop: Header=BB170_6 Depth=1
	s_barrier
	s_branch .LBB170_5
.LBB170_16:
	v_mov_b32_e32 v1, v45
.LBB170_17:
	v_cmp_gt_u32_e32 vcc, s10, v65
	s_and_saveexec_b64 s[0:1], vcc
	s_cbranch_execz .LBB170_68
; %bb.18:
	v_add_u32_e32 v0, s6, v41
	v_mul_lo_u32 v5, v65, s14
	v_cmp_gt_u32_e32 vcc, s14, v0
	s_and_saveexec_b64 s[2:3], vcc
	s_cbranch_execz .LBB170_20
; %bb.19:
	v_bfe_u32 v2, v101, 16, 1
	s_movk_i32 s0, 0x7fff
	v_add3_u32 v2, v101, v2, s0
	v_lshrrev_b32_e32 v2, 16, v2
	v_mov_b32_e32 v3, 0x7fc0
	v_cmp_o_f32_e64 s[0:1], v101, v101
	s_nop 1
	v_cndmask_b32_e64 v4, v3, v2, s[0:1]
	v_add_u32_e32 v2, v0, v5
	v_mov_b32_e32 v3, 0
	s_waitcnt lgkmcnt(0)
	v_lshl_add_u64 v[2:3], v[2:3], 1, s[12:13]
	global_store_short v[2:3], v4, off
.LBB170_20:
	s_or_b64 exec, exec, s[2:3]
	v_add_u32_e32 v2, 32, v0
	v_cmp_gt_u32_e64 s[0:1], s14, v2
	s_and_saveexec_b64 s[4:5], s[0:1]
	s_cbranch_execz .LBB170_22
; %bb.21:
	v_bfe_u32 v3, v87, 16, 1
	s_movk_i32 s2, 0x7fff
	v_add3_u32 v3, v87, v3, s2
	v_lshrrev_b32_e32 v3, 16, v3
	v_mov_b32_e32 v4, 0x7fc0
	v_cmp_o_f32_e64 s[2:3], v87, v87
	v_add_u32_e32 v6, v2, v5
	v_mov_b32_e32 v7, 0
	v_cndmask_b32_e64 v3, v4, v3, s[2:3]
	s_waitcnt lgkmcnt(0)
	v_lshl_add_u64 v[6:7], v[6:7], 1, s[12:13]
	global_store_short v[6:7], v3, off
.LBB170_22:
	s_or_b64 exec, exec, s[4:5]
	v_add_u32_e32 v3, 64, v0
	v_cmp_gt_u32_e64 s[2:3], s14, v3
	s_and_saveexec_b64 s[6:7], s[2:3]
	s_cbranch_execz .LBB170_24
; %bb.23:
	v_bfe_u32 v4, v85, 16, 1
	s_movk_i32 s4, 0x7fff
	v_add3_u32 v4, v85, v4, s4
	v_lshrrev_b32_e32 v4, 16, v4
	v_mov_b32_e32 v6, 0x7fc0
	v_cmp_o_f32_e64 s[4:5], v85, v85
	v_mov_b32_e32 v7, 0
	s_nop 0
	v_cndmask_b32_e64 v4, v6, v4, s[4:5]
	v_add_u32_e32 v6, v3, v5
	s_waitcnt lgkmcnt(0)
	v_lshl_add_u64 v[6:7], v[6:7], 1, s[12:13]
	global_store_short v[6:7], v4, off
.LBB170_24:
	s_or_b64 exec, exec, s[6:7]
	v_add_u32_e32 v4, 0x60, v0
	v_cmp_gt_u32_e64 s[4:5], s14, v4
	s_and_saveexec_b64 s[8:9], s[4:5]
	s_cbranch_execz .LBB170_26
; %bb.25:
	v_bfe_u32 v6, v81, 16, 1
	s_movk_i32 s6, 0x7fff
	v_add3_u32 v6, v81, v6, s6
	v_lshrrev_b32_e32 v6, 16, v6
	v_mov_b32_e32 v7, 0x7fc0
	v_cmp_o_f32_e64 s[6:7], v81, v81
	s_nop 1
	v_cndmask_b32_e64 v8, v7, v6, s[6:7]
	v_add_u32_e32 v6, v4, v5
	v_mov_b32_e32 v7, 0
	s_waitcnt lgkmcnt(0)
	v_lshl_add_u64 v[6:7], v[6:7], 1, s[12:13]
	global_store_short v[6:7], v8, off
.LBB170_26:
	s_or_b64 exec, exec, s[8:9]
	v_add3_u32 v5, v1, s15, 8
	v_cmp_gt_u32_e64 s[6:7], s10, v5
	s_and_b64 exec, exec, s[6:7]
	s_cbranch_execz .LBB170_68
; %bb.27:
	v_mul_lo_u32 v5, v5, s14
	s_and_saveexec_b64 s[8:9], vcc
	s_cbranch_execnz .LBB170_69
; %bb.28:
	s_or_b64 exec, exec, s[8:9]
	s_and_saveexec_b64 s[8:9], s[0:1]
	s_cbranch_execnz .LBB170_70
.LBB170_29:
	s_or_b64 exec, exec, s[8:9]
	s_and_saveexec_b64 s[8:9], s[2:3]
	s_cbranch_execnz .LBB170_71
.LBB170_30:
	s_or_b64 exec, exec, s[8:9]
	s_and_saveexec_b64 s[8:9], s[4:5]
	s_cbranch_execz .LBB170_32
.LBB170_31:
	v_bfe_u32 v6, v67, 16, 1
	s_movk_i32 s6, 0x7fff
	v_add3_u32 v6, v67, v6, s6
	v_lshrrev_b32_e32 v6, 16, v6
	v_mov_b32_e32 v7, 0x7fc0
	v_cmp_o_f32_e64 s[6:7], v67, v67
	s_nop 1
	v_cndmask_b32_e64 v8, v7, v6, s[6:7]
	v_add_u32_e32 v6, v5, v4
	v_mov_b32_e32 v7, 0
	s_waitcnt lgkmcnt(0)
	v_lshl_add_u64 v[6:7], v[6:7], 1, s[12:13]
	global_store_short v[6:7], v8, off
.LBB170_32:
	s_or_b64 exec, exec, s[8:9]
	v_add3_u32 v5, v1, s15, 16
	v_cmp_gt_u32_e64 s[6:7], s10, v5
	s_and_b64 exec, exec, s[6:7]
	s_cbranch_execz .LBB170_68
; %bb.33:
	v_mul_lo_u32 v5, v5, s14
	s_and_saveexec_b64 s[8:9], vcc
	s_cbranch_execnz .LBB170_72
; %bb.34:
	s_or_b64 exec, exec, s[8:9]
	s_and_saveexec_b64 s[8:9], s[0:1]
	s_cbranch_execnz .LBB170_73
.LBB170_35:
	s_or_b64 exec, exec, s[8:9]
	s_and_saveexec_b64 s[8:9], s[2:3]
	s_cbranch_execnz .LBB170_74
.LBB170_36:
	s_or_b64 exec, exec, s[8:9]
	s_and_saveexec_b64 s[8:9], s[4:5]
	s_cbranch_execz .LBB170_38
.LBB170_37:
	v_bfe_u32 v6, v55, 16, 1
	s_movk_i32 s6, 0x7fff
	v_add3_u32 v6, v55, v6, s6
	v_lshrrev_b32_e32 v6, 16, v6
	v_mov_b32_e32 v7, 0x7fc0
	v_cmp_o_f32_e64 s[6:7], v55, v55
	s_nop 1
	v_cndmask_b32_e64 v8, v7, v6, s[6:7]
	v_add_u32_e32 v6, v5, v4
	v_mov_b32_e32 v7, 0
	s_waitcnt lgkmcnt(0)
	v_lshl_add_u64 v[6:7], v[6:7], 1, s[12:13]
	global_store_short v[6:7], v8, off
.LBB170_38:
	s_or_b64 exec, exec, s[8:9]
	v_add3_u32 v5, v1, s15, 24
	v_cmp_gt_u32_e64 s[6:7], s10, v5
	s_and_b64 exec, exec, s[6:7]
	s_cbranch_execz .LBB170_68
; %bb.39:
	v_mul_lo_u32 v5, v5, s14
	s_and_saveexec_b64 s[8:9], vcc
	s_cbranch_execnz .LBB170_75
; %bb.40:
	s_or_b64 exec, exec, s[8:9]
	s_and_saveexec_b64 s[8:9], s[0:1]
	s_cbranch_execnz .LBB170_76
.LBB170_41:
	s_or_b64 exec, exec, s[8:9]
	s_and_saveexec_b64 s[8:9], s[2:3]
	s_cbranch_execnz .LBB170_77
.LBB170_42:
	s_or_b64 exec, exec, s[8:9]
	s_and_saveexec_b64 s[8:9], s[4:5]
	s_cbranch_execz .LBB170_44
.LBB170_43:
	v_bfe_u32 v6, v47, 16, 1
	s_movk_i32 s6, 0x7fff
	v_add3_u32 v6, v47, v6, s6
	v_lshrrev_b32_e32 v6, 16, v6
	v_mov_b32_e32 v7, 0x7fc0
	v_cmp_o_f32_e64 s[6:7], v47, v47
	s_nop 1
	v_cndmask_b32_e64 v8, v7, v6, s[6:7]
	v_add_u32_e32 v6, v5, v4
	v_mov_b32_e32 v7, 0
	s_waitcnt lgkmcnt(0)
	v_lshl_add_u64 v[6:7], v[6:7], 1, s[12:13]
	global_store_short v[6:7], v8, off
.LBB170_44:
	s_or_b64 exec, exec, s[8:9]
	v_add3_u32 v5, v1, s15, 32
	v_cmp_gt_u32_e64 s[6:7], s10, v5
	s_and_b64 exec, exec, s[6:7]
	s_cbranch_execz .LBB170_68
; %bb.45:
	v_mul_lo_u32 v5, v5, s14
	s_and_saveexec_b64 s[8:9], vcc
	s_cbranch_execnz .LBB170_78
; %bb.46:
	s_or_b64 exec, exec, s[8:9]
	s_and_saveexec_b64 s[8:9], s[0:1]
	s_cbranch_execnz .LBB170_79
.LBB170_47:
	s_or_b64 exec, exec, s[8:9]
	s_and_saveexec_b64 s[8:9], s[2:3]
	s_cbranch_execnz .LBB170_80
.LBB170_48:
	s_or_b64 exec, exec, s[8:9]
	s_and_saveexec_b64 s[8:9], s[4:5]
	s_cbranch_execz .LBB170_50
.LBB170_49:
	v_bfe_u32 v6, v35, 16, 1
	s_movk_i32 s6, 0x7fff
	v_add3_u32 v6, v35, v6, s6
	v_lshrrev_b32_e32 v6, 16, v6
	v_mov_b32_e32 v7, 0x7fc0
	v_cmp_o_f32_e64 s[6:7], v35, v35
	s_nop 1
	v_cndmask_b32_e64 v8, v7, v6, s[6:7]
	v_add_u32_e32 v6, v5, v4
	v_mov_b32_e32 v7, 0
	s_waitcnt lgkmcnt(0)
	v_lshl_add_u64 v[6:7], v[6:7], 1, s[12:13]
	global_store_short v[6:7], v8, off
.LBB170_50:
	s_or_b64 exec, exec, s[8:9]
	v_add3_u32 v5, v1, s15, 40
	v_cmp_gt_u32_e64 s[6:7], s10, v5
	s_and_b64 exec, exec, s[6:7]
	s_cbranch_execz .LBB170_68
; %bb.51:
	v_mul_lo_u32 v5, v5, s14
	s_and_saveexec_b64 s[8:9], vcc
	s_cbranch_execnz .LBB170_81
; %bb.52:
	s_or_b64 exec, exec, s[8:9]
	s_and_saveexec_b64 s[8:9], s[0:1]
	s_cbranch_execnz .LBB170_82
.LBB170_53:
	s_or_b64 exec, exec, s[8:9]
	s_and_saveexec_b64 s[8:9], s[2:3]
	s_cbranch_execnz .LBB170_83
.LBB170_54:
	s_or_b64 exec, exec, s[8:9]
	s_and_saveexec_b64 s[8:9], s[4:5]
	s_cbranch_execz .LBB170_56
.LBB170_55:
	v_bfe_u32 v6, v27, 16, 1
	s_movk_i32 s6, 0x7fff
	v_add3_u32 v6, v27, v6, s6
	v_lshrrev_b32_e32 v6, 16, v6
	v_mov_b32_e32 v7, 0x7fc0
	v_cmp_o_f32_e64 s[6:7], v27, v27
	s_nop 1
	v_cndmask_b32_e64 v8, v7, v6, s[6:7]
	v_add_u32_e32 v6, v5, v4
	v_mov_b32_e32 v7, 0
	s_waitcnt lgkmcnt(0)
	v_lshl_add_u64 v[6:7], v[6:7], 1, s[12:13]
	global_store_short v[6:7], v8, off
.LBB170_56:
	s_or_b64 exec, exec, s[8:9]
	v_add3_u32 v5, v1, s15, 48
	v_cmp_gt_u32_e64 s[6:7], s10, v5
	s_and_b64 exec, exec, s[6:7]
	s_cbranch_execz .LBB170_68
; %bb.57:
	v_mul_lo_u32 v5, v5, s14
	s_and_saveexec_b64 s[8:9], vcc
	s_cbranch_execnz .LBB170_84
; %bb.58:
	s_or_b64 exec, exec, s[8:9]
	s_and_saveexec_b64 s[8:9], s[0:1]
	s_cbranch_execnz .LBB170_85
.LBB170_59:
	s_or_b64 exec, exec, s[8:9]
	s_and_saveexec_b64 s[8:9], s[2:3]
	s_cbranch_execnz .LBB170_86
.LBB170_60:
	s_or_b64 exec, exec, s[8:9]
	s_and_saveexec_b64 s[8:9], s[4:5]
	s_cbranch_execz .LBB170_62
.LBB170_61:
	v_bfe_u32 v6, v19, 16, 1
	s_movk_i32 s6, 0x7fff
	v_add3_u32 v6, v19, v6, s6
	v_lshrrev_b32_e32 v6, 16, v6
	v_mov_b32_e32 v7, 0x7fc0
	v_cmp_o_f32_e64 s[6:7], v19, v19
	s_nop 1
	v_cndmask_b32_e64 v8, v7, v6, s[6:7]
	v_add_u32_e32 v6, v5, v4
	v_mov_b32_e32 v7, 0
	s_waitcnt lgkmcnt(0)
	v_lshl_add_u64 v[6:7], v[6:7], 1, s[12:13]
	global_store_short v[6:7], v8, off
.LBB170_62:
	s_or_b64 exec, exec, s[8:9]
	v_add3_u32 v1, v1, s15, 56
	v_cmp_gt_u32_e64 s[6:7], s10, v1
	s_and_b64 exec, exec, s[6:7]
	s_cbranch_execz .LBB170_68
; %bb.63:
	v_mul_lo_u32 v1, v1, s14
	s_and_saveexec_b64 s[6:7], vcc
	s_cbranch_execnz .LBB170_87
; %bb.64:
	s_or_b64 exec, exec, s[6:7]
	s_and_saveexec_b64 s[6:7], s[0:1]
	s_cbranch_execnz .LBB170_88
.LBB170_65:
	s_or_b64 exec, exec, s[6:7]
	s_and_saveexec_b64 s[0:1], s[2:3]
	s_cbranch_execnz .LBB170_89
.LBB170_66:
	s_or_b64 exec, exec, s[0:1]
	s_and_b64 exec, exec, s[4:5]
	s_cbranch_execz .LBB170_68
.LBB170_67:
	v_bfe_u32 v0, v9, 16, 1
	s_movk_i32 s0, 0x7fff
	v_add3_u32 v0, v9, v0, s0
	v_lshrrev_b32_e32 v0, 16, v0
	v_mov_b32_e32 v2, 0x7fc0
	v_cmp_o_f32_e32 vcc, v9, v9
	s_nop 1
	v_cndmask_b32_e32 v2, v2, v0, vcc
	v_add_u32_e32 v0, v1, v4
	v_mov_b32_e32 v1, 0
	s_waitcnt lgkmcnt(0)
	v_lshl_add_u64 v[0:1], v[0:1], 1, s[12:13]
	global_store_short v[0:1], v2, off
.LBB170_68:
	s_endpgm
.LBB170_69:
	v_bfe_u32 v6, v73, 16, 1
	s_movk_i32 s6, 0x7fff
	v_add3_u32 v6, v73, v6, s6
	v_lshrrev_b32_e32 v6, 16, v6
	v_mov_b32_e32 v7, 0x7fc0
	v_cmp_o_f32_e64 s[6:7], v73, v73
	s_nop 1
	v_cndmask_b32_e64 v8, v7, v6, s[6:7]
	v_add_u32_e32 v6, v5, v0
	v_mov_b32_e32 v7, 0
	s_waitcnt lgkmcnt(0)
	v_lshl_add_u64 v[6:7], v[6:7], 1, s[12:13]
	global_store_short v[6:7], v8, off
	s_or_b64 exec, exec, s[8:9]
	s_and_saveexec_b64 s[8:9], s[0:1]
	s_cbranch_execz .LBB170_29
.LBB170_70:
	v_bfe_u32 v6, v71, 16, 1
	s_movk_i32 s6, 0x7fff
	v_add3_u32 v6, v71, v6, s6
	v_lshrrev_b32_e32 v6, 16, v6
	v_mov_b32_e32 v7, 0x7fc0
	v_cmp_o_f32_e64 s[6:7], v71, v71
	s_nop 1
	v_cndmask_b32_e64 v8, v7, v6, s[6:7]
	v_add_u32_e32 v6, v5, v2
	v_mov_b32_e32 v7, 0
	s_waitcnt lgkmcnt(0)
	v_lshl_add_u64 v[6:7], v[6:7], 1, s[12:13]
	global_store_short v[6:7], v8, off
	s_or_b64 exec, exec, s[8:9]
	s_and_saveexec_b64 s[8:9], s[2:3]
	s_cbranch_execz .LBB170_30
.LBB170_71:
	v_bfe_u32 v6, v69, 16, 1
	s_movk_i32 s6, 0x7fff
	v_add3_u32 v6, v69, v6, s6
	v_lshrrev_b32_e32 v6, 16, v6
	v_mov_b32_e32 v7, 0x7fc0
	v_cmp_o_f32_e64 s[6:7], v69, v69
	s_nop 1
	v_cndmask_b32_e64 v8, v7, v6, s[6:7]
	v_add_u32_e32 v6, v5, v3
	v_mov_b32_e32 v7, 0
	s_waitcnt lgkmcnt(0)
	v_lshl_add_u64 v[6:7], v[6:7], 1, s[12:13]
	global_store_short v[6:7], v8, off
	s_or_b64 exec, exec, s[8:9]
	s_and_saveexec_b64 s[8:9], s[4:5]
	s_cbranch_execnz .LBB170_31
	s_branch .LBB170_32
.LBB170_72:
	v_bfe_u32 v6, v61, 16, 1
	s_movk_i32 s6, 0x7fff
	v_add3_u32 v6, v61, v6, s6
	v_lshrrev_b32_e32 v6, 16, v6
	v_mov_b32_e32 v7, 0x7fc0
	v_cmp_o_f32_e64 s[6:7], v61, v61
	s_nop 1
	v_cndmask_b32_e64 v8, v7, v6, s[6:7]
	v_add_u32_e32 v6, v5, v0
	v_mov_b32_e32 v7, 0
	s_waitcnt lgkmcnt(0)
	v_lshl_add_u64 v[6:7], v[6:7], 1, s[12:13]
	global_store_short v[6:7], v8, off
	s_or_b64 exec, exec, s[8:9]
	s_and_saveexec_b64 s[8:9], s[0:1]
	s_cbranch_execz .LBB170_35
.LBB170_73:
	v_bfe_u32 v6, v59, 16, 1
	s_movk_i32 s6, 0x7fff
	v_add3_u32 v6, v59, v6, s6
	v_lshrrev_b32_e32 v6, 16, v6
	v_mov_b32_e32 v7, 0x7fc0
	v_cmp_o_f32_e64 s[6:7], v59, v59
	s_nop 1
	v_cndmask_b32_e64 v8, v7, v6, s[6:7]
	v_add_u32_e32 v6, v5, v2
	v_mov_b32_e32 v7, 0
	s_waitcnt lgkmcnt(0)
	v_lshl_add_u64 v[6:7], v[6:7], 1, s[12:13]
	global_store_short v[6:7], v8, off
	s_or_b64 exec, exec, s[8:9]
	s_and_saveexec_b64 s[8:9], s[2:3]
	s_cbranch_execz .LBB170_36
.LBB170_74:
	v_bfe_u32 v6, v57, 16, 1
	s_movk_i32 s6, 0x7fff
	v_add3_u32 v6, v57, v6, s6
	v_lshrrev_b32_e32 v6, 16, v6
	v_mov_b32_e32 v7, 0x7fc0
	v_cmp_o_f32_e64 s[6:7], v57, v57
	s_nop 1
	v_cndmask_b32_e64 v8, v7, v6, s[6:7]
	v_add_u32_e32 v6, v5, v3
	v_mov_b32_e32 v7, 0
	s_waitcnt lgkmcnt(0)
	v_lshl_add_u64 v[6:7], v[6:7], 1, s[12:13]
	global_store_short v[6:7], v8, off
	s_or_b64 exec, exec, s[8:9]
	s_and_saveexec_b64 s[8:9], s[4:5]
	s_cbranch_execnz .LBB170_37
	s_branch .LBB170_38
.LBB170_75:
	v_bfe_u32 v6, v53, 16, 1
	s_movk_i32 s6, 0x7fff
	v_add3_u32 v6, v53, v6, s6
	v_lshrrev_b32_e32 v6, 16, v6
	v_mov_b32_e32 v7, 0x7fc0
	v_cmp_o_f32_e64 s[6:7], v53, v53
	s_nop 1
	v_cndmask_b32_e64 v8, v7, v6, s[6:7]
	v_add_u32_e32 v6, v5, v0
	v_mov_b32_e32 v7, 0
	s_waitcnt lgkmcnt(0)
	v_lshl_add_u64 v[6:7], v[6:7], 1, s[12:13]
	global_store_short v[6:7], v8, off
	s_or_b64 exec, exec, s[8:9]
	s_and_saveexec_b64 s[8:9], s[0:1]
	s_cbranch_execz .LBB170_41
.LBB170_76:
	v_bfe_u32 v6, v51, 16, 1
	s_movk_i32 s6, 0x7fff
	v_add3_u32 v6, v51, v6, s6
	v_lshrrev_b32_e32 v6, 16, v6
	v_mov_b32_e32 v7, 0x7fc0
	v_cmp_o_f32_e64 s[6:7], v51, v51
	s_nop 1
	v_cndmask_b32_e64 v8, v7, v6, s[6:7]
	v_add_u32_e32 v6, v5, v2
	v_mov_b32_e32 v7, 0
	s_waitcnt lgkmcnt(0)
	v_lshl_add_u64 v[6:7], v[6:7], 1, s[12:13]
	global_store_short v[6:7], v8, off
	s_or_b64 exec, exec, s[8:9]
	s_and_saveexec_b64 s[8:9], s[2:3]
	s_cbranch_execz .LBB170_42
.LBB170_77:
	v_bfe_u32 v6, v49, 16, 1
	s_movk_i32 s6, 0x7fff
	v_add3_u32 v6, v49, v6, s6
	v_lshrrev_b32_e32 v6, 16, v6
	v_mov_b32_e32 v7, 0x7fc0
	v_cmp_o_f32_e64 s[6:7], v49, v49
	s_nop 1
	v_cndmask_b32_e64 v8, v7, v6, s[6:7]
	v_add_u32_e32 v6, v5, v3
	v_mov_b32_e32 v7, 0
	s_waitcnt lgkmcnt(0)
	v_lshl_add_u64 v[6:7], v[6:7], 1, s[12:13]
	global_store_short v[6:7], v8, off
	s_or_b64 exec, exec, s[8:9]
	s_and_saveexec_b64 s[8:9], s[4:5]
	s_cbranch_execnz .LBB170_43
	s_branch .LBB170_44
.LBB170_78:
	v_bfe_u32 v6, v43, 16, 1
	s_movk_i32 s6, 0x7fff
	v_add3_u32 v6, v43, v6, s6
	v_lshrrev_b32_e32 v6, 16, v6
	v_mov_b32_e32 v7, 0x7fc0
	v_cmp_o_f32_e64 s[6:7], v43, v43
	s_nop 1
	v_cndmask_b32_e64 v8, v7, v6, s[6:7]
	v_add_u32_e32 v6, v5, v0
	v_mov_b32_e32 v7, 0
	s_waitcnt lgkmcnt(0)
	v_lshl_add_u64 v[6:7], v[6:7], 1, s[12:13]
	global_store_short v[6:7], v8, off
	s_or_b64 exec, exec, s[8:9]
	s_and_saveexec_b64 s[8:9], s[0:1]
	s_cbranch_execz .LBB170_47
.LBB170_79:
	v_bfe_u32 v6, v39, 16, 1
	s_movk_i32 s6, 0x7fff
	v_add3_u32 v6, v39, v6, s6
	v_lshrrev_b32_e32 v6, 16, v6
	v_mov_b32_e32 v7, 0x7fc0
	v_cmp_o_f32_e64 s[6:7], v39, v39
	s_nop 1
	v_cndmask_b32_e64 v8, v7, v6, s[6:7]
	v_add_u32_e32 v6, v5, v2
	v_mov_b32_e32 v7, 0
	s_waitcnt lgkmcnt(0)
	v_lshl_add_u64 v[6:7], v[6:7], 1, s[12:13]
	global_store_short v[6:7], v8, off
	s_or_b64 exec, exec, s[8:9]
	s_and_saveexec_b64 s[8:9], s[2:3]
	s_cbranch_execz .LBB170_48
.LBB170_80:
	v_bfe_u32 v6, v37, 16, 1
	s_movk_i32 s6, 0x7fff
	v_add3_u32 v6, v37, v6, s6
	v_lshrrev_b32_e32 v6, 16, v6
	v_mov_b32_e32 v7, 0x7fc0
	v_cmp_o_f32_e64 s[6:7], v37, v37
	s_nop 1
	v_cndmask_b32_e64 v8, v7, v6, s[6:7]
	v_add_u32_e32 v6, v5, v3
	v_mov_b32_e32 v7, 0
	s_waitcnt lgkmcnt(0)
	v_lshl_add_u64 v[6:7], v[6:7], 1, s[12:13]
	global_store_short v[6:7], v8, off
	s_or_b64 exec, exec, s[8:9]
	s_and_saveexec_b64 s[8:9], s[4:5]
	s_cbranch_execnz .LBB170_49
	s_branch .LBB170_50
.LBB170_81:
	v_bfe_u32 v6, v33, 16, 1
	s_movk_i32 s6, 0x7fff
	v_add3_u32 v6, v33, v6, s6
	v_lshrrev_b32_e32 v6, 16, v6
	v_mov_b32_e32 v7, 0x7fc0
	v_cmp_o_f32_e64 s[6:7], v33, v33
	s_nop 1
	v_cndmask_b32_e64 v8, v7, v6, s[6:7]
	v_add_u32_e32 v6, v5, v0
	v_mov_b32_e32 v7, 0
	s_waitcnt lgkmcnt(0)
	v_lshl_add_u64 v[6:7], v[6:7], 1, s[12:13]
	global_store_short v[6:7], v8, off
	s_or_b64 exec, exec, s[8:9]
	s_and_saveexec_b64 s[8:9], s[0:1]
	s_cbranch_execz .LBB170_53
.LBB170_82:
	v_bfe_u32 v6, v31, 16, 1
	s_movk_i32 s6, 0x7fff
	v_add3_u32 v6, v31, v6, s6
	v_lshrrev_b32_e32 v6, 16, v6
	v_mov_b32_e32 v7, 0x7fc0
	v_cmp_o_f32_e64 s[6:7], v31, v31
	s_nop 1
	v_cndmask_b32_e64 v8, v7, v6, s[6:7]
	v_add_u32_e32 v6, v5, v2
	v_mov_b32_e32 v7, 0
	s_waitcnt lgkmcnt(0)
	v_lshl_add_u64 v[6:7], v[6:7], 1, s[12:13]
	global_store_short v[6:7], v8, off
	s_or_b64 exec, exec, s[8:9]
	s_and_saveexec_b64 s[8:9], s[2:3]
	s_cbranch_execz .LBB170_54
.LBB170_83:
	v_bfe_u32 v6, v29, 16, 1
	s_movk_i32 s6, 0x7fff
	v_add3_u32 v6, v29, v6, s6
	v_lshrrev_b32_e32 v6, 16, v6
	v_mov_b32_e32 v7, 0x7fc0
	v_cmp_o_f32_e64 s[6:7], v29, v29
	s_nop 1
	v_cndmask_b32_e64 v8, v7, v6, s[6:7]
	v_add_u32_e32 v6, v5, v3
	v_mov_b32_e32 v7, 0
	s_waitcnt lgkmcnt(0)
	v_lshl_add_u64 v[6:7], v[6:7], 1, s[12:13]
	global_store_short v[6:7], v8, off
	s_or_b64 exec, exec, s[8:9]
	s_and_saveexec_b64 s[8:9], s[4:5]
	s_cbranch_execnz .LBB170_55
	s_branch .LBB170_56
.LBB170_84:
	v_bfe_u32 v6, v25, 16, 1
	s_movk_i32 s6, 0x7fff
	v_add3_u32 v6, v25, v6, s6
	v_lshrrev_b32_e32 v6, 16, v6
	v_mov_b32_e32 v7, 0x7fc0
	v_cmp_o_f32_e64 s[6:7], v25, v25
	s_nop 1
	v_cndmask_b32_e64 v8, v7, v6, s[6:7]
	v_add_u32_e32 v6, v5, v0
	v_mov_b32_e32 v7, 0
	s_waitcnt lgkmcnt(0)
	v_lshl_add_u64 v[6:7], v[6:7], 1, s[12:13]
	global_store_short v[6:7], v8, off
	s_or_b64 exec, exec, s[8:9]
	s_and_saveexec_b64 s[8:9], s[0:1]
	s_cbranch_execz .LBB170_59
.LBB170_85:
	v_bfe_u32 v6, v23, 16, 1
	s_movk_i32 s6, 0x7fff
	v_add3_u32 v6, v23, v6, s6
	v_lshrrev_b32_e32 v6, 16, v6
	v_mov_b32_e32 v7, 0x7fc0
	v_cmp_o_f32_e64 s[6:7], v23, v23
	s_nop 1
	v_cndmask_b32_e64 v8, v7, v6, s[6:7]
	v_add_u32_e32 v6, v5, v2
	v_mov_b32_e32 v7, 0
	s_waitcnt lgkmcnt(0)
	v_lshl_add_u64 v[6:7], v[6:7], 1, s[12:13]
	global_store_short v[6:7], v8, off
	s_or_b64 exec, exec, s[8:9]
	s_and_saveexec_b64 s[8:9], s[2:3]
	s_cbranch_execz .LBB170_60
.LBB170_86:
	v_bfe_u32 v6, v21, 16, 1
	s_movk_i32 s6, 0x7fff
	v_add3_u32 v6, v21, v6, s6
	v_lshrrev_b32_e32 v6, 16, v6
	v_mov_b32_e32 v7, 0x7fc0
	v_cmp_o_f32_e64 s[6:7], v21, v21
	s_nop 1
	v_cndmask_b32_e64 v8, v7, v6, s[6:7]
	v_add_u32_e32 v6, v5, v3
	v_mov_b32_e32 v7, 0
	s_waitcnt lgkmcnt(0)
	v_lshl_add_u64 v[6:7], v[6:7], 1, s[12:13]
	global_store_short v[6:7], v8, off
	s_or_b64 exec, exec, s[8:9]
	s_and_saveexec_b64 s[8:9], s[4:5]
	s_cbranch_execnz .LBB170_61
	s_branch .LBB170_62
.LBB170_87:
	v_bfe_u32 v5, v17, 16, 1
	s_movk_i32 s8, 0x7fff
	v_add3_u32 v5, v17, v5, s8
	v_lshrrev_b32_e32 v5, 16, v5
	v_mov_b32_e32 v6, 0x7fc0
	v_cmp_o_f32_e32 vcc, v17, v17
	v_mov_b32_e32 v7, 0
	s_nop 0
	v_cndmask_b32_e32 v5, v6, v5, vcc
	v_add_u32_e32 v6, v1, v0
	s_waitcnt lgkmcnt(0)
	v_lshl_add_u64 v[6:7], v[6:7], 1, s[12:13]
	global_store_short v[6:7], v5, off
	s_or_b64 exec, exec, s[6:7]
	s_and_saveexec_b64 s[6:7], s[0:1]
	s_cbranch_execz .LBB170_65
.LBB170_88:
	v_bfe_u32 v0, v15, 16, 1
	s_movk_i32 s0, 0x7fff
	v_add3_u32 v0, v15, v0, s0
	v_lshrrev_b32_e32 v0, 16, v0
	v_mov_b32_e32 v5, 0x7fc0
	v_cmp_o_f32_e32 vcc, v15, v15
	v_add_u32_e32 v6, v1, v2
	v_mov_b32_e32 v7, 0
	v_cndmask_b32_e32 v0, v5, v0, vcc
	s_waitcnt lgkmcnt(0)
	v_lshl_add_u64 v[6:7], v[6:7], 1, s[12:13]
	global_store_short v[6:7], v0, off
	s_or_b64 exec, exec, s[6:7]
	s_and_saveexec_b64 s[0:1], s[2:3]
	s_cbranch_execz .LBB170_66
.LBB170_89:
	v_bfe_u32 v0, v13, 16, 1
	s_movk_i32 s2, 0x7fff
	v_add3_u32 v0, v13, v0, s2
	v_lshrrev_b32_e32 v0, 16, v0
	v_mov_b32_e32 v2, 0x7fc0
	v_cmp_o_f32_e32 vcc, v13, v13
	s_nop 1
	v_cndmask_b32_e32 v0, v2, v0, vcc
	v_add_u32_e32 v2, v1, v3
	v_mov_b32_e32 v3, 0
	s_waitcnt lgkmcnt(0)
	v_lshl_add_u64 v[2:3], v[2:3], 1, s[12:13]
	global_store_short v[2:3], v0, off
	s_or_b64 exec, exec, s[0:1]
	s_and_b64 exec, exec, s[4:5]
	s_cbranch_execnz .LBB170_67
	s_branch .LBB170_68
	.section	.rodata,"a",@progbits
	.p2align	6, 0x0
	.amdhsa_kernel _ZL12mul_mat_q3_KIN3c108BFloat16ELb1EEvPKvS3_PT_iiiii
		.amdhsa_group_segment_fixed_size 39840
		.amdhsa_private_segment_fixed_size 0
		.amdhsa_kernarg_size 44
		.amdhsa_user_sgpr_count 2
		.amdhsa_user_sgpr_dispatch_ptr 0
		.amdhsa_user_sgpr_queue_ptr 0
		.amdhsa_user_sgpr_kernarg_segment_ptr 1
		.amdhsa_user_sgpr_dispatch_id 0
		.amdhsa_user_sgpr_kernarg_preload_length 0
		.amdhsa_user_sgpr_kernarg_preload_offset 0
		.amdhsa_user_sgpr_private_segment_size 0
		.amdhsa_uses_dynamic_stack 0
		.amdhsa_enable_private_segment 0
		.amdhsa_system_sgpr_workgroup_id_x 1
		.amdhsa_system_sgpr_workgroup_id_y 1
		.amdhsa_system_sgpr_workgroup_id_z 0
		.amdhsa_system_sgpr_workgroup_info 0
		.amdhsa_system_vgpr_workitem_id 1
		.amdhsa_next_free_vgpr 216
		.amdhsa_next_free_sgpr 30
		.amdhsa_accum_offset 216
		.amdhsa_reserve_vcc 1
		.amdhsa_float_round_mode_32 0
		.amdhsa_float_round_mode_16_64 0
		.amdhsa_float_denorm_mode_32 3
		.amdhsa_float_denorm_mode_16_64 3
		.amdhsa_dx10_clamp 1
		.amdhsa_ieee_mode 1
		.amdhsa_fp16_overflow 0
		.amdhsa_tg_split 0
		.amdhsa_exception_fp_ieee_invalid_op 0
		.amdhsa_exception_fp_denorm_src 0
		.amdhsa_exception_fp_ieee_div_zero 0
		.amdhsa_exception_fp_ieee_overflow 0
		.amdhsa_exception_fp_ieee_underflow 0
		.amdhsa_exception_fp_ieee_inexact 0
		.amdhsa_exception_int_div_zero 0
	.end_amdhsa_kernel
	.section	.text._ZL12mul_mat_q3_KIN3c108BFloat16ELb1EEvPKvS3_PT_iiiii,"axG",@progbits,_ZL12mul_mat_q3_KIN3c108BFloat16ELb1EEvPKvS3_PT_iiiii,comdat
.Lfunc_end170:
	.size	_ZL12mul_mat_q3_KIN3c108BFloat16ELb1EEvPKvS3_PT_iiiii, .Lfunc_end170-_ZL12mul_mat_q3_KIN3c108BFloat16ELb1EEvPKvS3_PT_iiiii
                                        ; -- End function
	.section	.AMDGPU.csdata,"",@progbits
; Kernel info:
; codeLenInByte = 33920
; NumSgprs: 36
; NumVgprs: 216
; NumAgprs: 0
; TotalNumVgprs: 216
; ScratchSize: 0
; MemoryBound: 0
; FloatMode: 240
; IeeeMode: 1
; LDSByteSize: 39840 bytes/workgroup (compile time only)
; SGPRBlocks: 4
; VGPRBlocks: 26
; NumSGPRsForWavesPerEU: 36
; NumVGPRsForWavesPerEU: 216
; AccumOffset: 216
; Occupancy: 1
; WaveLimiterHint : 0
; COMPUTE_PGM_RSRC2:SCRATCH_EN: 0
; COMPUTE_PGM_RSRC2:USER_SGPR: 2
; COMPUTE_PGM_RSRC2:TRAP_HANDLER: 0
; COMPUTE_PGM_RSRC2:TGID_X_EN: 1
; COMPUTE_PGM_RSRC2:TGID_Y_EN: 1
; COMPUTE_PGM_RSRC2:TGID_Z_EN: 0
; COMPUTE_PGM_RSRC2:TIDIG_COMP_CNT: 1
; COMPUTE_PGM_RSRC3_GFX90A:ACCUM_OFFSET: 53
; COMPUTE_PGM_RSRC3_GFX90A:TG_SPLIT: 0
	.section	.text._ZL12mul_mat_q4_KIN3c108BFloat16ELb0EEvPKvS3_PT_iiiii,"axG",@progbits,_ZL12mul_mat_q4_KIN3c108BFloat16ELb0EEvPKvS3_PT_iiiii,comdat
	.globl	_ZL12mul_mat_q4_KIN3c108BFloat16ELb0EEvPKvS3_PT_iiiii ; -- Begin function _ZL12mul_mat_q4_KIN3c108BFloat16ELb0EEvPKvS3_PT_iiiii
	.p2align	8
	.type	_ZL12mul_mat_q4_KIN3c108BFloat16ELb0EEvPKvS3_PT_iiiii,@function
_ZL12mul_mat_q4_KIN3c108BFloat16ELb0EEvPKvS3_PT_iiiii: ; @_ZL12mul_mat_q4_KIN3c108BFloat16ELb0EEvPKvS3_PT_iiiii
; %bb.0:
	s_load_dword s7, s[0:1], 0x18
	s_load_dwordx4 s[8:11], s[0:1], 0x20
	s_waitcnt lgkmcnt(0)
	s_lshl_b32 s11, s3, 6
	v_bfe_u32 v12, v0, 10, 10
	s_cmpk_gt_i32 s7, 0xff
	s_cbranch_scc1 .LBB171_2
; %bb.1:
	v_bfe_u32 v1, v0, 10, 10
	v_and_b32_e32 v53, 0x3ff, v0
	v_add_u32_e32 v2, s11, v1
	s_mov_b64 s[4:5], 0
	s_mov_b32 s3, 0
	s_branch .LBB171_3
.LBB171_2:
	s_mov_b64 s[4:5], -1
                                        ; implicit-def: $sgpr3
                                        ; implicit-def: $vgpr1
                                        ; implicit-def: $vgpr53
                                        ; implicit-def: $vgpr2
.LBB171_3:
	s_load_dwordx2 s[12:13], s[0:1], 0x10
	s_lshl_b32 s6, s2, 7
	s_andn2_b64 vcc, exec, s[4:5]
	v_mov_b32_e32 v21, s3
	v_mov_b32_e32 v20, s3
	;; [unrolled: 1-line block ×32, first 2 shown]
	s_cbranch_vccnz .LBB171_11
; %bb.4:
	s_ashr_i32 s4, s7, 31
	s_lshr_b32 s4, s4, 24
	s_load_dwordx4 s[0:3], s[0:1], 0x0
	s_add_i32 s7, s7, s4
	s_ashr_i32 s4, s9, 31
	s_lshr_b32 s4, s4, 27
	s_ashr_i32 s7, s7, 8
	s_add_i32 s4, s9, s4
	s_ashr_i32 s16, s4, 5
	s_mul_i32 s4, s7, s6
	s_mul_hi_i32 s5, s4, 0x90
	s_mulk_i32 s4, 0x90
	s_waitcnt lgkmcnt(0)
	s_add_u32 s14, s0, s4
	s_addc_u32 s15, s1, s5
	v_and_b32_e32 v53, 0x3ff, v0
	v_mul_i32_i24_e32 v0, s7, v12
	s_lshl_b32 s4, s7, 3
	scratch_store_dwordx2 off, v[0:1], off  ; 8-byte Folded Spill
	v_mov_b32_e32 v0, s4
	v_mad_i32_i24 v58, s7, v12, v0
	v_add_u32_e32 v60, s4, v58
	v_add_u32_e32 v62, s4, v60
	;; [unrolled: 1-line block ×14, first 2 shown]
	v_lshlrev_b32_e32 v93, 5, v12
	scratch_store_dwordx2 off, v[0:1], off offset:8 ; 8-byte Folded Spill
	v_add_u32_e32 v0, v93, v53
	v_and_b32_e32 v1, 0x7f, v0
	v_lshrrev_b32_e32 v0, 3, v0
	v_mul_i32_i24_e32 v2, s7, v1
	v_and_b32_e32 v0, 12, v0
	v_lshlrev_b32_e32 v1, 2, v1
	s_movk_i32 s17, 0x6e40
	v_lshlrev_b32_e32 v3, 2, v53
	v_add3_u32 v119, v1, v0, s17
	v_and_b32_e32 v0, 3, v53
	scratch_store_dwordx2 off, v[2:3], off offset:16 ; 8-byte Folded Spill
	v_add_u32_e32 v2, 0xfe, v0
	v_cmp_gt_u32_e32 vcc, 2, v0
	v_lshlrev_b32_e32 v1, 3, v12
	v_lshrrev_b32_e32 v5, 2, v53
	v_cndmask_b32_e32 v2, v2, v0, vcc
	v_add_u32_e32 v10, v5, v1
	v_and_b32_e32 v6, 0xff, v2
	v_cmp_ne_u32_e32 vcc, 0, v0
	v_add_u16_e32 v1, v5, v1
	v_lshlrev_b32_e32 v123, 1, v6
	v_addc_co_u32_e32 v2, vcc, 0, v6, vcc
	v_and_b32_e32 v6, 0x7f, v10
	v_lshlrev_b32_e32 v11, 2, v0
	v_lshrrev_b16_e32 v1, 1, v1
	v_lshl_or_b32 v7, v6, 4, v11
	v_and_b32_e32 v1, 60, v1
	s_movk_i32 s4, 0x6200
	v_add3_u32 v125, v7, v1, s4
	v_xor_b32_e32 v1, 64, v6
	v_mul_i32_i24_e32 v92, s7, v1
	v_lshl_or_b32 v5, v1, 4, v11
	v_lshrrev_b32_e32 v1, 1, v1
	v_mov_b32_e32 v55, 0
	v_and_b32_e32 v1, 60, v1
	v_add3_u32 v127, v5, v1, s4
	v_and_b32_e32 v8, 28, v3
	v_mov_b32_e32 v9, v55
	v_and_b32_e32 v1, 63, v10
	s_add_i32 s4, s8, -1
	v_lshl_add_u64 v[94:95], s[2:3], 0, v[8:9]
	v_or_b32_e32 v8, s11, v1
	v_min_i32_e32 v8, s4, v8
	v_cmp_lt_u32_e32 vcc, 1, v0
	v_mul_i32_i24_e32 v90, s7, v6
	v_add_u32_e32 v13, s11, v12
	v_cvt_f64_i32_e32 v[6:7], s4
	v_mad_u64_u32 v[96:97], s[4:5], v8, s16, v[0:1]
	v_lshl_or_b32 v0, v1, 4, v11
	v_add_u32_e32 v97, 0x6a40, v0
	v_cvt_f64_u32_e32 v[0:1], v13
	v_min_f64 v[0:1], v[0:1], v[6:7]
	v_and_b32_e32 v5, 31, v53
	v_cvt_i32_f64_e32 v0, v[0:1]
	v_mul_lo_u32 v140, s16, v0
	v_or_b32_e32 v0, v93, v5
	v_mov_b32_e32 v8, 0x4200
	v_lshl_add_u32 v141, v0, 2, v8
	v_add_u32_e32 v0, 8, v13
	v_cvt_f64_u32_e32 v[0:1], v0
	v_min_f64 v[0:1], v[0:1], v[6:7]
	v_cvt_i32_f64_e32 v0, v[0:1]
	v_add_u32_e32 v143, 0x100, v93
	v_mul_lo_u32 v142, s16, v0
	v_or_b32_e32 v0, v143, v5
	v_lshl_add_u32 v144, v0, 2, v8
	v_add_u32_e32 v0, 16, v13
	v_cvt_f64_u32_e32 v[0:1], v0
	v_min_f64 v[0:1], v[0:1], v[6:7]
	v_cvt_i32_f64_e32 v0, v[0:1]
	v_add_u32_e32 v146, 0x200, v93
	v_mul_lo_u32 v145, s16, v0
	v_or_b32_e32 v0, v146, v5
	;; [unrolled: 8-line block ×6, first 2 shown]
	v_lshl_add_u32 v159, v0, 2, v8
	v_add_u32_e32 v0, 56, v13
	v_cvt_f64_u32_e32 v[0:1], v0
	v_min_f64 v[0:1], v[0:1], v[6:7]
	v_cvt_i32_f64_e32 v0, v[0:1]
	v_add_u32_e32 v161, 0x700, v93
	v_lshrrev_b32_e32 v52, 5, v53
	v_mul_lo_u32 v160, s16, v0
	v_or_b32_e32 v0, v161, v5
	v_lshl_add_u32 v162, v0, 2, v8
	v_lshlrev_b32_e32 v0, 2, v52
	v_add3_u32 v163, v0, v3, s17
	v_add_u32_e32 v0, 32, v53
	v_lshrrev_b32_e32 v164, 3, v0
	v_lshlrev_b32_e32 v1, 2, v0
	v_and_b32_e32 v0, 60, v164
	v_add3_u32 v165, v3, v0, s17
	v_add_u32_e32 v0, 64, v53
	v_lshlrev_b32_e32 v5, 2, v0
	v_lshrrev_b32_e32 v0, 3, v0
	v_and_b32_e32 v6, 60, v0
	v_add3_u32 v166, v3, v6, s17
	v_add_u32_e32 v6, 0x60, v53
	v_lshlrev_b32_e32 v7, 2, v6
	v_lshrrev_b32_e32 v6, 3, v6
	v_and_b32_e32 v9, 60, v6
	s_movk_i32 s1, 0x84
	v_add3_u32 v167, v3, v9, s17
	v_mov_b32_e32 v9, 0x1080
	v_mad_u32_u24 v169, v53, s1, v9
	v_mov_b32_e32 v9, 0x2100
	s_mov_b32 s0, 0
	v_mad_u32_u24 v170, v53, s1, v9
	v_mov_b32_e32 v9, 0x3180
	v_mad_u32_u24 v61, v12, s1, v3
	v_and_b32_e32 v4, 4, v3
	v_mad_u32_u24 v171, v53, s1, v9
	v_mad_u32_u24 v172, v53, s1, 64
	s_mov_b32 s1, s0
	v_cndmask_b32_e32 v121, 0, v4, vcc
	v_cndmask_b32_e64 v4, 0, 1, vcc
	v_lshrrev_b32_e32 v129, 3, v53
	v_mov_b32_e32 v9, 0x6a40
	v_mov_b64_e32 v[50:51], s[0:1]
	s_movk_i32 s9, 0x90
	v_and_b32_e32 v54, 0x7c, v3
	v_add_u32_e32 v79, 0x2520, v61
	v_add_u32_e32 v81, 0x2940, v61
	;; [unrolled: 1-line block ×7, first 2 shown]
	v_mul_u32_u24_e32 v168, 0x84, v53
	v_lshl_add_u32 v173, v12, 4, v9
	v_lshl_add_u32 v174, v12, 7, v8
	v_lshlrev_b32_e32 v175, 4, v53
	v_lshlrev_b32_e32 v176, 2, v6
	;; [unrolled: 1-line block ×7, first 2 shown]
	s_mov_b32 s1, 0x30303030
	v_lshlrev_b32_e32 v180, 2, v1
	v_lshlrev_b32_e32 v181, 2, v5
	;; [unrolled: 1-line block ×3, first 2 shown]
	v_mov_b32_e32 v99, v55
	v_mov_b32_e32 v101, v55
	v_lshlrev_b32_e32 v183, 2, v3
	v_mov_b64_e32 v[42:43], v[50:51]
	v_mov_b64_e32 v[34:35], v[50:51]
	;; [unrolled: 1-line block ×15, first 2 shown]
	scratch_store_dword off, v13, off offset:28 ; 4-byte Folded Spill
	scratch_store_dword off, v12, off offset:24 ; 4-byte Folded Spill
.LBB171_5:                              ; =>This Loop Header: Depth=1
                                        ;     Child Loop BB171_6 Depth 2
                                        ;     Child Loop BB171_8 Depth 2
	scratch_load_dwordx2 v[4:5], off, off   ; 8-byte Folded Reload
	s_mul_i32 s4, s0, 0x90
	s_mul_hi_u32 s5, s0, 0x90
	s_add_u32 s4, s14, s4
	s_addc_u32 s5, s15, s5
	v_mov_b64_e32 v[0:1], s[4:5]
	v_mad_u64_u32 v[2:3], s[4:5], v52, s9, v[0:1]
	v_lshl_add_u64 v[2:3], v[2:3], 0, v[54:55]
	v_lshl_add_u64 v[2:3], v[2:3], 0, 16
	v_mad_u64_u32 v[18:19], s[4:5], v70, s9, v[2:3]
	v_mad_u64_u32 v[6:7], s[4:5], v58, s9, v[2:3]
	;; [unrolled: 1-line block ×7, first 2 shown]
	s_lshl_b32 s16, s0, 3
	v_add_u32_e32 v115, s16, v96
	s_mov_b32 s18, 0
	s_waitcnt vmcnt(0)
	v_mad_u64_u32 v[4:5], s[4:5], v4, s9, v[2:3]
	global_load_dword v56, v[4:5], off
	global_load_dword v57, v[6:7], off
	global_load_dword v59, v[8:9], off
	global_load_dword v63, v[10:11], off
	global_load_dword v65, v[12:13], off
	global_load_dword v67, v[14:15], off
	global_load_dword v69, v[16:17], off
	s_nop 0
	global_load_dword v18, v[18:19], off
	v_mad_u64_u32 v[4:5], s[4:5], v72, s9, v[2:3]
	scratch_load_dwordx2 v[86:87], off, off offset:8 ; 8-byte Folded Reload
	v_mad_u64_u32 v[6:7], s[4:5], v74, s9, v[2:3]
	v_mad_u64_u32 v[8:9], s[4:5], v76, s9, v[2:3]
	;; [unrolled: 1-line block ×6, first 2 shown]
	s_waitcnt vmcnt(0)
	v_mad_u64_u32 v[2:3], s[4:5], v86, s9, v[2:3]
	global_load_dword v19, v[4:5], off
	global_load_dword v71, v[6:7], off
	;; [unrolled: 1-line block ×6, first 2 shown]
	s_nop 0
	global_load_dword v16, v[16:17], off
	s_nop 0
	global_load_dword v17, v[2:3], off
	s_nop 0
	scratch_load_dwordx2 v[2:3], off, off offset:16 ; 8-byte Folded Reload
	v_mad_u64_u32 v[4:5], s[4:5], v90, s9, v[0:1]
	v_lshl_add_u64 v[4:5], v[4:5], 0, 4
	v_lshl_add_u64 v[6:7], v[4:5], 0, v[98:99]
	;; [unrolled: 1-line block ×3, first 2 shown]
	v_add_u32_e32 v14, s16, v129
	v_add_u32_e32 v10, v14, v154
	;; [unrolled: 1-line block ×3, first 2 shown]
	v_mad_i64_i32 v[10:11], s[4:5], v10, 36, v[94:95]
	v_mad_i64_i32 v[12:13], s[4:5], v12, 36, v[94:95]
	s_waitcnt vmcnt(0)
	v_mad_u64_u32 v[2:3], s[4:5], v2, s9, v[0:1]
	v_mad_u64_u32 v[0:1], s[4:5], v92, s9, v[0:1]
	v_lshl_add_u64 v[0:1], v[0:1], 0, 4
	v_lshl_add_u64 v[8:9], v[0:1], 0, v[98:99]
	v_lshl_add_u64 v[0:1], v[0:1], 0, v[100:101]
	global_load_dword v89, v[2:3], off
	global_load_dword v102, v[6:7], off
	;; [unrolled: 1-line block ×5, first 2 shown]
	v_add_u32_e32 v0, v14, v140
	v_add_u32_e32 v2, v14, v142
	;; [unrolled: 1-line block ×5, first 2 shown]
	v_mad_i64_i32 v[0:1], s[4:5], v0, 36, v[94:95]
	v_mad_i64_i32 v[2:3], s[4:5], v2, 36, v[94:95]
	;; [unrolled: 1-line block ×5, first 2 shown]
	v_add_u32_e32 v14, v14, v160
	v_mad_i64_i32 v[14:15], s[4:5], v14, 36, v[94:95]
	global_load_dword v106, v[0:1], off offset:4
	s_nop 0
	global_load_dword v2, v[2:3], off offset:4
	s_nop 0
	;; [unrolled: 2-line block ×3, first 2 shown]
	global_load_dword v4, v[6:7], off offset:4
	global_load_dword v5, v[8:9], off offset:4
	s_nop 0
	global_load_dword v6, v[10:11], off offset:4
	global_load_dword v7, v[12:13], off offset:4
	global_load_dword v8, v[14:15], off offset:4
	v_mad_u64_u32 v[0:1], s[4:5], v115, 36, s[2:3]
	global_load_dword v0, v[0:1], off
	v_add_u32_e32 v1, 0x420, v61
	ds_write_b32 v1, v57
	v_add_u32_e32 v1, 0x840, v61
	ds_write_b32 v1, v59
	v_add_u32_e32 v1, 0xc60, v61
	ds_write_b32 v1, v63
	v_add_u32_e32 v1, 0x1080, v61
	ds_write_b32 v1, v65
	v_add_u32_e32 v1, 0x14a0, v61
	ds_write_b32 v61, v56
	ds_write_b32 v1, v67
	v_add_u32_e32 v1, 0x18c0, v61
	ds_write_b32 v1, v69
	v_add_u32_e32 v1, 0x1ce0, v61
	;; [unrolled: 2-line block ×3, first 2 shown]
	s_mov_b64 s[4:5], -1
	ds_write_b32 v1, v19
	ds_write_b32 v79, v71
	ds_write_b32 v81, v73
	ds_write_b32 v83, v86
	ds_write_b32 v85, v87
	ds_write_b32 v75, v88
	ds_write_b32 v77, v16
	ds_write_b32 v91, v17
	s_waitcnt vmcnt(13)
	ds_write_b32 v119, v89
	s_waitcnt vmcnt(12)
	v_ashrrev_i32_e32 v1, v121, v102
	v_and_b32_e32 v1, 0xf0f0f0f, v1
	s_waitcnt vmcnt(11)
	v_ashrrev_i32_e32 v9, v123, v103
	v_and_or_b32 v1, v9, s1, v1
	ds_write_b32 v125, v1
	s_waitcnt vmcnt(10)
	v_ashrrev_i32_e32 v1, v121, v104
	v_and_b32_e32 v1, 0xf0f0f0f, v1
	s_waitcnt vmcnt(9)
	v_ashrrev_i32_e32 v9, v123, v105
	v_and_or_b32 v1, v9, s1, v1
	ds_write_b32 v127, v1
	s_waitcnt vmcnt(8)
	ds_write_b32 v141, v106
	s_waitcnt vmcnt(7)
	ds_write_b32 v144, v2
	s_waitcnt vmcnt(6)
	ds_write_b32 v147, v3
	s_waitcnt vmcnt(5)
	ds_write_b32 v150, v4
	s_waitcnt vmcnt(4)
	ds_write_b32 v153, v5
	s_waitcnt vmcnt(3)
	ds_write_b32 v156, v6
	s_waitcnt vmcnt(2)
	ds_write_b32 v159, v7
	s_waitcnt vmcnt(1)
	ds_write_b32 v162, v8
	s_waitcnt vmcnt(0)
	ds_write_b32 v97, v0
	s_waitcnt lgkmcnt(0)
	s_barrier
	ds_read_b32 v0, v163
	ds_read_b32 v1, v165 offset:128
	ds_read_b32 v2, v166 offset:256
	;; [unrolled: 1-line block ×3, first 2 shown]
	s_waitcnt lgkmcnt(3)
	v_cvt_f32_f16_e32 v16, v0
	v_cvt_f32_f16_sdwa v18, v0 dst_sel:DWORD dst_unused:UNUSED_PAD src0_sel:WORD_1
	s_waitcnt lgkmcnt(2)
	v_cvt_f32_f16_e32 v102, v1
	v_cvt_f32_f16_sdwa v104, v1 dst_sel:DWORD dst_unused:UNUSED_PAD src0_sel:WORD_1
	;; [unrolled: 3-line block ×4, first 2 shown]
	v_mov_b32_e32 v17, v16
	v_mov_b32_e32 v19, v18
	;; [unrolled: 1-line block ×8, first 2 shown]
.LBB171_6:                              ;   Parent Loop BB171_5 Depth=1
                                        ; =>  This Inner Loop Header: Depth=2
	s_lshl_b32 s17, s18, 1
	s_lshr_b32 s19, s18, 2
	v_or_b32_e32 v0, s17, v93
	s_lshl_b32 s18, s18, 2
	s_addk_i32 s19, 0x6200
	v_lshlrev_b32_e32 v1, 2, v0
	v_add_u32_e32 v59, s18, v168
	v_lshrrev_b32_e32 v56, 1, v0
	ds_read_b128 v[12:15], v1 offset:16896
	ds_read_b128 v[8:11], v1 offset:16912
	;; [unrolled: 1-line block ×4, first 2 shown]
	ds_read_b64 v[130:131], v56 offset:27200
	v_add3_u32 v57, s19, v179, v183
	ds_read2_b32 v[116:117], v59 offset1:1
	ds_read2_b32 v[132:133], v59 offset0:2 offset1:3
	ds_read2_b32 v[134:135], v59 offset0:4 offset1:5
	;; [unrolled: 1-line block ×3, first 2 shown]
	ds_read_u16 v59, v57
	ds_read_u8 v63, v57 offset:8
	ds_read_u8 v57, v57 offset:9
	s_waitcnt lgkmcnt(6)
	v_and_b32_e32 v196, 0xf0f0f0f, v116
	v_and_b32_e32 v197, 0xf0f0f0f, v117
	s_waitcnt lgkmcnt(5)
	v_and_b32_e32 v198, 0xf0f0f0f, v132
	s_waitcnt lgkmcnt(1)
	v_cvt_f32_ubyte0_e32 v118, v63
	v_lshrrev_b32_e32 v63, 4, v116
	v_and_b32_e32 v195, 0xf0f0f0f, v63
	v_lshrrev_b32_e32 v63, 4, v117
	v_and_b32_e32 v214, 0xf0f0f0f, v63
	;; [unrolled: 2-line block ×8, first 2 shown]
	s_waitcnt lgkmcnt(0)
	v_cvt_f32_ubyte0_e32 v122, v57
	v_add3_u32 v57, s19, v178, v180
	v_add_u32_e32 v63, s18, v169
	v_and_b32_e32 v199, 0xf0f0f0f, v133
	v_and_b32_e32 v200, 0xf0f0f0f, v134
	;; [unrolled: 1-line block ×5, first 2 shown]
	ds_read2_b32 v[116:117], v63 offset1:1
	ds_read2_b32 v[132:133], v63 offset0:2 offset1:3
	ds_read2_b32 v[134:135], v63 offset0:4 offset1:5
	;; [unrolled: 1-line block ×3, first 2 shown]
	ds_read_u16 v65, v57
	ds_read_u8 v63, v57 offset:8
	ds_read_u8 v67, v57 offset:9
	s_waitcnt lgkmcnt(6)
	v_lshrrev_b32_e32 v69, 4, v117
	v_and_b32_e32 v193, 0xf0f0f0f, v116
	v_and_b32_e32 v206, 0xf0f0f0f, v117
	v_lshrrev_b32_e32 v57, 4, v116
	s_waitcnt lgkmcnt(0)
	v_cvt_f32_ubyte0_e32 v126, v67
	v_add_u32_e32 v67, s18, v170
	v_and_b32_e32 v223, 0xf0f0f0f, v69
	v_lshrrev_b32_e32 v69, 4, v132
	ds_read2_b32 v[116:117], v67 offset1:1
	v_and_b32_e32 v207, 0xf0f0f0f, v132
	v_and_b32_e32 v208, 0xf0f0f0f, v133
	;; [unrolled: 1-line block ×3, first 2 shown]
	v_lshrrev_b32_e32 v69, 4, v133
	ds_read2_b32 v[132:133], v67 offset0:2 offset1:3
	v_and_b32_e32 v225, 0xf0f0f0f, v69
	v_lshrrev_b32_e32 v69, 4, v134
	v_and_b32_e32 v209, 0xf0f0f0f, v134
	v_and_b32_e32 v210, 0xf0f0f0f, v135
	;; [unrolled: 1-line block ×3, first 2 shown]
	v_lshrrev_b32_e32 v69, 4, v135
	ds_read2_b32 v[134:135], v67 offset0:4 offset1:5
	v_and_b32_e32 v229, 0xf0f0f0f, v69
	v_lshrrev_b32_e32 v69, 4, v136
	v_and_b32_e32 v211, 0xf0f0f0f, v136
	v_and_b32_e32 v212, 0xf0f0f0f, v137
	;; [unrolled: 1-line block ×3, first 2 shown]
	v_lshrrev_b32_e32 v69, 4, v137
	ds_read2_b32 v[136:137], v67 offset0:6 offset1:7
	s_waitcnt lgkmcnt(3)
	v_lshrrev_b32_e32 v71, 4, v117
	v_and_b32_e32 v239, 0xf0f0f0f, v71
	s_waitcnt lgkmcnt(2)
	v_lshrrev_b32_e32 v71, 4, v132
	v_and_b32_e32 v240, 0xf0f0f0f, v71
	v_lshrrev_b32_e32 v71, 4, v133
	v_and_b32_e32 v241, 0xf0f0f0f, v71
	s_waitcnt lgkmcnt(1)
	v_lshrrev_b32_e32 v71, 4, v134
	v_and_b32_e32 v242, 0xf0f0f0f, v71
	;; [unrolled: 5-line block ×3, first 2 shown]
	v_lshrrev_b32_e32 v71, 4, v137
	v_and_b32_e32 v204, 0xff, v65
	v_lshrrev_b16_e32 v227, 8, v65
	v_add3_u32 v65, s19, v177, v181
	v_and_b32_e32 v246, 0xf0f0f0f, v71
	v_add_u32_e32 v71, s18, v171
	v_and_b32_e32 v231, 0xf0f0f0f, v69
	v_and_b32_e32 v233, 0xf0f0f0f, v132
	;; [unrolled: 1-line block ×3, first 2 shown]
	ds_read_u16 v69, v65
	ds_read_u8 v67, v65 offset:8
	ds_read_u8 v65, v65 offset:9
	ds_read2_b32 v[132:133], v71 offset1:1
	v_mov_b32_e32 v56, 0
	v_and_b32_e32 v194, 0xff, v59
	v_lshrrev_b16_e32 v213, 8, v59
	v_mov_b32_e32 v59, 0
	v_and_b32_e32 v205, 0xf0f0f0f, v116
	v_mov_b32_e32 v255, 0
	s_waitcnt lgkmcnt(1)
	v_cvt_f32_ubyte0_e32 v128, v65
	s_waitcnt lgkmcnt(0)
	v_and_b32_e32 v228, 0xf0f0f0f, v132
	v_mov_b32_e32 v65, 0
	v_dot4c_i32_i8_e32 v56, v196, v12
	v_dot4c_i32_i8_e32 v59, v193, v12
	;; [unrolled: 1-line block ×3, first 2 shown]
	v_and_b32_e32 v232, 0xf0f0f0f, v117
	v_dot4c_i32_i8_e32 v65, v228, v12
	v_and_b32_e32 v247, 0xf0f0f0f, v133
	v_dot4c_i32_i8_e32 v56, v197, v13
	v_dot4c_i32_i8_e32 v59, v206, v13
	;; [unrolled: 1-line block ×4, first 2 shown]
	ds_read2_b32 v[12:13], v71 offset0:2 offset1:3
	v_dot4c_i32_i8_e32 v56, v198, v14
	v_dot4c_i32_i8_e32 v59, v207, v14
	v_dot4c_i32_i8_e32 v255, v233, v14
	v_dot4c_i32_i8_e32 v56, v199, v15
	s_waitcnt lgkmcnt(0)
	v_and_b32_e32 v248, 0xf0f0f0f, v12
	v_dot4c_i32_i8_e32 v65, v248, v14
	v_and_b32_e32 v249, 0xf0f0f0f, v13
	v_dot4c_i32_i8_e32 v59, v208, v15
	v_dot4c_i32_i8_e32 v255, v234, v15
	;; [unrolled: 1-line block ×3, first 2 shown]
	ds_read2_b32 v[14:15], v71 offset0:4 offset1:5
	v_and_b32_e32 v235, 0xf0f0f0f, v134
	v_dot4c_i32_i8_e32 v56, v200, v8
	v_dot4c_i32_i8_e32 v59, v209, v8
	;; [unrolled: 1-line block ×3, first 2 shown]
	s_waitcnt lgkmcnt(0)
	v_and_b32_e32 v250, 0xf0f0f0f, v14
	v_and_b32_e32 v236, 0xf0f0f0f, v135
	v_dot4c_i32_i8_e32 v65, v250, v8
	v_and_b32_e32 v251, 0xf0f0f0f, v15
	v_dot4c_i32_i8_e32 v56, v201, v9
	v_dot4c_i32_i8_e32 v59, v210, v9
	;; [unrolled: 1-line block ×4, first 2 shown]
	ds_read2_b32 v[8:9], v71 offset0:6 offset1:7
	v_and_b32_e32 v237, 0xf0f0f0f, v136
	v_dot4c_i32_i8_e32 v56, v202, v10
	v_dot4c_i32_i8_e32 v59, v211, v10
	;; [unrolled: 1-line block ×3, first 2 shown]
	s_waitcnt lgkmcnt(0)
	v_and_b32_e32 v252, 0xf0f0f0f, v8
	v_and_b32_e32 v238, 0xf0f0f0f, v137
	;; [unrolled: 1-line block ×3, first 2 shown]
	v_lshrrev_b16_e32 v243, 8, v69
	v_add3_u32 v69, s19, v176, v182
	v_dot4c_i32_i8_e32 v65, v252, v10
	v_and_b32_e32 v253, 0xf0f0f0f, v9
	v_dot4c_i32_i8_e32 v56, v203, v11
	v_dot4c_i32_i8_e32 v59, v212, v11
	v_dot4c_i32_i8_e32 v255, v238, v11
	v_dot4c_i32_i8_e32 v65, v253, v11
	ds_read_u16 v10, v69
	ds_read_u8 v11, v69 offset:8
	ds_read_u8 v71, v69 offset:9
	v_cvt_f32_ubyte0_e32 v124, v67
	v_lshrrev_b32_e32 v67, 4, v116
	v_mov_b32_e32 v254, 0
	s_waitcnt lgkmcnt(1)
	v_cvt_f32_ubyte0_e32 v116, v11
	v_lshrrev_b32_e32 v11, 4, v132
	v_cvt_f32_ubyte0_e32 v120, v63
	v_and_b32_e32 v57, 0xf0f0f0f, v57
	v_mov_b32_e32 v63, 0
	v_and_b32_e32 v222, 0xf0f0f0f, v67
	v_mov_b32_e32 v67, 0
	;; [unrolled: 2-line block ×3, first 2 shown]
	v_dot4c_i32_i8_e32 v254, v195, v4
	v_dot4c_i32_i8_e32 v63, v57, v4
	;; [unrolled: 1-line block ×4, first 2 shown]
	v_lshrrev_b32_e32 v4, 4, v133
	v_and_b32_e32 v192, 0xf0f0f0f, v4
	v_lshrrev_b32_e32 v4, 4, v12
	v_dot4c_i32_i8_e32 v254, v214, v5
	v_dot4c_i32_i8_e32 v63, v223, v5
	v_dot4c_i32_i8_e32 v67, v239, v5
	v_dot4c_i32_i8_e32 v69, v192, v5
	v_and_b32_e32 v190, 0xf0f0f0f, v4
	v_lshrrev_b32_e32 v4, 4, v13
	v_dot4c_i32_i8_e32 v254, v215, v6
	v_dot4c_i32_i8_e32 v63, v224, v6
	v_dot4c_i32_i8_e32 v67, v240, v6
	v_dot4c_i32_i8_e32 v69, v190, v6
	;; [unrolled: 6-line block ×3, first 2 shown]
	v_and_b32_e32 v186, 0xf0f0f0f, v4
	v_dot4c_i32_i8_e32 v254, v217, v0
	v_dot4c_i32_i8_e32 v63, v226, v0
	;; [unrolled: 1-line block ×4, first 2 shown]
	v_lshrrev_b32_e32 v0, 4, v15
	v_and_b32_e32 v187, 0xf0f0f0f, v0
	v_lshrrev_b32_e32 v0, 4, v8
	v_and_b32_e32 v188, 0xf0f0f0f, v0
	v_lshrrev_b32_e32 v0, 4, v9
	v_dot4c_i32_i8_e32 v254, v218, v1
	v_dot4c_i32_i8_e32 v63, v229, v1
	;; [unrolled: 1-line block ×4, first 2 shown]
	v_and_b32_e32 v189, 0xf0f0f0f, v0
	v_or_b32_e32 v0, s17, v143
	v_dot4c_i32_i8_e32 v254, v219, v2
	v_dot4c_i32_i8_e32 v63, v230, v2
	v_dot4c_i32_i8_e32 v67, v245, v2
	v_dot4c_i32_i8_e32 v69, v188, v2
	v_lshlrev_b32_e32 v1, 2, v0
	v_dot4c_i32_i8_e32 v254, v220, v3
	v_dot4c_i32_i8_e32 v63, v231, v3
	;; [unrolled: 1-line block ×3, first 2 shown]
	v_and_b32_e32 v117, 0xff, v10
	v_dot4c_i32_i8_e32 v69, v189, v3
	v_lshrrev_b16_e32 v184, 8, v10
	s_waitcnt lgkmcnt(0)
	v_cvt_f32_ubyte0_e32 v114, v71
	v_lshrrev_b32_e32 v71, 1, v0
	ds_read_b128 v[12:15], v1 offset:16896
	ds_read_b128 v[8:11], v1 offset:16912
	;; [unrolled: 1-line block ×4, first 2 shown]
	ds_read_b64 v[134:135], v71 offset:27200
	v_mov_b32_e32 v71, 0
	s_waitcnt lgkmcnt(4)
	v_dot4c_i32_i8_e32 v71, v196, v12
	v_mov_b32_e32 v73, 0
	v_dot4c_i32_i8_e32 v71, v197, v13
	s_waitcnt lgkmcnt(2)
	v_dot4c_i32_i8_e32 v73, v195, v4
	v_dot4c_i32_i8_e32 v71, v198, v14
	;; [unrolled: 1-line block ×7, first 2 shown]
	v_mul_lo_u32 v56, v56, v194
	v_dot4c_i32_i8_e32 v71, v201, v9
	s_waitcnt lgkmcnt(1)
	v_dot4c_i32_i8_e32 v73, v217, v0
	v_cvt_f32_f16_e32 v136, v130
	v_cvt_f32_f16_sdwa v138, v130 dst_sel:DWORD dst_unused:UNUSED_PAD src0_sel:WORD_1
	v_cvt_f32_i32_e32 v130, v56
	v_mul_lo_u32 v56, v254, v213
	v_dot4c_i32_i8_e32 v71, v202, v10
	v_dot4c_i32_i8_e32 v73, v218, v1
	v_cvt_f32_i32_e32 v88, v56
	v_mov_b32_e32 v56, 0
	v_dot4c_i32_i8_e32 v71, v203, v11
	v_dot4c_i32_i8_e32 v73, v219, v2
	;; [unrolled: 1-line block ×4, first 2 shown]
	s_waitcnt lgkmcnt(0)
	v_cvt_f32_f16_sdwa v139, v134 dst_sel:DWORD dst_unused:UNUSED_PAD src0_sel:WORD_1
	v_mul_lo_u32 v71, v71, v194
	v_dot4c_i32_i8_e32 v56, v206, v13
	v_cvt_f32_f16_e32 v137, v134
	v_cvt_f32_f16_e32 v133, v135
	;; [unrolled: 1-line block ×3, first 2 shown]
	v_cvt_f32_f16_sdwa v135, v135 dst_sel:DWORD dst_unused:UNUSED_PAD src0_sel:WORD_1
	v_cvt_f32_f16_sdwa v134, v131 dst_sel:DWORD dst_unused:UNUSED_PAD src0_sel:WORD_1
	v_cvt_f32_i32_e32 v131, v71
	v_mul_lo_u32 v71, v73, v213
	v_dot4c_i32_i8_e32 v56, v207, v14
	v_cvt_f32_i32_e32 v89, v71
	v_dot4c_i32_i8_e32 v56, v208, v15
	v_dot4c_i32_i8_e32 v56, v209, v8
	v_mov_b32_e32 v71, 0
	v_pk_fma_f32 v[86:87], v[118:119], v[138:139], 0 op_sel_hi:[0,1,0]
	v_dot4c_i32_i8_e32 v56, v210, v9
	v_dot4c_i32_i8_e32 v71, v57, v4
	v_pk_fma_f32 v[130:131], v[136:137], v[130:131], 0 op_sel_hi:[1,1,0]
	v_pk_fma_f32 v[86:87], v[122:123], v[134:135], v[86:87] op_sel_hi:[0,1,1]
	v_dot4c_i32_i8_e32 v56, v211, v10
	v_dot4c_i32_i8_e32 v71, v223, v5
	v_pk_fma_f32 v[88:89], v[132:133], v[88:89], v[130:131]
	v_pk_mul_f32 v[86:87], v[86:87], v[18:19]
	v_dot4c_i32_i8_e32 v56, v212, v11
	v_dot4c_i32_i8_e32 v71, v224, v6
	v_pk_fma_f32 v[86:87], v[88:89], v[16:17], v[86:87] neg_lo:[0,0,1] neg_hi:[0,0,1]
	v_dot4c_i32_i8_e32 v71, v225, v7
	v_mul_lo_u32 v56, v56, v204
	v_pk_add_f32 v[50:51], v[50:51], v[86:87]
	v_dot4c_i32_i8_e32 v71, v226, v0
	v_cvt_f32_i32_e32 v87, v56
	v_mul_lo_u32 v56, v63, v227
	v_dot4c_i32_i8_e32 v71, v229, v1
	v_cvt_f32_i32_e32 v130, v56
	v_mov_b32_e32 v56, 0
	v_dot4c_i32_i8_e32 v71, v230, v2
	v_dot4c_i32_i8_e32 v56, v205, v12
	;; [unrolled: 1-line block ×3, first 2 shown]
	v_mul_lo_u32 v59, v59, v204
	v_dot4c_i32_i8_e32 v56, v232, v13
	v_cvt_f32_i32_e32 v86, v59
	v_mul_lo_u32 v59, v71, v227
	v_dot4c_i32_i8_e32 v56, v233, v14
	v_cvt_f32_i32_e32 v131, v59
	v_dot4c_i32_i8_e32 v56, v234, v15
	v_dot4c_i32_i8_e32 v56, v235, v8
	v_pk_fma_f32 v[88:89], v[120:121], v[138:139], 0 op_sel_hi:[0,1,0]
	v_dot4c_i32_i8_e32 v56, v236, v9
	v_pk_fma_f32 v[86:87], v[136:137], v[86:87], 0 op_sel_hi:[1,1,0]
	v_pk_fma_f32 v[88:89], v[126:127], v[134:135], v[88:89] op_sel_hi:[0,1,1]
	v_dot4c_i32_i8_e32 v56, v237, v10
	v_pk_fma_f32 v[86:87], v[132:133], v[130:131], v[86:87]
	v_pk_mul_f32 v[88:89], v[88:89], v[104:105]
	v_dot4c_i32_i8_e32 v56, v238, v11
	v_pk_fma_f32 v[86:87], v[86:87], v[102:103], v[88:89] neg_lo:[0,0,1] neg_hi:[0,0,1]
	v_mov_b32_e32 v59, 0
	v_pk_add_f32 v[48:49], v[48:49], v[86:87]
	v_mul_lo_u32 v56, v56, v221
	v_cvt_f32_i32_e32 v87, v56
	v_mul_lo_u32 v56, v67, v243
	v_cvt_f32_i32_e32 v130, v56
	v_mov_b32_e32 v56, 0
	v_dot4c_i32_i8_e32 v56, v228, v12
	v_dot4c_i32_i8_e32 v56, v247, v13
	;; [unrolled: 1-line block ×5, first 2 shown]
	v_mov_b32_e32 v8, 0
	v_dot4c_i32_i8_e32 v8, v191, v4
	v_dot4c_i32_i8_e32 v8, v192, v5
	;; [unrolled: 1-line block ×17, first 2 shown]
	v_mul_lo_u32 v0, v65, v117
	v_mul_lo_u32 v1, v56, v117
	v_cvt_f32_i32_e32 v1, v1
	v_cvt_f32_i32_e32 v0, v0
	v_mul_lo_u32 v4, v69, v184
	v_mul_lo_u32 v5, v8, v184
	v_cvt_f32_i32_e32 v5, v5
	v_cvt_f32_i32_e32 v4, v4
	v_dot4c_i32_i8_e32 v59, v245, v2
	v_dot4c_i32_i8_e32 v59, v246, v3
	v_mul_lo_u32 v63, v255, v221
	v_pk_fma_f32 v[2:3], v[116:117], v[138:139], 0 op_sel_hi:[0,1,0]
	v_cvt_f32_i32_e32 v86, v63
	v_mul_lo_u32 v59, v59, v243
	v_pk_fma_f32 v[0:1], v[136:137], v[0:1], 0 op_sel_hi:[1,1,0]
	v_pk_fma_f32 v[2:3], v[114:115], v[134:135], v[2:3] op_sel_hi:[0,1,1]
	v_cvt_f32_i32_e32 v131, v59
	v_pk_fma_f32 v[0:1], v[132:133], v[4:5], v[0:1]
	v_pk_mul_f32 v[2:3], v[2:3], v[112:113]
	v_pk_fma_f32 v[86:87], v[136:137], v[86:87], 0 op_sel_hi:[1,1,0]
	v_pk_fma_f32 v[0:1], v[0:1], v[110:111], v[2:3] neg_lo:[0,0,1] neg_hi:[0,0,1]
	v_pk_fma_f32 v[86:87], v[132:133], v[130:131], v[86:87]
	v_pk_add_f32 v[44:45], v[44:45], v[0:1]
	v_or_b32_e32 v0, s17, v146
	v_lshlrev_b32_e32 v1, 2, v0
	v_lshrrev_b32_e32 v56, 1, v0
	ds_read_b128 v[12:15], v1 offset:16896
	ds_read_b128 v[8:11], v1 offset:16912
	;; [unrolled: 1-line block ×4, first 2 shown]
	ds_read_b64 v[130:131], v56 offset:27200
	v_mov_b32_e32 v67, 0
	v_mov_b32_e32 v69, 0
	v_mov_b32_e32 v71, 0
	v_mov_b32_e32 v73, 0
	v_mov_b32_e32 v63, 0
	v_mov_b32_e32 v65, 0
	v_mov_b32_e32 v56, 0
	v_mov_b32_e32 v59, 0
	s_waitcnt lgkmcnt(4)
	v_dot4c_i32_i8_e32 v67, v196, v12
	s_waitcnt lgkmcnt(2)
	v_dot4c_i32_i8_e32 v69, v195, v4
	v_dot4c_i32_i8_e32 v71, v193, v12
	;; [unrolled: 1-line block ×15, first 2 shown]
	v_pk_fma_f32 v[88:89], v[124:125], v[138:139], 0 op_sel_hi:[0,1,0]
	v_dot4c_i32_i8_e32 v67, v198, v14
	v_dot4c_i32_i8_e32 v69, v215, v6
	;; [unrolled: 1-line block ×8, first 2 shown]
	v_pk_fma_f32 v[88:89], v[128:129], v[134:135], v[88:89] op_sel_hi:[0,1,1]
	v_dot4c_i32_i8_e32 v67, v199, v15
	v_dot4c_i32_i8_e32 v69, v216, v7
	;; [unrolled: 1-line block ×8, first 2 shown]
	v_pk_mul_f32 v[88:89], v[88:89], v[108:109]
	v_dot4c_i32_i8_e32 v67, v200, v8
	s_waitcnt lgkmcnt(1)
	v_dot4c_i32_i8_e32 v69, v217, v0
	v_dot4c_i32_i8_e32 v71, v209, v8
	;; [unrolled: 1-line block ×7, first 2 shown]
	v_pk_fma_f32 v[86:87], v[86:87], v[106:107], v[88:89] neg_lo:[0,0,1] neg_hi:[0,0,1]
	v_dot4c_i32_i8_e32 v67, v201, v9
	v_dot4c_i32_i8_e32 v69, v218, v1
	;; [unrolled: 1-line block ×8, first 2 shown]
	v_or_b32_e32 v0, s17, v149
	v_pk_add_f32 v[46:47], v[46:47], v[86:87]
	v_dot4c_i32_i8_e32 v67, v202, v10
	v_dot4c_i32_i8_e32 v69, v219, v2
	;; [unrolled: 1-line block ×8, first 2 shown]
	v_lshlrev_b32_e32 v1, 2, v0
	v_lshrrev_b32_e32 v86, 1, v0
	v_dot4c_i32_i8_e32 v67, v203, v11
	v_dot4c_i32_i8_e32 v69, v220, v3
	;; [unrolled: 1-line block ×8, first 2 shown]
	ds_read_b128 v[12:15], v1 offset:16896
	ds_read_b128 v[8:11], v1 offset:16912
	;; [unrolled: 1-line block ×4, first 2 shown]
	ds_read_b64 v[86:87], v86 offset:27200
	v_mov_b32_e32 v88, 0
	s_waitcnt lgkmcnt(4)
	v_dot4c_i32_i8_e32 v88, v196, v12
	v_dot4c_i32_i8_e32 v88, v197, v13
	v_mov_b32_e32 v254, 0
	v_dot4c_i32_i8_e32 v88, v198, v14
	s_waitcnt lgkmcnt(2)
	v_dot4c_i32_i8_e32 v254, v195, v4
	v_dot4c_i32_i8_e32 v88, v199, v15
	;; [unrolled: 1-line block ×8, first 2 shown]
	s_waitcnt lgkmcnt(1)
	v_dot4c_i32_i8_e32 v254, v217, v0
	v_dot4c_i32_i8_e32 v88, v203, v11
	;; [unrolled: 1-line block ×4, first 2 shown]
	s_waitcnt lgkmcnt(0)
	v_cvt_f32_f16_e32 v137, v86
	v_cvt_f32_f16_sdwa v139, v86 dst_sel:DWORD dst_unused:UNUSED_PAD src0_sel:WORD_1
	v_mul_lo_u32 v67, v67, v194
	v_mul_lo_u32 v86, v88, v194
	v_dot4c_i32_i8_e32 v254, v220, v3
	v_cvt_f32_f16_e32 v133, v87
	v_cvt_f32_f16_sdwa v135, v87 dst_sel:DWORD dst_unused:UNUSED_PAD src0_sel:WORD_1
	v_cvt_f32_i32_e32 v87, v86
	v_cvt_f32_i32_e32 v86, v67
	v_mul_lo_u32 v67, v69, v213
	v_cvt_f32_f16_e32 v136, v130
	v_cvt_f32_f16_sdwa v138, v130 dst_sel:DWORD dst_unused:UNUSED_PAD src0_sel:WORD_1
	v_mul_lo_u32 v69, v254, v213
	v_cvt_f32_i32_e32 v130, v67
	v_mov_b32_e32 v67, 0
	v_cvt_f32_f16_e32 v132, v131
	v_cvt_f32_f16_sdwa v134, v131 dst_sel:DWORD dst_unused:UNUSED_PAD src0_sel:WORD_1
	v_cvt_f32_i32_e32 v131, v69
	v_dot4c_i32_i8_e32 v67, v193, v12
	v_mov_b32_e32 v69, 0
	v_dot4c_i32_i8_e32 v67, v206, v13
	v_dot4c_i32_i8_e32 v69, v57, v4
	;; [unrolled: 1-line block ×8, first 2 shown]
	v_pk_fma_f32 v[88:89], v[118:119], v[138:139], 0 op_sel_hi:[0,1,0]
	v_dot4c_i32_i8_e32 v67, v210, v9
	v_dot4c_i32_i8_e32 v69, v226, v0
	v_pk_fma_f32 v[86:87], v[86:87], v[136:137], 0 op_sel_hi:[1,1,0]
	v_pk_fma_f32 v[88:89], v[122:123], v[134:135], v[88:89] op_sel_hi:[0,1,1]
	v_dot4c_i32_i8_e32 v67, v211, v10
	v_dot4c_i32_i8_e32 v69, v229, v1
	v_pk_fma_f32 v[86:87], v[130:131], v[132:133], v[86:87]
	v_pk_mul_f32 v[88:89], v[88:89], v[18:19]
	v_dot4c_i32_i8_e32 v67, v212, v11
	v_dot4c_i32_i8_e32 v69, v230, v2
	v_pk_fma_f32 v[86:87], v[86:87], v[16:17], v[88:89] neg_lo:[0,0,1] neg_hi:[0,0,1]
	v_dot4c_i32_i8_e32 v69, v231, v3
	v_mul_lo_u32 v71, v71, v204
	v_mul_lo_u32 v67, v67, v204
	v_pk_add_f32 v[42:43], v[42:43], v[86:87]
	v_cvt_f32_i32_e32 v87, v67
	v_cvt_f32_i32_e32 v86, v71
	v_mul_lo_u32 v67, v73, v227
	v_mul_lo_u32 v69, v69, v227
	v_cvt_f32_i32_e32 v131, v69
	v_cvt_f32_i32_e32 v130, v67
	v_pk_fma_f32 v[88:89], v[120:121], v[138:139], 0 op_sel_hi:[0,1,0]
	v_pk_fma_f32 v[86:87], v[86:87], v[136:137], 0 op_sel_hi:[1,1,0]
	;; [unrolled: 1-line block ×3, first 2 shown]
	v_pk_fma_f32 v[86:87], v[130:131], v[132:133], v[86:87]
	v_pk_mul_f32 v[88:89], v[88:89], v[104:105]
	v_mul_lo_u32 v63, v63, v221
	v_pk_fma_f32 v[86:87], v[86:87], v[102:103], v[88:89] neg_lo:[0,0,1] neg_hi:[0,0,1]
	v_mov_b32_e32 v67, 0
	v_pk_add_f32 v[40:41], v[40:41], v[86:87]
	v_cvt_f32_i32_e32 v86, v63
	v_mul_lo_u32 v63, v65, v243
	v_cvt_f32_i32_e32 v130, v63
	v_mov_b32_e32 v63, 0
	v_dot4c_i32_i8_e32 v67, v205, v12
	v_dot4c_i32_i8_e32 v63, v228, v12
	;; [unrolled: 1-line block ×10, first 2 shown]
	v_mov_b32_e32 v8, 0
	v_dot4c_i32_i8_e32 v8, v191, v4
	v_mov_b32_e32 v69, 0
	v_dot4c_i32_i8_e32 v8, v192, v5
	v_dot4c_i32_i8_e32 v69, v222, v4
	;; [unrolled: 1-line block ×16, first 2 shown]
	v_mul_lo_u32 v0, v56, v117
	v_mul_lo_u32 v1, v63, v117
	v_dot4c_i32_i8_e32 v67, v236, v9
	v_cvt_f32_i32_e32 v1, v1
	v_cvt_f32_i32_e32 v0, v0
	v_mul_lo_u32 v4, v59, v184
	v_mul_lo_u32 v5, v8, v184
	v_dot4c_i32_i8_e32 v67, v237, v10
	v_cvt_f32_i32_e32 v5, v5
	v_cvt_f32_i32_e32 v4, v4
	v_dot4c_i32_i8_e32 v67, v238, v11
	v_dot4c_i32_i8_e32 v69, v245, v2
	;; [unrolled: 1-line block ×3, first 2 shown]
	v_pk_fma_f32 v[2:3], v[116:117], v[138:139], 0 op_sel_hi:[0,1,0]
	v_mul_lo_u32 v67, v67, v221
	v_cvt_f32_i32_e32 v87, v67
	v_mul_lo_u32 v65, v69, v243
	v_pk_fma_f32 v[0:1], v[0:1], v[136:137], 0 op_sel_hi:[1,1,0]
	v_pk_fma_f32 v[2:3], v[114:115], v[134:135], v[2:3] op_sel_hi:[0,1,1]
	v_cvt_f32_i32_e32 v131, v65
	v_pk_fma_f32 v[0:1], v[4:5], v[132:133], v[0:1]
	v_pk_mul_f32 v[2:3], v[2:3], v[112:113]
	v_pk_fma_f32 v[86:87], v[86:87], v[136:137], 0 op_sel_hi:[1,1,0]
	v_pk_fma_f32 v[0:1], v[0:1], v[110:111], v[2:3] neg_lo:[0,0,1] neg_hi:[0,0,1]
	v_pk_fma_f32 v[86:87], v[130:131], v[132:133], v[86:87]
	v_pk_add_f32 v[36:37], v[36:37], v[0:1]
	v_or_b32_e32 v0, s17, v152
	v_lshlrev_b32_e32 v1, 2, v0
	v_lshrrev_b32_e32 v56, 1, v0
	ds_read_b128 v[12:15], v1 offset:16896
	ds_read_b128 v[8:11], v1 offset:16912
	;; [unrolled: 1-line block ×4, first 2 shown]
	ds_read_b64 v[130:131], v56 offset:27200
	v_mov_b32_e32 v67, 0
	v_mov_b32_e32 v69, 0
	;; [unrolled: 1-line block ×8, first 2 shown]
	s_waitcnt lgkmcnt(4)
	v_dot4c_i32_i8_e32 v67, v196, v12
	s_waitcnt lgkmcnt(2)
	v_dot4c_i32_i8_e32 v69, v195, v4
	v_dot4c_i32_i8_e32 v71, v193, v12
	;; [unrolled: 1-line block ×15, first 2 shown]
	v_pk_fma_f32 v[88:89], v[124:125], v[138:139], 0 op_sel_hi:[0,1,0]
	v_dot4c_i32_i8_e32 v67, v198, v14
	v_dot4c_i32_i8_e32 v69, v215, v6
	;; [unrolled: 1-line block ×8, first 2 shown]
	v_pk_fma_f32 v[88:89], v[128:129], v[134:135], v[88:89] op_sel_hi:[0,1,1]
	v_dot4c_i32_i8_e32 v67, v199, v15
	v_dot4c_i32_i8_e32 v69, v216, v7
	;; [unrolled: 1-line block ×8, first 2 shown]
	v_pk_mul_f32 v[88:89], v[88:89], v[108:109]
	v_dot4c_i32_i8_e32 v67, v200, v8
	s_waitcnt lgkmcnt(1)
	v_dot4c_i32_i8_e32 v69, v217, v0
	v_dot4c_i32_i8_e32 v71, v209, v8
	;; [unrolled: 1-line block ×7, first 2 shown]
	v_pk_fma_f32 v[86:87], v[86:87], v[106:107], v[88:89] neg_lo:[0,0,1] neg_hi:[0,0,1]
	v_dot4c_i32_i8_e32 v67, v201, v9
	v_dot4c_i32_i8_e32 v69, v218, v1
	;; [unrolled: 1-line block ×8, first 2 shown]
	v_or_b32_e32 v0, s17, v155
	v_pk_add_f32 v[38:39], v[38:39], v[86:87]
	v_dot4c_i32_i8_e32 v67, v202, v10
	v_dot4c_i32_i8_e32 v69, v219, v2
	;; [unrolled: 1-line block ×8, first 2 shown]
	v_lshlrev_b32_e32 v1, 2, v0
	v_lshrrev_b32_e32 v86, 1, v0
	v_dot4c_i32_i8_e32 v67, v203, v11
	v_dot4c_i32_i8_e32 v69, v220, v3
	;; [unrolled: 1-line block ×8, first 2 shown]
	ds_read_b128 v[12:15], v1 offset:16896
	ds_read_b128 v[8:11], v1 offset:16912
	;; [unrolled: 1-line block ×4, first 2 shown]
	ds_read_b64 v[86:87], v86 offset:27200
	v_mov_b32_e32 v88, 0
	s_waitcnt lgkmcnt(4)
	v_dot4c_i32_i8_e32 v88, v196, v12
	v_dot4c_i32_i8_e32 v88, v197, v13
	v_mov_b32_e32 v254, 0
	v_dot4c_i32_i8_e32 v88, v198, v14
	s_waitcnt lgkmcnt(2)
	v_dot4c_i32_i8_e32 v254, v195, v4
	v_dot4c_i32_i8_e32 v88, v199, v15
	;; [unrolled: 1-line block ×8, first 2 shown]
	s_waitcnt lgkmcnt(1)
	v_dot4c_i32_i8_e32 v254, v217, v0
	v_dot4c_i32_i8_e32 v88, v203, v11
	;; [unrolled: 1-line block ×4, first 2 shown]
	s_waitcnt lgkmcnt(0)
	v_cvt_f32_f16_e32 v137, v86
	v_cvt_f32_f16_sdwa v139, v86 dst_sel:DWORD dst_unused:UNUSED_PAD src0_sel:WORD_1
	v_mul_lo_u32 v67, v67, v194
	v_mul_lo_u32 v86, v88, v194
	v_dot4c_i32_i8_e32 v254, v220, v3
	v_cvt_f32_f16_e32 v133, v87
	v_cvt_f32_f16_sdwa v135, v87 dst_sel:DWORD dst_unused:UNUSED_PAD src0_sel:WORD_1
	v_cvt_f32_i32_e32 v87, v86
	v_cvt_f32_i32_e32 v86, v67
	v_mul_lo_u32 v67, v69, v213
	v_cvt_f32_f16_e32 v136, v130
	v_cvt_f32_f16_sdwa v138, v130 dst_sel:DWORD dst_unused:UNUSED_PAD src0_sel:WORD_1
	v_mul_lo_u32 v69, v254, v213
	v_cvt_f32_i32_e32 v130, v67
	v_mov_b32_e32 v67, 0
	v_cvt_f32_f16_e32 v132, v131
	v_cvt_f32_f16_sdwa v134, v131 dst_sel:DWORD dst_unused:UNUSED_PAD src0_sel:WORD_1
	v_cvt_f32_i32_e32 v131, v69
	v_dot4c_i32_i8_e32 v67, v193, v12
	v_mov_b32_e32 v69, 0
	v_dot4c_i32_i8_e32 v67, v206, v13
	v_dot4c_i32_i8_e32 v69, v57, v4
	;; [unrolled: 1-line block ×8, first 2 shown]
	v_pk_fma_f32 v[88:89], v[118:119], v[138:139], 0 op_sel_hi:[0,1,0]
	v_dot4c_i32_i8_e32 v67, v210, v9
	v_dot4c_i32_i8_e32 v69, v226, v0
	v_pk_fma_f32 v[86:87], v[86:87], v[136:137], 0 op_sel_hi:[1,1,0]
	v_pk_fma_f32 v[88:89], v[122:123], v[134:135], v[88:89] op_sel_hi:[0,1,1]
	v_dot4c_i32_i8_e32 v67, v211, v10
	v_dot4c_i32_i8_e32 v69, v229, v1
	v_pk_fma_f32 v[86:87], v[130:131], v[132:133], v[86:87]
	v_pk_mul_f32 v[88:89], v[88:89], v[18:19]
	v_dot4c_i32_i8_e32 v67, v212, v11
	v_dot4c_i32_i8_e32 v69, v230, v2
	v_pk_fma_f32 v[86:87], v[86:87], v[16:17], v[88:89] neg_lo:[0,0,1] neg_hi:[0,0,1]
	v_dot4c_i32_i8_e32 v69, v231, v3
	v_mul_lo_u32 v71, v71, v204
	v_mul_lo_u32 v67, v67, v204
	v_pk_add_f32 v[34:35], v[34:35], v[86:87]
	v_cvt_f32_i32_e32 v87, v67
	v_cvt_f32_i32_e32 v86, v71
	v_mul_lo_u32 v67, v73, v227
	v_mul_lo_u32 v69, v69, v227
	v_cvt_f32_i32_e32 v131, v69
	v_cvt_f32_i32_e32 v130, v67
	v_pk_fma_f32 v[88:89], v[120:121], v[138:139], 0 op_sel_hi:[0,1,0]
	v_pk_fma_f32 v[86:87], v[86:87], v[136:137], 0 op_sel_hi:[1,1,0]
	;; [unrolled: 1-line block ×3, first 2 shown]
	v_pk_fma_f32 v[86:87], v[130:131], v[132:133], v[86:87]
	v_pk_mul_f32 v[88:89], v[88:89], v[104:105]
	v_mul_lo_u32 v63, v63, v221
	v_pk_fma_f32 v[86:87], v[86:87], v[102:103], v[88:89] neg_lo:[0,0,1] neg_hi:[0,0,1]
	v_mov_b32_e32 v67, 0
	v_pk_add_f32 v[32:33], v[32:33], v[86:87]
	v_cvt_f32_i32_e32 v86, v63
	v_mul_lo_u32 v63, v65, v243
	v_cvt_f32_i32_e32 v130, v63
	v_mov_b32_e32 v63, 0
	v_dot4c_i32_i8_e32 v67, v205, v12
	v_dot4c_i32_i8_e32 v63, v228, v12
	v_dot4c_i32_i8_e32 v67, v232, v13
	v_dot4c_i32_i8_e32 v63, v247, v13
	v_dot4c_i32_i8_e32 v67, v233, v14
	v_dot4c_i32_i8_e32 v63, v248, v14
	v_dot4c_i32_i8_e32 v67, v234, v15
	v_dot4c_i32_i8_e32 v63, v249, v15
	v_dot4c_i32_i8_e32 v67, v235, v8
	v_dot4c_i32_i8_e32 v63, v250, v8
	v_mov_b32_e32 v8, 0
	v_dot4c_i32_i8_e32 v8, v191, v4
	v_mov_b32_e32 v69, 0
	v_dot4c_i32_i8_e32 v8, v192, v5
	v_dot4c_i32_i8_e32 v69, v222, v4
	;; [unrolled: 1-line block ×16, first 2 shown]
	v_mul_lo_u32 v0, v56, v117
	v_mul_lo_u32 v1, v63, v117
	v_cvt_f32_i32_e32 v1, v1
	v_cvt_f32_i32_e32 v0, v0
	v_mul_lo_u32 v4, v59, v184
	v_mul_lo_u32 v5, v8, v184
	v_cvt_f32_i32_e32 v5, v5
	v_cvt_f32_i32_e32 v4, v4
	v_dot4c_i32_i8_e32 v69, v245, v2
	v_dot4c_i32_i8_e32 v69, v246, v3
	v_pk_fma_f32 v[2:3], v[116:117], v[138:139], 0 op_sel_hi:[0,1,0]
	v_pk_fma_f32 v[0:1], v[0:1], v[136:137], 0 op_sel_hi:[1,1,0]
	;; [unrolled: 1-line block ×3, first 2 shown]
	v_pk_fma_f32 v[0:1], v[4:5], v[132:133], v[0:1]
	v_pk_mul_f32 v[2:3], v[2:3], v[112:113]
	v_dot4c_i32_i8_e32 v67, v236, v9
	v_pk_fma_f32 v[0:1], v[0:1], v[110:111], v[2:3] neg_lo:[0,0,1] neg_hi:[0,0,1]
	v_dot4c_i32_i8_e32 v67, v237, v10
	v_pk_add_f32 v[28:29], v[28:29], v[0:1]
	v_or_b32_e32 v0, s17, v158
	v_lshlrev_b32_e32 v1, 2, v0
	v_dot4c_i32_i8_e32 v67, v238, v11
	v_pk_fma_f32 v[88:89], v[124:125], v[138:139], 0 op_sel_hi:[0,1,0]
	v_lshrrev_b32_e32 v56, 1, v0
	ds_read_b128 v[12:15], v1 offset:16896
	ds_read_b128 v[8:11], v1 offset:16912
	ds_read_b128 v[4:7], v1 offset:16928
	ds_read_b128 v[0:3], v1 offset:16944
	ds_read_b64 v[138:139], v56 offset:27200
	v_mul_lo_u32 v67, v67, v221
	v_mul_lo_u32 v65, v69, v243
	v_cvt_f32_i32_e32 v87, v67
	v_cvt_f32_i32_e32 v131, v65
	v_mov_b32_e32 v63, 0
	v_mov_b32_e32 v65, 0
	;; [unrolled: 1-line block ×8, first 2 shown]
	s_waitcnt lgkmcnt(4)
	v_dot4c_i32_i8_e32 v63, v196, v12
	s_waitcnt lgkmcnt(2)
	v_dot4c_i32_i8_e32 v65, v195, v4
	v_dot4c_i32_i8_e32 v67, v193, v12
	;; [unrolled: 1-line block ×31, first 2 shown]
	v_pk_fma_f32 v[86:87], v[86:87], v[136:137], 0 op_sel_hi:[1,1,0]
	v_pk_fma_f32 v[88:89], v[128:129], v[134:135], v[88:89] op_sel_hi:[0,1,1]
	v_dot4c_i32_i8_e32 v63, v200, v8
	s_waitcnt lgkmcnt(1)
	v_dot4c_i32_i8_e32 v65, v217, v0
	v_dot4c_i32_i8_e32 v67, v209, v8
	;; [unrolled: 1-line block ×7, first 2 shown]
	v_pk_fma_f32 v[86:87], v[130:131], v[132:133], v[86:87]
	v_pk_mul_f32 v[88:89], v[88:89], v[108:109]
	v_dot4c_i32_i8_e32 v63, v201, v9
	v_dot4c_i32_i8_e32 v65, v218, v1
	;; [unrolled: 1-line block ×8, first 2 shown]
	v_or_b32_e32 v0, s17, v161
	v_pk_fma_f32 v[86:87], v[86:87], v[106:107], v[88:89] neg_lo:[0,0,1] neg_hi:[0,0,1]
	v_dot4c_i32_i8_e32 v63, v202, v10
	v_dot4c_i32_i8_e32 v65, v219, v2
	;; [unrolled: 1-line block ×8, first 2 shown]
	v_lshlrev_b32_e32 v1, 2, v0
	v_pk_add_f32 v[30:31], v[30:31], v[86:87]
	v_dot4c_i32_i8_e32 v63, v203, v11
	v_dot4c_i32_i8_e32 v65, v220, v3
	;; [unrolled: 1-line block ×8, first 2 shown]
	v_lshrrev_b32_e32 v71, 1, v0
	ds_read_b128 v[12:15], v1 offset:16896
	ds_read_b128 v[8:11], v1 offset:16912
	;; [unrolled: 1-line block ×4, first 2 shown]
	ds_read_b64 v[86:87], v71 offset:27200
	v_mov_b32_e32 v73, 0
	v_mov_b32_e32 v71, 0
	s_waitcnt lgkmcnt(2)
	v_dot4c_i32_i8_e32 v73, v195, v4
	v_dot4c_i32_i8_e32 v71, v196, v12
	;; [unrolled: 1-line block ×8, first 2 shown]
	s_waitcnt lgkmcnt(1)
	v_dot4c_i32_i8_e32 v73, v217, v0
	v_dot4c_i32_i8_e32 v71, v200, v8
	;; [unrolled: 1-line block ×5, first 2 shown]
	v_mul_lo_u32 v63, v63, v194
	v_dot4c_i32_i8_e32 v71, v202, v10
	v_dot4c_i32_i8_e32 v73, v220, v3
	s_waitcnt lgkmcnt(0)
	v_cvt_f32_f16_e32 v137, v86
	v_cvt_f32_f16_sdwa v135, v86 dst_sel:DWORD dst_unused:UNUSED_PAD src0_sel:WORD_1
	v_cvt_f32_i32_e32 v86, v63
	v_mul_lo_u32 v63, v65, v213
	v_dot4c_i32_i8_e32 v71, v203, v11
	v_cvt_f32_f16_e32 v136, v138
	v_cvt_f32_f16_sdwa v134, v138 dst_sel:DWORD dst_unused:UNUSED_PAD src0_sel:WORD_1
	v_mul_lo_u32 v65, v73, v213
	v_cvt_f32_i32_e32 v138, v63
	v_mov_b32_e32 v63, 0
	v_cvt_f32_f16_e32 v132, v139
	v_cvt_f32_f16_sdwa v130, v139 dst_sel:DWORD dst_unused:UNUSED_PAD src0_sel:WORD_1
	v_mul_lo_u32 v71, v71, v194
	v_cvt_f32_i32_e32 v139, v65
	v_dot4c_i32_i8_e32 v63, v193, v12
	v_mov_b32_e32 v65, 0
	v_cvt_f32_f16_e32 v133, v87
	v_cvt_f32_f16_sdwa v131, v87 dst_sel:DWORD dst_unused:UNUSED_PAD src0_sel:WORD_1
	v_cvt_f32_i32_e32 v87, v71
	v_dot4c_i32_i8_e32 v63, v206, v13
	v_dot4c_i32_i8_e32 v65, v57, v4
	;; [unrolled: 1-line block ×6, first 2 shown]
	v_pk_fma_f32 v[88:89], v[118:119], v[134:135], 0 op_sel_hi:[0,1,0]
	v_dot4c_i32_i8_e32 v63, v209, v8
	v_dot4c_i32_i8_e32 v65, v225, v7
	v_pk_fma_f32 v[86:87], v[86:87], v[136:137], 0 op_sel_hi:[1,1,0]
	v_pk_fma_f32 v[88:89], v[122:123], v[130:131], v[88:89] op_sel_hi:[0,1,1]
	v_dot4c_i32_i8_e32 v63, v210, v9
	v_dot4c_i32_i8_e32 v65, v226, v0
	v_pk_fma_f32 v[86:87], v[138:139], v[132:133], v[86:87]
	v_pk_mul_f32 v[88:89], v[88:89], v[18:19]
	v_dot4c_i32_i8_e32 v63, v211, v10
	v_dot4c_i32_i8_e32 v65, v229, v1
	v_pk_fma_f32 v[86:87], v[86:87], v[16:17], v[88:89] neg_lo:[0,0,1] neg_hi:[0,0,1]
	v_dot4c_i32_i8_e32 v63, v212, v11
	v_dot4c_i32_i8_e32 v65, v230, v2
	v_mul_lo_u32 v57, v67, v204
	v_pk_add_f32 v[26:27], v[26:27], v[86:87]
	v_dot4c_i32_i8_e32 v65, v231, v3
	v_mul_lo_u32 v63, v63, v204
	v_cvt_f32_i32_e32 v86, v57
	v_mul_lo_u32 v57, v69, v227
	v_cvt_f32_i32_e32 v87, v63
	;; [unrolled: 2-line block ×3, first 2 shown]
	v_mov_b32_e32 v57, 0
	v_cvt_f32_i32_e32 v139, v63
	v_dot4c_i32_i8_e32 v57, v205, v12
	v_mov_b32_e32 v63, 0
	v_dot4c_i32_i8_e32 v57, v232, v13
	v_dot4c_i32_i8_e32 v63, v222, v4
	;; [unrolled: 1-line block ×12, first 2 shown]
	v_pk_fma_f32 v[88:89], v[120:121], v[134:135], 0 op_sel_hi:[0,1,0]
	v_dot4c_i32_i8_e32 v57, v238, v11
	v_dot4c_i32_i8_e32 v63, v245, v2
	v_pk_fma_f32 v[86:87], v[86:87], v[136:137], 0 op_sel_hi:[1,1,0]
	v_pk_fma_f32 v[88:89], v[126:127], v[130:131], v[88:89] op_sel_hi:[0,1,1]
	v_dot4c_i32_i8_e32 v63, v246, v3
	v_mul_lo_u32 v56, v56, v221
	v_mul_lo_u32 v57, v57, v221
	v_pk_fma_f32 v[86:87], v[138:139], v[132:133], v[86:87]
	v_pk_mul_f32 v[88:89], v[88:89], v[104:105]
	v_cvt_f32_i32_e32 v57, v57
	v_cvt_f32_i32_e32 v56, v56
	v_mul_lo_u32 v59, v59, v243
	v_mul_lo_u32 v63, v63, v243
	v_pk_fma_f32 v[86:87], v[86:87], v[102:103], v[88:89] neg_lo:[0,0,1] neg_hi:[0,0,1]
	v_cvt_f32_i32_e32 v89, v63
	v_cvt_f32_i32_e32 v88, v59
	v_pk_add_f32 v[24:25], v[24:25], v[86:87]
	v_pk_fma_f32 v[86:87], v[124:125], v[134:135], 0 op_sel_hi:[0,1,0]
	v_pk_fma_f32 v[56:57], v[56:57], v[136:137], 0 op_sel_hi:[1,1,0]
	;; [unrolled: 1-line block ×3, first 2 shown]
	v_pk_fma_f32 v[56:57], v[88:89], v[132:133], v[56:57]
	v_pk_mul_f32 v[86:87], v[86:87], v[108:109]
	s_mov_b32 s18, 8
	v_pk_fma_f32 v[56:57], v[56:57], v[106:107], v[86:87] neg_lo:[0,0,1] neg_hi:[0,0,1]
	s_and_b64 vcc, exec, s[4:5]
	v_pk_add_f32 v[22:23], v[22:23], v[56:57]
	v_mov_b32_e32 v56, 0
	v_dot4c_i32_i8_e32 v56, v228, v12
	v_dot4c_i32_i8_e32 v56, v247, v13
	v_dot4c_i32_i8_e32 v56, v248, v14
	v_dot4c_i32_i8_e32 v56, v249, v15
	v_dot4c_i32_i8_e32 v56, v250, v8
	v_mov_b32_e32 v8, 0
	v_dot4c_i32_i8_e32 v8, v191, v4
	v_dot4c_i32_i8_e32 v8, v192, v5
	;; [unrolled: 1-line block ×11, first 2 shown]
	v_mul_lo_u32 v0, v255, v117
	v_mul_lo_u32 v1, v56, v117
	v_cvt_f32_i32_e32 v1, v1
	v_cvt_f32_i32_e32 v0, v0
	v_mul_lo_u32 v4, v254, v184
	v_mul_lo_u32 v5, v8, v184
	v_cvt_f32_i32_e32 v5, v5
	v_cvt_f32_i32_e32 v4, v4
	v_pk_fma_f32 v[2:3], v[116:117], v[134:135], 0 op_sel_hi:[0,1,0]
	v_pk_fma_f32 v[0:1], v[0:1], v[136:137], 0 op_sel_hi:[1,1,0]
	;; [unrolled: 1-line block ×3, first 2 shown]
	v_pk_fma_f32 v[0:1], v[4:5], v[132:133], v[0:1]
	v_pk_mul_f32 v[2:3], v[2:3], v[112:113]
	s_mov_b64 s[4:5], 0
	v_pk_fma_f32 v[0:1], v[0:1], v[110:111], v[2:3] neg_lo:[0,0,1] neg_hi:[0,0,1]
	s_nop 0
	v_pk_add_f32 v[20:21], v[20:21], v[0:1]
	s_cbranch_vccnz .LBB171_6
; %bb.7:                                ;   in Loop: Header=BB171_5 Depth=1
	v_add_u32_e32 v14, s16, v164
	v_add_u32_e32 v0, v14, v140
	;; [unrolled: 1-line block ×6, first 2 shown]
	v_mad_i64_i32 v[0:1], s[4:5], v0, 36, v[94:95]
	v_mad_i64_i32 v[2:3], s[4:5], v2, 36, v[94:95]
	;; [unrolled: 1-line block ×5, first 2 shown]
	v_add_u32_e32 v10, v14, v154
	v_add_u32_e32 v12, v14, v157
	;; [unrolled: 1-line block ×3, first 2 shown]
	s_barrier
	v_mad_i64_i32 v[10:11], s[4:5], v10, 36, v[94:95]
	v_mad_i64_i32 v[12:13], s[4:5], v12, 36, v[94:95]
	;; [unrolled: 1-line block ×3, first 2 shown]
	global_load_dword v16, v[0:1], off offset:4
	s_nop 0
	global_load_dword v2, v[2:3], off offset:4
	s_nop 0
	global_load_dword v3, v[4:5], off offset:4
	s_nop 0
	global_load_dword v4, v[6:7], off offset:4
	global_load_dword v5, v[8:9], off offset:4
	s_nop 0
	global_load_dword v6, v[10:11], off offset:4
	global_load_dword v7, v[12:13], off offset:4
	;; [unrolled: 1-line block ×3, first 2 shown]
	v_add_u32_e32 v0, 4, v115
	v_mad_u64_u32 v[0:1], s[4:5], v0, 36, s[2:3]
	global_load_dword v0, v[0:1], off
	s_mov_b32 s4, 16
	s_mov_b32 s5, 0
	v_mov_b32_e32 v131, v174
	v_mov_b32_e32 v133, v173
	s_mov_b32 s16, 0
	v_mov_b32_e32 v184, v172
	s_waitcnt vmcnt(8)
	ds_write_b32 v141, v16
	s_waitcnt vmcnt(7)
	ds_write_b32 v144, v2
	;; [unrolled: 2-line block ×9, first 2 shown]
	s_waitcnt lgkmcnt(0)
	s_barrier
	ds_read_b32 v0, v163
	ds_read_b32 v1, v165 offset:128
	ds_read_b32 v2, v166 offset:256
	;; [unrolled: 1-line block ×3, first 2 shown]
	s_waitcnt lgkmcnt(2)
	v_cvt_f32_f16_e32 v106, v1
	v_cvt_f32_f16_e32 v102, v0
	v_cvt_f32_f16_sdwa v104, v0 dst_sel:DWORD dst_unused:UNUSED_PAD src0_sel:WORD_1
	v_cvt_f32_f16_sdwa v108, v1 dst_sel:DWORD dst_unused:UNUSED_PAD src0_sel:WORD_1
	s_waitcnt lgkmcnt(1)
	v_cvt_f32_f16_e32 v110, v2
	v_cvt_f32_f16_sdwa v112, v2 dst_sel:DWORD dst_unused:UNUSED_PAD src0_sel:WORD_1
	s_waitcnt lgkmcnt(0)
	v_cvt_f32_f16_e32 v114, v3
	v_cvt_f32_f16_sdwa v116, v3 dst_sel:DWORD dst_unused:UNUSED_PAD src0_sel:WORD_1
	v_mov_b32_e32 v103, v102
	v_mov_b32_e32 v105, v104
	;; [unrolled: 1-line block ×8, first 2 shown]
.LBB171_8:                              ;   Parent Loop BB171_5 Depth=1
                                        ; =>  This Inner Loop Header: Depth=2
	ds_read_b128 v[16:19], v131
	ds_read_b128 v[12:15], v131 offset:16
	ds_read_b128 v[8:11], v131 offset:32
	;; [unrolled: 1-line block ×3, first 2 shown]
	ds_read2_b64 v[0:3], v133 offset1:16
	ds_read2_b32 v[86:87], v184 offset1:1
	ds_read2_b32 v[88:89], v184 offset0:2 offset1:3
	ds_read2_b32 v[134:135], v184 offset0:4 offset1:5
	;; [unrolled: 1-line block ×3, first 2 shown]
	s_lshr_b32 s17, s4, 2
	s_and_b32 s17, s17, 0x3ffffffc
	v_add_u32_e32 v69, s5, v175
	s_waitcnt lgkmcnt(3)
	v_lshrrev_b32_e32 v65, 4, v87
	v_add3_u32 v57, v179, s17, v69
	v_and_b32_e32 v225, 0xf0f0f0f, v65
	s_waitcnt lgkmcnt(2)
	v_lshrrev_b32_e32 v65, 4, v88
	ds_read_u16 v59, v57 offset:25088
	ds_read_u16 v57, v57 offset:25096
	v_and_b32_e32 v226, 0xf0f0f0f, v65
	v_lshrrev_b32_e32 v65, 4, v89
	v_and_b32_e32 v227, 0xf0f0f0f, v65
	s_waitcnt lgkmcnt(3)
	v_lshrrev_b32_e32 v65, 4, v134
	v_and_b32_e32 v228, 0xf0f0f0f, v65
	v_lshrrev_b32_e32 v65, 4, v135
	v_and_b32_e32 v229, 0xf0f0f0f, v65
	s_waitcnt lgkmcnt(2)
	v_lshrrev_b32_e32 v65, 4, v136
	s_waitcnt lgkmcnt(1)
	v_and_b32_e32 v211, 0xff, v59
	v_and_b32_e32 v230, 0xf0f0f0f, v65
	v_lshrrev_b32_e32 v65, 4, v137
	v_lshrrev_b16_e32 v224, 8, v59
	v_add_u32_e32 v59, 0x1080, v184
	v_and_b32_e32 v202, 0xf0f0f0f, v86
	v_and_b32_e32 v201, 0xf0f0f0f, v87
	v_lshrrev_b32_e32 v63, 4, v86
	v_and_b32_e32 v233, 0xf0f0f0f, v65
	ds_read2_b32 v[86:87], v59 offset1:1
	v_add_u32_e32 v65, 0x1088, v184
	v_and_b32_e32 v204, 0xf0f0f0f, v88
	v_and_b32_e32 v205, 0xf0f0f0f, v89
	ds_read2_b32 v[88:89], v65 offset1:1
	v_add_u32_e32 v65, 0x1090, v184
	v_and_b32_e32 v208, 0xf0f0f0f, v134
	;; [unrolled: 4-line block ×3, first 2 shown]
	v_and_b32_e32 v214, 0xf0f0f0f, v137
	ds_read2_b32 v[136:137], v65 offset1:1
	s_waitcnt lgkmcnt(3)
	v_lshrrev_b32_e32 v71, 4, v87
	v_and_b32_e32 v235, 0xf0f0f0f, v71
	s_waitcnt lgkmcnt(2)
	v_lshrrev_b32_e32 v71, 4, v88
	v_cvt_f32_ubyte0_e32 v122, v57
	v_cvt_f32_ubyte1_e32 v126, v57
	v_add3_u32 v57, v178, s17, v69
	v_and_b32_e32 v237, 0xf0f0f0f, v71
	v_lshrrev_b32_e32 v71, 4, v89
	ds_read_u16 v65, v57 offset:25600
	ds_read_u16 v57, v57 offset:25608
	v_and_b32_e32 v239, 0xf0f0f0f, v71
	s_waitcnt lgkmcnt(3)
	v_lshrrev_b32_e32 v71, 4, v134
	v_and_b32_e32 v241, 0xf0f0f0f, v71
	v_lshrrev_b32_e32 v71, 4, v135
	v_and_b32_e32 v244, 0xf0f0f0f, v71
	s_waitcnt lgkmcnt(2)
	v_lshrrev_b32_e32 v71, 4, v136
	v_and_b32_e32 v245, 0xf0f0f0f, v71
	v_lshrrev_b32_e32 v71, 4, v137
	s_waitcnt lgkmcnt(1)
	v_and_b32_e32 v218, 0xff, v65
	v_and_b32_e32 v247, 0xf0f0f0f, v71
	v_lshrrev_b16_e32 v242, 8, v65
	v_add_u32_e32 v65, 0x2100, v184
	v_add_u32_e32 v71, 0x2108, v184
	v_and_b32_e32 v203, 0xf0f0f0f, v86
	v_and_b32_e32 v206, 0xf0f0f0f, v87
	;; [unrolled: 1-line block ×4, first 2 shown]
	v_lshrrev_b32_e32 v67, 4, v86
	ds_read2_b32 v[86:87], v65 offset1:1
	ds_read2_b32 v[88:89], v71 offset1:1
	v_add_u32_e32 v71, 0x2110, v184
	v_and_b32_e32 v216, 0xf0f0f0f, v134
	v_and_b32_e32 v217, 0xf0f0f0f, v135
	s_waitcnt lgkmcnt(2)
	v_cvt_f32_ubyte0_e32 v124, v57
	v_cvt_f32_ubyte1_e32 v130, v57
	v_add3_u32 v57, v177, s17, v69
	ds_read2_b32 v[134:135], v71 offset1:1
	v_add_u32_e32 v71, 0x2118, v184
	v_and_b32_e32 v219, 0xf0f0f0f, v136
	v_and_b32_e32 v220, 0xf0f0f0f, v137
	ds_read2_b32 v[136:137], v71 offset1:1
	ds_read_u16 v73, v57 offset:26112
	ds_read_u16 v118, v57 offset:26120
	s_waitcnt lgkmcnt(5)
	v_lshrrev_b32_e32 v57, 4, v86
	v_and_b32_e32 v221, 0xf0f0f0f, v86
	v_and_b32_e32 v223, 0xf0f0f0f, v87
	s_waitcnt lgkmcnt(1)
	v_and_b32_e32 v234, 0xff, v73
	v_lshrrev_b16_e32 v253, 8, v73
	v_add3_u32 v73, v176, s17, v69
	v_add_u32_e32 v69, 0x3180, v184
	v_and_b32_e32 v246, 0xf0f0f0f, v57
	v_lshrrev_b32_e32 v57, 4, v87
	ds_read2_b32 v[86:87], v69 offset1:1
	v_mov_b32_e32 v56, 0
	v_mov_b32_e32 v59, 0
	;; [unrolled: 1-line block ×4, first 2 shown]
	s_waitcnt lgkmcnt(0)
	v_and_b32_e32 v248, 0xf0f0f0f, v86
	v_dot4c_i32_i8_e32 v56, v202, v16
	v_dot4c_i32_i8_e32 v59, v203, v16
	;; [unrolled: 1-line block ×4, first 2 shown]
	v_and_b32_e32 v207, 0xf0f0f0f, v87
	v_add_u32_e32 v16, 0x3188, v184
	v_dot4c_i32_i8_e32 v56, v201, v17
	v_dot4c_i32_i8_e32 v59, v206, v17
	v_dot4c_i32_i8_e32 v65, v223, v17
	v_dot4c_i32_i8_e32 v69, v207, v17
	ds_read2_b32 v[16:17], v16 offset1:1
	v_and_b32_e32 v231, 0xf0f0f0f, v88
	v_dot4c_i32_i8_e32 v56, v204, v18
	v_dot4c_i32_i8_e32 v59, v210, v18
	v_dot4c_i32_i8_e32 v65, v231, v18
	s_waitcnt lgkmcnt(0)
	v_and_b32_e32 v196, 0xf0f0f0f, v16
	v_and_b32_e32 v232, 0xf0f0f0f, v89
	v_dot4c_i32_i8_e32 v69, v196, v18
	v_and_b32_e32 v195, 0xf0f0f0f, v17
	v_add_u32_e32 v18, 0x3190, v184
	v_dot4c_i32_i8_e32 v56, v205, v19
	v_dot4c_i32_i8_e32 v59, v212, v19
	v_dot4c_i32_i8_e32 v65, v232, v19
	v_dot4c_i32_i8_e32 v69, v195, v19
	ds_read2_b32 v[18:19], v18 offset1:1
	v_and_b32_e32 v236, 0xf0f0f0f, v134
	v_dot4c_i32_i8_e32 v56, v208, v12
	v_dot4c_i32_i8_e32 v59, v216, v12
	v_dot4c_i32_i8_e32 v65, v236, v12
	s_waitcnt lgkmcnt(0)
	v_and_b32_e32 v197, 0xf0f0f0f, v18
	v_and_b32_e32 v238, 0xf0f0f0f, v135
	v_dot4c_i32_i8_e32 v69, v197, v12
	;; [unrolled: 15-line block ×3, first 2 shown]
	v_and_b32_e32 v200, 0xf0f0f0f, v13
	v_dot4c_i32_i8_e32 v56, v214, v15
	v_dot4c_i32_i8_e32 v59, v220, v15
	;; [unrolled: 1-line block ×4, first 2 shown]
	ds_read_u16 v14, v73 offset:26624
	ds_read_u16 v15, v73 offset:26632
	v_lshrrev_b32_e32 v73, 4, v86
	v_and_b32_e32 v215, 0xf0f0f0f, v63
	v_mov_b32_e32 v63, 0
	v_and_b32_e32 v222, 0xf0f0f0f, v67
	v_mov_b32_e32 v67, 0
	v_mov_b32_e32 v71, 0
	v_and_b32_e32 v191, 0xf0f0f0f, v73
	v_mov_b32_e32 v73, 0
	v_dot4c_i32_i8_e32 v63, v215, v8
	v_dot4c_i32_i8_e32 v67, v222, v8
	;; [unrolled: 1-line block ×4, first 2 shown]
	v_lshrrev_b32_e32 v8, 4, v87
	v_and_b32_e32 v249, 0xf0f0f0f, v57
	v_lshrrev_b32_e32 v57, 4, v88
	v_and_b32_e32 v194, 0xf0f0f0f, v8
	v_lshrrev_b32_e32 v8, 4, v16
	v_dot4c_i32_i8_e32 v63, v225, v9
	v_dot4c_i32_i8_e32 v67, v235, v9
	;; [unrolled: 1-line block ×3, first 2 shown]
	v_and_b32_e32 v250, 0xf0f0f0f, v57
	v_lshrrev_b32_e32 v57, 4, v89
	v_dot4c_i32_i8_e32 v73, v194, v9
	v_and_b32_e32 v193, 0xf0f0f0f, v8
	v_lshrrev_b32_e32 v8, 4, v17
	v_dot4c_i32_i8_e32 v63, v226, v10
	v_dot4c_i32_i8_e32 v67, v237, v10
	;; [unrolled: 1-line block ×3, first 2 shown]
	v_and_b32_e32 v251, 0xf0f0f0f, v57
	v_lshrrev_b32_e32 v57, 4, v134
	v_dot4c_i32_i8_e32 v73, v193, v10
	v_and_b32_e32 v187, 0xf0f0f0f, v8
	v_lshrrev_b32_e32 v8, 4, v18
	v_dot4c_i32_i8_e32 v63, v227, v11
	v_dot4c_i32_i8_e32 v67, v239, v11
	;; [unrolled: 1-line block ×3, first 2 shown]
	v_and_b32_e32 v252, 0xf0f0f0f, v57
	v_dot4c_i32_i8_e32 v73, v187, v11
	v_and_b32_e32 v188, 0xf0f0f0f, v8
	v_dot4c_i32_i8_e32 v63, v228, v4
	v_dot4c_i32_i8_e32 v67, v241, v4
	;; [unrolled: 1-line block ×3, first 2 shown]
	v_lshrrev_b32_e32 v57, 4, v135
	v_dot4c_i32_i8_e32 v73, v188, v4
	v_lshrrev_b32_e32 v4, 4, v19
	v_and_b32_e32 v254, 0xf0f0f0f, v57
	v_lshrrev_b32_e32 v57, 4, v136
	v_and_b32_e32 v189, 0xf0f0f0f, v4
	v_lshrrev_b32_e32 v4, 4, v12
	v_dot4c_i32_i8_e32 v63, v229, v5
	v_dot4c_i32_i8_e32 v67, v244, v5
	;; [unrolled: 1-line block ×3, first 2 shown]
	v_and_b32_e32 v255, 0xf0f0f0f, v57
	v_lshrrev_b32_e32 v57, 4, v137
	v_dot4c_i32_i8_e32 v73, v189, v5
	v_and_b32_e32 v190, 0xf0f0f0f, v4
	v_lshrrev_b32_e32 v4, 4, v13
	v_dot4c_i32_i8_e32 v63, v230, v6
	v_dot4c_i32_i8_e32 v67, v245, v6
	;; [unrolled: 1-line block ×3, first 2 shown]
	v_and_b32_e32 v57, 0xf0f0f0f, v57
	v_dot4c_i32_i8_e32 v73, v190, v6
	v_and_b32_e32 v192, 0xf0f0f0f, v4
	v_dot4c_i32_i8_e32 v63, v233, v7
	v_dot4c_i32_i8_e32 v67, v247, v7
	v_cvt_f32_ubyte0_e32 v128, v118
	v_dot4c_i32_i8_e32 v71, v57, v7
	v_cvt_f32_ubyte1_e32 v132, v118
	s_waitcnt lgkmcnt(1)
	v_and_b32_e32 v186, 0xff, v14
	s_waitcnt lgkmcnt(0)
	v_cvt_f32_ubyte0_e32 v120, v15
	v_dot4c_i32_i8_e32 v73, v192, v7
	v_lshrrev_b16_e32 v185, 8, v14
	v_cvt_f32_ubyte1_e32 v118, v15
	ds_read_b128 v[16:19], v131 offset:1024
	ds_read_b128 v[12:15], v131 offset:1040
	;; [unrolled: 1-line block ×4, first 2 shown]
	v_mov_b32_e32 v86, 0
	s_waitcnt lgkmcnt(3)
	v_dot4c_i32_i8_e32 v86, v202, v16
	v_mov_b32_e32 v88, 0
	v_dot4c_i32_i8_e32 v86, v201, v17
	s_waitcnt lgkmcnt(1)
	v_dot4c_i32_i8_e32 v88, v215, v8
	v_dot4c_i32_i8_e32 v86, v204, v18
	;; [unrolled: 1-line block ×8, first 2 shown]
	s_waitcnt lgkmcnt(0)
	v_dot4c_i32_i8_e32 v88, v228, v4
	v_dot4c_i32_i8_e32 v86, v213, v14
	;; [unrolled: 1-line block ×6, first 2 shown]
	v_cvt_f32_f16_e32 v137, v2
	v_cvt_f32_f16_e32 v136, v0
	v_cvt_f32_f16_sdwa v139, v2 dst_sel:DWORD dst_unused:UNUSED_PAD src0_sel:WORD_1
	v_cvt_f32_f16_sdwa v138, v0 dst_sel:DWORD dst_unused:UNUSED_PAD src0_sel:WORD_1
	v_cvt_f32_f16_e32 v134, v1
	v_cvt_f32_f16_sdwa v2, v1 dst_sel:DWORD dst_unused:UNUSED_PAD src0_sel:WORD_1
	v_mul_lo_u32 v0, v56, v211
	v_mul_lo_u32 v1, v86, v211
	v_cvt_f32_f16_e32 v135, v3
	v_cvt_f32_f16_sdwa v3, v3 dst_sel:DWORD dst_unused:UNUSED_PAD src0_sel:WORD_1
	v_cvt_f32_i32_e32 v1, v1
	v_cvt_f32_i32_e32 v0, v0
	v_mul_lo_u32 v56, v63, v224
	v_mul_lo_u32 v63, v88, v224
	v_cvt_f32_i32_e32 v89, v63
	v_cvt_f32_i32_e32 v88, v56
	v_pk_fma_f32 v[86:87], v[122:123], v[138:139], 0 op_sel_hi:[0,1,0]
	v_pk_fma_f32 v[0:1], v[136:137], v[0:1], 0 op_sel_hi:[1,1,0]
	;; [unrolled: 1-line block ×3, first 2 shown]
	v_pk_fma_f32 v[0:1], v[134:135], v[88:89], v[0:1]
	v_pk_mul_f32 v[86:87], v[86:87], v[104:105]
	v_mov_b32_e32 v56, 0
	v_pk_fma_f32 v[0:1], v[0:1], v[102:103], v[86:87] neg_lo:[0,0,1] neg_hi:[0,0,1]
	v_dot4c_i32_i8_e32 v56, v222, v8
	v_pk_add_f32 v[50:51], v[50:51], v[0:1]
	v_mov_b32_e32 v0, 0
	v_dot4c_i32_i8_e32 v0, v203, v16
	v_dot4c_i32_i8_e32 v0, v206, v17
	;; [unrolled: 1-line block ×15, first 2 shown]
	v_mul_lo_u32 v59, v59, v218
	v_mul_lo_u32 v0, v0, v218
	v_cvt_f32_i32_e32 v1, v0
	v_cvt_f32_i32_e32 v0, v59
	v_mul_lo_u32 v59, v67, v242
	v_mul_lo_u32 v56, v56, v242
	v_cvt_f32_i32_e32 v89, v56
	v_cvt_f32_i32_e32 v88, v59
	v_pk_fma_f32 v[86:87], v[124:125], v[138:139], 0 op_sel_hi:[0,1,0]
	v_pk_fma_f32 v[0:1], v[136:137], v[0:1], 0 op_sel_hi:[1,1,0]
	v_pk_fma_f32 v[86:87], v[130:131], v[2:3], v[86:87] op_sel_hi:[0,1,1]
	v_pk_fma_f32 v[0:1], v[134:135], v[88:89], v[0:1]
	v_pk_mul_f32 v[86:87], v[86:87], v[108:109]
	v_mov_b32_e32 v56, 0
	v_pk_fma_f32 v[0:1], v[0:1], v[106:107], v[86:87] neg_lo:[0,0,1] neg_hi:[0,0,1]
	v_dot4c_i32_i8_e32 v56, v246, v8
	v_pk_add_f32 v[48:49], v[48:49], v[0:1]
	v_mov_b32_e32 v0, 0
	v_dot4c_i32_i8_e32 v0, v221, v16
	v_dot4c_i32_i8_e32 v0, v223, v17
	;; [unrolled: 1-line block ×15, first 2 shown]
	v_mul_lo_u32 v59, v65, v234
	v_mul_lo_u32 v0, v0, v234
	v_cvt_f32_i32_e32 v1, v0
	v_cvt_f32_i32_e32 v0, v59
	v_mul_lo_u32 v59, v71, v253
	v_mul_lo_u32 v56, v56, v253
	v_cvt_f32_i32_e32 v89, v56
	v_cvt_f32_i32_e32 v88, v59
	v_pk_fma_f32 v[86:87], v[128:129], v[138:139], 0 op_sel_hi:[0,1,0]
	v_pk_fma_f32 v[0:1], v[136:137], v[0:1], 0 op_sel_hi:[1,1,0]
	;; [unrolled: 1-line block ×3, first 2 shown]
	v_pk_fma_f32 v[0:1], v[134:135], v[88:89], v[0:1]
	v_pk_mul_f32 v[86:87], v[86:87], v[112:113]
	v_mov_b32_e32 v65, 0
	v_pk_fma_f32 v[0:1], v[0:1], v[110:111], v[86:87] neg_lo:[0,0,1] neg_hi:[0,0,1]
	v_mov_b32_e32 v67, 0
	v_pk_add_f32 v[46:47], v[46:47], v[0:1]
	v_mov_b32_e32 v0, 0
	v_dot4c_i32_i8_e32 v0, v248, v16
	v_dot4c_i32_i8_e32 v0, v207, v17
	;; [unrolled: 1-line block ×5, first 2 shown]
	v_mov_b32_e32 v12, 0
	v_dot4c_i32_i8_e32 v12, v191, v8
	v_dot4c_i32_i8_e32 v12, v194, v9
	;; [unrolled: 1-line block ×11, first 2 shown]
	v_mul_lo_u32 v4, v69, v186
	v_mul_lo_u32 v0, v0, v186
	v_cvt_f32_i32_e32 v1, v0
	v_cvt_f32_i32_e32 v0, v4
	v_mul_lo_u32 v6, v73, v185
	v_mul_lo_u32 v7, v12, v185
	v_cvt_f32_i32_e32 v7, v7
	v_cvt_f32_i32_e32 v6, v6
	v_pk_fma_f32 v[4:5], v[120:121], v[138:139], 0 op_sel_hi:[0,1,0]
	v_pk_fma_f32 v[0:1], v[136:137], v[0:1], 0 op_sel_hi:[1,1,0]
	v_pk_fma_f32 v[2:3], v[118:119], v[2:3], v[4:5] op_sel_hi:[0,1,1]
	v_pk_fma_f32 v[0:1], v[134:135], v[6:7], v[0:1]
	v_pk_mul_f32 v[2:3], v[2:3], v[116:117]
	v_mov_b32_e32 v69, 0
	v_pk_fma_f32 v[0:1], v[0:1], v[114:115], v[2:3] neg_lo:[0,0,1] neg_hi:[0,0,1]
	v_mov_b32_e32 v71, 0
	v_pk_add_f32 v[44:45], v[44:45], v[0:1]
	ds_read_b128 v[8:11], v131 offset:2048
	ds_read_b128 v[12:15], v131 offset:2064
	ds_read2_b64 v[16:19], v133 offset0:32 offset1:48
	ds_read_b128 v[4:7], v131 offset:2080
	ds_read_b128 v[0:3], v131 offset:2096
	v_mov_b32_e32 v63, 0
	v_mov_b32_e32 v73, 0
	;; [unrolled: 1-line block ×4, first 2 shown]
	s_waitcnt lgkmcnt(4)
	v_dot4c_i32_i8_e32 v65, v202, v8
	s_waitcnt lgkmcnt(1)
	v_dot4c_i32_i8_e32 v67, v215, v4
	v_dot4c_i32_i8_e32 v69, v203, v8
	;; [unrolled: 1-line block ×32, first 2 shown]
	s_waitcnt lgkmcnt(0)
	v_dot4c_i32_i8_e32 v67, v228, v0
	v_dot4c_i32_i8_e32 v69, v216, v12
	;; [unrolled: 1-line block ×31, first 2 shown]
	ds_read_b128 v[12:15], v131 offset:3072
	ds_read_b128 v[8:11], v131 offset:3088
	;; [unrolled: 1-line block ×4, first 2 shown]
	v_mov_b32_e32 v86, 0
	s_waitcnt lgkmcnt(3)
	v_dot4c_i32_i8_e32 v86, v202, v12
	v_mov_b32_e32 v88, 0
	v_dot4c_i32_i8_e32 v86, v201, v13
	s_waitcnt lgkmcnt(1)
	v_dot4c_i32_i8_e32 v88, v215, v4
	v_dot4c_i32_i8_e32 v86, v204, v14
	;; [unrolled: 1-line block ×8, first 2 shown]
	s_waitcnt lgkmcnt(0)
	v_dot4c_i32_i8_e32 v88, v228, v0
	v_dot4c_i32_i8_e32 v86, v213, v10
	;; [unrolled: 1-line block ×6, first 2 shown]
	v_cvt_f32_f16_e32 v137, v18
	v_cvt_f32_f16_e32 v136, v16
	v_cvt_f32_f16_sdwa v139, v18 dst_sel:DWORD dst_unused:UNUSED_PAD src0_sel:WORD_1
	v_cvt_f32_f16_sdwa v138, v16 dst_sel:DWORD dst_unused:UNUSED_PAD src0_sel:WORD_1
	v_cvt_f32_f16_e32 v134, v17
	v_cvt_f32_f16_sdwa v18, v17 dst_sel:DWORD dst_unused:UNUSED_PAD src0_sel:WORD_1
	v_mul_lo_u32 v16, v65, v211
	v_mul_lo_u32 v17, v86, v211
	v_cvt_f32_f16_e32 v135, v19
	v_cvt_f32_f16_sdwa v19, v19 dst_sel:DWORD dst_unused:UNUSED_PAD src0_sel:WORD_1
	v_cvt_f32_i32_e32 v17, v17
	v_cvt_f32_i32_e32 v16, v16
	v_mul_lo_u32 v65, v67, v224
	v_mul_lo_u32 v67, v88, v224
	v_cvt_f32_i32_e32 v89, v67
	v_cvt_f32_i32_e32 v88, v65
	v_pk_fma_f32 v[86:87], v[122:123], v[138:139], 0 op_sel_hi:[0,1,0]
	v_pk_fma_f32 v[16:17], v[16:17], v[136:137], 0 op_sel_hi:[1,1,0]
	;; [unrolled: 1-line block ×3, first 2 shown]
	v_pk_fma_f32 v[16:17], v[88:89], v[134:135], v[16:17]
	v_pk_mul_f32 v[86:87], v[86:87], v[104:105]
	v_mov_b32_e32 v65, 0
	v_pk_fma_f32 v[16:17], v[16:17], v[102:103], v[86:87] neg_lo:[0,0,1] neg_hi:[0,0,1]
	v_dot4c_i32_i8_e32 v65, v222, v4
	v_pk_add_f32 v[42:43], v[42:43], v[16:17]
	v_mov_b32_e32 v16, 0
	v_dot4c_i32_i8_e32 v16, v203, v12
	v_dot4c_i32_i8_e32 v16, v206, v13
	;; [unrolled: 1-line block ×15, first 2 shown]
	v_mul_lo_u32 v67, v69, v218
	v_mul_lo_u32 v16, v16, v218
	v_cvt_f32_i32_e32 v17, v16
	v_cvt_f32_i32_e32 v16, v67
	v_mul_lo_u32 v67, v71, v242
	v_mul_lo_u32 v65, v65, v242
	v_cvt_f32_i32_e32 v89, v65
	v_cvt_f32_i32_e32 v88, v67
	v_pk_fma_f32 v[86:87], v[124:125], v[138:139], 0 op_sel_hi:[0,1,0]
	v_pk_fma_f32 v[16:17], v[16:17], v[136:137], 0 op_sel_hi:[1,1,0]
	;; [unrolled: 1-line block ×3, first 2 shown]
	v_pk_fma_f32 v[16:17], v[88:89], v[134:135], v[16:17]
	v_pk_mul_f32 v[86:87], v[86:87], v[108:109]
	v_mov_b32_e32 v65, 0
	v_pk_fma_f32 v[16:17], v[16:17], v[106:107], v[86:87] neg_lo:[0,0,1] neg_hi:[0,0,1]
	v_dot4c_i32_i8_e32 v65, v246, v4
	v_pk_add_f32 v[40:41], v[40:41], v[16:17]
	v_mov_b32_e32 v16, 0
	v_dot4c_i32_i8_e32 v16, v221, v12
	v_dot4c_i32_i8_e32 v16, v223, v13
	;; [unrolled: 1-line block ×15, first 2 shown]
	v_mul_lo_u32 v63, v63, v234
	v_mul_lo_u32 v16, v16, v234
	v_cvt_f32_i32_e32 v17, v16
	v_cvt_f32_i32_e32 v16, v63
	v_mul_lo_u32 v63, v73, v253
	v_mul_lo_u32 v65, v65, v253
	v_cvt_f32_i32_e32 v89, v65
	v_cvt_f32_i32_e32 v88, v63
	v_pk_fma_f32 v[86:87], v[128:129], v[138:139], 0 op_sel_hi:[0,1,0]
	v_pk_fma_f32 v[16:17], v[16:17], v[136:137], 0 op_sel_hi:[1,1,0]
	;; [unrolled: 1-line block ×3, first 2 shown]
	v_pk_fma_f32 v[16:17], v[88:89], v[134:135], v[16:17]
	v_pk_mul_f32 v[86:87], v[86:87], v[112:113]
	v_mov_b32_e32 v67, 0
	v_pk_fma_f32 v[16:17], v[16:17], v[110:111], v[86:87] neg_lo:[0,0,1] neg_hi:[0,0,1]
	v_mov_b32_e32 v69, 0
	v_pk_add_f32 v[38:39], v[38:39], v[16:17]
	v_mov_b32_e32 v16, 0
	v_dot4c_i32_i8_e32 v16, v248, v12
	v_dot4c_i32_i8_e32 v16, v207, v13
	;; [unrolled: 1-line block ×5, first 2 shown]
	v_mov_b32_e32 v8, 0
	v_dot4c_i32_i8_e32 v8, v191, v4
	v_dot4c_i32_i8_e32 v8, v194, v5
	;; [unrolled: 1-line block ×11, first 2 shown]
	v_mul_lo_u32 v0, v56, v186
	v_mul_lo_u32 v1, v16, v186
	v_cvt_f32_i32_e32 v1, v1
	v_cvt_f32_i32_e32 v0, v0
	v_mul_lo_u32 v4, v59, v185
	v_mul_lo_u32 v5, v8, v185
	v_cvt_f32_i32_e32 v5, v5
	v_cvt_f32_i32_e32 v4, v4
	v_pk_fma_f32 v[2:3], v[120:121], v[138:139], 0 op_sel_hi:[0,1,0]
	v_pk_fma_f32 v[0:1], v[0:1], v[136:137], 0 op_sel_hi:[1,1,0]
	;; [unrolled: 1-line block ×3, first 2 shown]
	v_pk_fma_f32 v[0:1], v[4:5], v[134:135], v[0:1]
	v_pk_mul_f32 v[2:3], v[2:3], v[116:117]
	v_mov_b32_e32 v71, 0
	v_pk_fma_f32 v[0:1], v[0:1], v[114:115], v[2:3] neg_lo:[0,0,1] neg_hi:[0,0,1]
	v_mov_b32_e32 v73, 0
	v_pk_add_f32 v[36:37], v[36:37], v[0:1]
	ds_read_b128 v[12:15], v131 offset:4096
	ds_read_b128 v[8:11], v131 offset:4112
	ds_read2_b64 v[16:19], v133 offset0:64 offset1:80
	ds_read_b128 v[4:7], v131 offset:4128
	ds_read_b128 v[0:3], v131 offset:4144
	v_mov_b32_e32 v63, 0
	v_mov_b32_e32 v65, 0
	;; [unrolled: 1-line block ×4, first 2 shown]
	s_waitcnt lgkmcnt(4)
	v_dot4c_i32_i8_e32 v67, v202, v12
	s_waitcnt lgkmcnt(1)
	v_dot4c_i32_i8_e32 v69, v215, v4
	v_dot4c_i32_i8_e32 v71, v203, v12
	;; [unrolled: 1-line block ×32, first 2 shown]
	s_waitcnt lgkmcnt(0)
	v_dot4c_i32_i8_e32 v69, v228, v0
	v_dot4c_i32_i8_e32 v71, v216, v8
	;; [unrolled: 1-line block ×31, first 2 shown]
	ds_read_b128 v[12:15], v131 offset:5120
	ds_read_b128 v[8:11], v131 offset:5136
	ds_read_b128 v[4:7], v131 offset:5152
	ds_read_b128 v[0:3], v131 offset:5168
	v_mov_b32_e32 v86, 0
	s_waitcnt lgkmcnt(3)
	v_dot4c_i32_i8_e32 v86, v202, v12
	v_mov_b32_e32 v88, 0
	v_dot4c_i32_i8_e32 v86, v201, v13
	s_waitcnt lgkmcnt(1)
	v_dot4c_i32_i8_e32 v88, v215, v4
	v_dot4c_i32_i8_e32 v86, v204, v14
	;; [unrolled: 1-line block ×8, first 2 shown]
	s_waitcnt lgkmcnt(0)
	v_dot4c_i32_i8_e32 v88, v228, v0
	v_dot4c_i32_i8_e32 v86, v213, v10
	;; [unrolled: 1-line block ×6, first 2 shown]
	v_cvt_f32_f16_e32 v137, v18
	v_cvt_f32_f16_e32 v136, v16
	v_cvt_f32_f16_sdwa v139, v18 dst_sel:DWORD dst_unused:UNUSED_PAD src0_sel:WORD_1
	v_cvt_f32_f16_sdwa v138, v16 dst_sel:DWORD dst_unused:UNUSED_PAD src0_sel:WORD_1
	v_cvt_f32_f16_e32 v134, v17
	v_cvt_f32_f16_sdwa v18, v17 dst_sel:DWORD dst_unused:UNUSED_PAD src0_sel:WORD_1
	v_mul_lo_u32 v16, v67, v211
	v_mul_lo_u32 v17, v86, v211
	v_cvt_f32_f16_e32 v135, v19
	v_cvt_f32_f16_sdwa v19, v19 dst_sel:DWORD dst_unused:UNUSED_PAD src0_sel:WORD_1
	v_cvt_f32_i32_e32 v17, v17
	v_cvt_f32_i32_e32 v16, v16
	v_mul_lo_u32 v67, v69, v224
	v_mul_lo_u32 v69, v88, v224
	v_cvt_f32_i32_e32 v89, v69
	v_cvt_f32_i32_e32 v88, v67
	v_pk_fma_f32 v[86:87], v[122:123], v[138:139], 0 op_sel_hi:[0,1,0]
	v_pk_fma_f32 v[16:17], v[16:17], v[136:137], 0 op_sel_hi:[1,1,0]
	;; [unrolled: 1-line block ×3, first 2 shown]
	v_pk_fma_f32 v[16:17], v[88:89], v[134:135], v[16:17]
	v_pk_mul_f32 v[86:87], v[86:87], v[104:105]
	v_mov_b32_e32 v67, 0
	v_pk_fma_f32 v[16:17], v[16:17], v[102:103], v[86:87] neg_lo:[0,0,1] neg_hi:[0,0,1]
	v_dot4c_i32_i8_e32 v67, v222, v4
	v_pk_add_f32 v[34:35], v[34:35], v[16:17]
	v_mov_b32_e32 v16, 0
	v_dot4c_i32_i8_e32 v16, v203, v12
	v_dot4c_i32_i8_e32 v16, v206, v13
	;; [unrolled: 1-line block ×15, first 2 shown]
	v_mul_lo_u32 v69, v71, v218
	v_mul_lo_u32 v16, v16, v218
	v_cvt_f32_i32_e32 v17, v16
	v_cvt_f32_i32_e32 v16, v69
	v_mul_lo_u32 v69, v73, v242
	v_mul_lo_u32 v67, v67, v242
	v_cvt_f32_i32_e32 v89, v67
	v_cvt_f32_i32_e32 v88, v69
	v_pk_fma_f32 v[86:87], v[124:125], v[138:139], 0 op_sel_hi:[0,1,0]
	v_pk_fma_f32 v[16:17], v[16:17], v[136:137], 0 op_sel_hi:[1,1,0]
	;; [unrolled: 1-line block ×3, first 2 shown]
	v_pk_fma_f32 v[16:17], v[88:89], v[134:135], v[16:17]
	v_pk_mul_f32 v[86:87], v[86:87], v[108:109]
	v_mov_b32_e32 v67, 0
	v_pk_fma_f32 v[16:17], v[16:17], v[106:107], v[86:87] neg_lo:[0,0,1] neg_hi:[0,0,1]
	v_dot4c_i32_i8_e32 v67, v246, v4
	v_pk_add_f32 v[32:33], v[32:33], v[16:17]
	v_mov_b32_e32 v16, 0
	v_dot4c_i32_i8_e32 v16, v221, v12
	v_dot4c_i32_i8_e32 v16, v223, v13
	;; [unrolled: 1-line block ×15, first 2 shown]
	v_mul_lo_u32 v63, v63, v234
	v_mul_lo_u32 v16, v16, v234
	v_cvt_f32_i32_e32 v17, v16
	v_cvt_f32_i32_e32 v16, v63
	v_mul_lo_u32 v63, v65, v253
	v_mul_lo_u32 v65, v67, v253
	v_cvt_f32_i32_e32 v89, v65
	v_cvt_f32_i32_e32 v88, v63
	v_pk_fma_f32 v[86:87], v[128:129], v[138:139], 0 op_sel_hi:[0,1,0]
	v_pk_fma_f32 v[16:17], v[16:17], v[136:137], 0 op_sel_hi:[1,1,0]
	;; [unrolled: 1-line block ×3, first 2 shown]
	v_pk_fma_f32 v[16:17], v[88:89], v[134:135], v[16:17]
	v_pk_mul_f32 v[86:87], v[86:87], v[112:113]
	v_mov_b32_e32 v71, 0
	v_pk_fma_f32 v[16:17], v[16:17], v[110:111], v[86:87] neg_lo:[0,0,1] neg_hi:[0,0,1]
	v_mov_b32_e32 v73, 0
	v_pk_add_f32 v[30:31], v[30:31], v[16:17]
	v_mov_b32_e32 v16, 0
	v_dot4c_i32_i8_e32 v16, v248, v12
	v_dot4c_i32_i8_e32 v16, v207, v13
	;; [unrolled: 1-line block ×5, first 2 shown]
	v_mov_b32_e32 v8, 0
	v_dot4c_i32_i8_e32 v8, v191, v4
	v_dot4c_i32_i8_e32 v8, v194, v5
	;; [unrolled: 1-line block ×11, first 2 shown]
	v_mul_lo_u32 v0, v56, v186
	v_mul_lo_u32 v1, v16, v186
	v_cvt_f32_i32_e32 v1, v1
	v_cvt_f32_i32_e32 v0, v0
	v_mul_lo_u32 v4, v59, v185
	v_mul_lo_u32 v5, v8, v185
	v_cvt_f32_i32_e32 v5, v5
	v_cvt_f32_i32_e32 v4, v4
	v_pk_fma_f32 v[2:3], v[120:121], v[138:139], 0 op_sel_hi:[0,1,0]
	v_pk_fma_f32 v[0:1], v[0:1], v[136:137], 0 op_sel_hi:[1,1,0]
	;; [unrolled: 1-line block ×3, first 2 shown]
	v_pk_fma_f32 v[0:1], v[4:5], v[134:135], v[0:1]
	v_pk_mul_f32 v[2:3], v[2:3], v[116:117]
	v_mov_b32_e32 v67, 0
	v_pk_fma_f32 v[0:1], v[0:1], v[114:115], v[2:3] neg_lo:[0,0,1] neg_hi:[0,0,1]
	v_mov_b32_e32 v69, 0
	v_pk_add_f32 v[28:29], v[28:29], v[0:1]
	ds_read_b128 v[0:3], v131 offset:6144
	ds_read_b128 v[4:7], v131 offset:6160
	ds_read2_b64 v[16:19], v133 offset0:96 offset1:112
	ds_read_b128 v[8:11], v131 offset:6176
	ds_read_b128 v[12:15], v131 offset:6192
	v_mov_b32_e32 v63, 0
	v_mov_b32_e32 v65, 0
	;; [unrolled: 1-line block ×4, first 2 shown]
	s_waitcnt lgkmcnt(4)
	v_dot4c_i32_i8_e32 v71, v202, v0
	s_waitcnt lgkmcnt(1)
	v_dot4c_i32_i8_e32 v73, v215, v8
	v_dot4c_i32_i8_e32 v67, v203, v0
	;; [unrolled: 1-line block ×32, first 2 shown]
	s_waitcnt lgkmcnt(0)
	v_dot4c_i32_i8_e32 v73, v228, v12
	v_dot4c_i32_i8_e32 v67, v216, v4
	;; [unrolled: 1-line block ×31, first 2 shown]
	ds_read_b128 v[8:11], v131 offset:7168
	ds_read_b128 v[12:15], v131 offset:7184
	;; [unrolled: 1-line block ×4, first 2 shown]
	v_mov_b32_e32 v86, 0
	s_waitcnt lgkmcnt(3)
	v_dot4c_i32_i8_e32 v86, v202, v8
	v_mov_b32_e32 v88, 0
	v_dot4c_i32_i8_e32 v86, v201, v9
	s_waitcnt lgkmcnt(1)
	v_dot4c_i32_i8_e32 v88, v215, v4
	v_dot4c_i32_i8_e32 v86, v204, v10
	;; [unrolled: 1-line block ×8, first 2 shown]
	s_waitcnt lgkmcnt(0)
	v_dot4c_i32_i8_e32 v88, v228, v0
	v_dot4c_i32_i8_e32 v86, v213, v14
	;; [unrolled: 1-line block ×6, first 2 shown]
	v_cvt_f32_f16_e32 v139, v18
	v_cvt_f32_f16_e32 v138, v16
	v_cvt_f32_f16_sdwa v137, v18 dst_sel:DWORD dst_unused:UNUSED_PAD src0_sel:WORD_1
	v_cvt_f32_f16_sdwa v136, v16 dst_sel:DWORD dst_unused:UNUSED_PAD src0_sel:WORD_1
	v_cvt_f32_f16_e32 v134, v17
	v_cvt_f32_f16_sdwa v18, v17 dst_sel:DWORD dst_unused:UNUSED_PAD src0_sel:WORD_1
	v_mul_lo_u32 v16, v71, v211
	v_mul_lo_u32 v17, v86, v211
	v_cvt_f32_f16_e32 v135, v19
	v_cvt_f32_f16_sdwa v19, v19 dst_sel:DWORD dst_unused:UNUSED_PAD src0_sel:WORD_1
	v_cvt_f32_i32_e32 v17, v17
	v_cvt_f32_i32_e32 v16, v16
	v_mul_lo_u32 v71, v73, v224
	v_mul_lo_u32 v73, v88, v224
	v_cvt_f32_i32_e32 v89, v73
	v_cvt_f32_i32_e32 v88, v71
	v_pk_fma_f32 v[86:87], v[122:123], v[136:137], 0 op_sel_hi:[0,1,0]
	v_pk_fma_f32 v[16:17], v[16:17], v[138:139], 0 op_sel_hi:[1,1,0]
	;; [unrolled: 1-line block ×3, first 2 shown]
	v_pk_fma_f32 v[16:17], v[88:89], v[134:135], v[16:17]
	v_pk_mul_f32 v[86:87], v[86:87], v[104:105]
	v_mov_b32_e32 v71, 0
	v_pk_fma_f32 v[16:17], v[16:17], v[102:103], v[86:87] neg_lo:[0,0,1] neg_hi:[0,0,1]
	v_dot4c_i32_i8_e32 v71, v222, v4
	v_pk_add_f32 v[26:27], v[26:27], v[16:17]
	v_mov_b32_e32 v16, 0
	v_dot4c_i32_i8_e32 v16, v203, v8
	v_dot4c_i32_i8_e32 v16, v206, v9
	;; [unrolled: 1-line block ×15, first 2 shown]
	v_mul_lo_u32 v67, v67, v218
	v_mul_lo_u32 v16, v16, v218
	v_cvt_f32_i32_e32 v17, v16
	v_cvt_f32_i32_e32 v16, v67
	v_mul_lo_u32 v67, v69, v242
	v_mul_lo_u32 v69, v71, v242
	v_cvt_f32_i32_e32 v89, v69
	v_cvt_f32_i32_e32 v88, v67
	v_pk_fma_f32 v[86:87], v[124:125], v[136:137], 0 op_sel_hi:[0,1,0]
	v_pk_fma_f32 v[16:17], v[16:17], v[138:139], 0 op_sel_hi:[1,1,0]
	;; [unrolled: 1-line block ×3, first 2 shown]
	v_pk_fma_f32 v[16:17], v[88:89], v[134:135], v[16:17]
	v_pk_mul_f32 v[86:87], v[86:87], v[108:109]
	v_mov_b32_e32 v67, 0
	v_pk_fma_f32 v[16:17], v[16:17], v[106:107], v[86:87] neg_lo:[0,0,1] neg_hi:[0,0,1]
	v_dot4c_i32_i8_e32 v67, v246, v4
	v_pk_add_f32 v[24:25], v[24:25], v[16:17]
	v_mov_b32_e32 v16, 0
	v_dot4c_i32_i8_e32 v16, v221, v8
	v_dot4c_i32_i8_e32 v16, v223, v9
	;; [unrolled: 1-line block ×15, first 2 shown]
	v_mul_lo_u32 v57, v63, v234
	v_mul_lo_u32 v16, v16, v234
	v_cvt_f32_i32_e32 v17, v16
	v_cvt_f32_i32_e32 v16, v57
	v_mul_lo_u32 v57, v65, v253
	v_mul_lo_u32 v63, v67, v253
	v_cvt_f32_i32_e32 v89, v63
	v_cvt_f32_i32_e32 v88, v57
	v_pk_fma_f32 v[86:87], v[128:129], v[136:137], 0 op_sel_hi:[0,1,0]
	v_pk_fma_f32 v[16:17], v[16:17], v[138:139], 0 op_sel_hi:[1,1,0]
	;; [unrolled: 1-line block ×3, first 2 shown]
	v_pk_fma_f32 v[16:17], v[88:89], v[134:135], v[16:17]
	v_pk_mul_f32 v[86:87], v[86:87], v[112:113]
	s_add_i32 s4, s4, 8
	v_pk_fma_f32 v[16:17], v[16:17], v[110:111], v[86:87] neg_lo:[0,0,1] neg_hi:[0,0,1]
	s_add_i32 s17, s16, 8
	v_pk_add_f32 v[22:23], v[22:23], v[16:17]
	v_mov_b32_e32 v16, 0
	v_dot4c_i32_i8_e32 v16, v248, v8
	v_mov_b32_e32 v8, 0
	v_dot4c_i32_i8_e32 v16, v207, v9
	v_dot4c_i32_i8_e32 v8, v191, v4
	;; [unrolled: 1-line block ×15, first 2 shown]
	v_mul_lo_u32 v0, v56, v186
	v_mul_lo_u32 v1, v16, v186
	v_cvt_f32_i32_e32 v1, v1
	v_cvt_f32_i32_e32 v0, v0
	v_mul_lo_u32 v4, v59, v185
	v_mul_lo_u32 v5, v8, v185
	v_cvt_f32_i32_e32 v5, v5
	v_cvt_f32_i32_e32 v4, v4
	v_pk_fma_f32 v[2:3], v[120:121], v[136:137], 0 op_sel_hi:[0,1,0]
	v_pk_fma_f32 v[0:1], v[0:1], v[138:139], 0 op_sel_hi:[1,1,0]
	v_pk_fma_f32 v[2:3], v[118:119], v[18:19], v[2:3] op_sel_hi:[0,1,1]
	v_pk_fma_f32 v[0:1], v[4:5], v[134:135], v[0:1]
	v_pk_mul_f32 v[2:3], v[2:3], v[116:117]
	s_add_i32 s16, s16, 16
	v_pk_fma_f32 v[0:1], v[0:1], v[114:115], v[2:3] neg_lo:[0,0,1] neg_hi:[0,0,1]
	s_add_i32 s5, s5, 2
	v_pk_add_f32 v[20:21], v[20:21], v[0:1]
	v_add_u32_e32 v184, 32, v184
	v_add_u32_e32 v133, 8, v133
	;; [unrolled: 1-line block ×3, first 2 shown]
	s_cmp_lt_u32 s16, 24
	s_mov_b32 s16, s17
	s_cbranch_scc1 .LBB171_8
; %bb.9:                                ;   in Loop: Header=BB171_5 Depth=1
	s_add_i32 s0, s0, 1
	s_cmp_eq_u32 s0, s7
	s_barrier
	s_cbranch_scc0 .LBB171_5
; %bb.10:
	scratch_load_dword v1, off, off offset:24 ; 4-byte Folded Reload
	scratch_load_dword v2, off, off offset:28 ; 4-byte Folded Reload
.LBB171_11:
	s_waitcnt vmcnt(0)
	v_cmp_gt_u32_e32 vcc, s8, v2
	s_and_saveexec_b64 s[0:1], vcc
	s_cbranch_execz .LBB171_62
; %bb.12:
	v_add_u32_e32 v0, s6, v53
	v_mul_lo_u32 v5, v2, s10
	v_cmp_gt_u32_e32 vcc, s10, v0
	s_and_saveexec_b64 s[2:3], vcc
	s_cbranch_execz .LBB171_14
; %bb.13:
	v_bfe_u32 v2, v50, 16, 1
	s_movk_i32 s0, 0x7fff
	v_add3_u32 v2, v50, v2, s0
	v_lshrrev_b32_e32 v2, 16, v2
	v_mov_b32_e32 v3, 0x7fc0
	v_cmp_o_f32_e64 s[0:1], v50, v50
	s_nop 1
	v_cndmask_b32_e64 v4, v3, v2, s[0:1]
	v_add_u32_e32 v2, v0, v5
	v_mov_b32_e32 v3, 0
	s_waitcnt lgkmcnt(0)
	v_lshl_add_u64 v[2:3], v[2:3], 1, s[12:13]
	global_store_short v[2:3], v4, off
.LBB171_14:
	s_or_b64 exec, exec, s[2:3]
	v_add_u32_e32 v2, 32, v0
	v_cmp_gt_u32_e64 s[0:1], s10, v2
	s_and_saveexec_b64 s[4:5], s[0:1]
	s_cbranch_execz .LBB171_16
; %bb.15:
	v_bfe_u32 v3, v48, 16, 1
	s_movk_i32 s2, 0x7fff
	v_add3_u32 v3, v48, v3, s2
	v_lshrrev_b32_e32 v3, 16, v3
	v_mov_b32_e32 v4, 0x7fc0
	v_cmp_o_f32_e64 s[2:3], v48, v48
	v_add_u32_e32 v6, v2, v5
	v_mov_b32_e32 v7, 0
	v_cndmask_b32_e64 v3, v4, v3, s[2:3]
	s_waitcnt lgkmcnt(0)
	v_lshl_add_u64 v[6:7], v[6:7], 1, s[12:13]
	global_store_short v[6:7], v3, off
.LBB171_16:
	s_or_b64 exec, exec, s[4:5]
	v_add_u32_e32 v3, 64, v0
	v_cmp_gt_u32_e64 s[2:3], s10, v3
	s_and_saveexec_b64 s[6:7], s[2:3]
	s_cbranch_execz .LBB171_18
; %bb.17:
	v_bfe_u32 v4, v46, 16, 1
	s_movk_i32 s4, 0x7fff
	v_add3_u32 v4, v46, v4, s4
	v_lshrrev_b32_e32 v4, 16, v4
	v_mov_b32_e32 v6, 0x7fc0
	v_cmp_o_f32_e64 s[4:5], v46, v46
	v_mov_b32_e32 v7, 0
	s_nop 0
	v_cndmask_b32_e64 v4, v6, v4, s[4:5]
	v_add_u32_e32 v6, v3, v5
	s_waitcnt lgkmcnt(0)
	v_lshl_add_u64 v[6:7], v[6:7], 1, s[12:13]
	global_store_short v[6:7], v4, off
.LBB171_18:
	s_or_b64 exec, exec, s[6:7]
	v_add_u32_e32 v4, 0x60, v0
	v_cmp_gt_u32_e64 s[4:5], s10, v4
	s_and_saveexec_b64 s[14:15], s[4:5]
	s_cbranch_execz .LBB171_20
; %bb.19:
	v_bfe_u32 v6, v44, 16, 1
	s_movk_i32 s6, 0x7fff
	v_add3_u32 v6, v44, v6, s6
	v_lshrrev_b32_e32 v6, 16, v6
	v_mov_b32_e32 v7, 0x7fc0
	v_cmp_o_f32_e64 s[6:7], v44, v44
	s_nop 1
	v_cndmask_b32_e64 v8, v7, v6, s[6:7]
	v_add_u32_e32 v6, v4, v5
	v_mov_b32_e32 v7, 0
	s_waitcnt lgkmcnt(0)
	v_lshl_add_u64 v[6:7], v[6:7], 1, s[12:13]
	global_store_short v[6:7], v8, off
.LBB171_20:
	s_or_b64 exec, exec, s[14:15]
	v_add3_u32 v5, v1, s11, 8
	v_cmp_gt_u32_e64 s[6:7], s8, v5
	s_and_b64 exec, exec, s[6:7]
	s_cbranch_execz .LBB171_62
; %bb.21:
	v_mul_lo_u32 v5, v5, s10
	s_and_saveexec_b64 s[14:15], vcc
	s_cbranch_execnz .LBB171_63
; %bb.22:
	s_or_b64 exec, exec, s[14:15]
	s_and_saveexec_b64 s[14:15], s[0:1]
	s_cbranch_execnz .LBB171_64
.LBB171_23:
	s_or_b64 exec, exec, s[14:15]
	s_and_saveexec_b64 s[14:15], s[2:3]
	s_cbranch_execnz .LBB171_65
.LBB171_24:
	s_or_b64 exec, exec, s[14:15]
	s_and_saveexec_b64 s[14:15], s[4:5]
	s_cbranch_execz .LBB171_26
.LBB171_25:
	v_bfe_u32 v6, v45, 16, 1
	s_movk_i32 s6, 0x7fff
	v_add3_u32 v6, v45, v6, s6
	v_lshrrev_b32_e32 v6, 16, v6
	v_mov_b32_e32 v7, 0x7fc0
	v_cmp_o_f32_e64 s[6:7], v45, v45
	s_nop 1
	v_cndmask_b32_e64 v8, v7, v6, s[6:7]
	v_add_u32_e32 v6, v5, v4
	v_mov_b32_e32 v7, 0
	s_waitcnt lgkmcnt(0)
	v_lshl_add_u64 v[6:7], v[6:7], 1, s[12:13]
	global_store_short v[6:7], v8, off
.LBB171_26:
	s_or_b64 exec, exec, s[14:15]
	v_add3_u32 v5, v1, s11, 16
	v_cmp_gt_u32_e64 s[6:7], s8, v5
	s_and_b64 exec, exec, s[6:7]
	s_cbranch_execz .LBB171_62
; %bb.27:
	v_mul_lo_u32 v5, v5, s10
	s_and_saveexec_b64 s[14:15], vcc
	s_cbranch_execnz .LBB171_66
; %bb.28:
	s_or_b64 exec, exec, s[14:15]
	s_and_saveexec_b64 s[14:15], s[0:1]
	s_cbranch_execnz .LBB171_67
.LBB171_29:
	s_or_b64 exec, exec, s[14:15]
	s_and_saveexec_b64 s[14:15], s[2:3]
	s_cbranch_execnz .LBB171_68
.LBB171_30:
	s_or_b64 exec, exec, s[14:15]
	s_and_saveexec_b64 s[14:15], s[4:5]
	s_cbranch_execz .LBB171_32
.LBB171_31:
	v_bfe_u32 v6, v36, 16, 1
	s_movk_i32 s6, 0x7fff
	v_add3_u32 v6, v36, v6, s6
	v_lshrrev_b32_e32 v6, 16, v6
	v_mov_b32_e32 v7, 0x7fc0
	v_cmp_o_f32_e64 s[6:7], v36, v36
	s_nop 1
	v_cndmask_b32_e64 v8, v7, v6, s[6:7]
	v_add_u32_e32 v6, v5, v4
	v_mov_b32_e32 v7, 0
	s_waitcnt lgkmcnt(0)
	v_lshl_add_u64 v[6:7], v[6:7], 1, s[12:13]
	global_store_short v[6:7], v8, off
.LBB171_32:
	s_or_b64 exec, exec, s[14:15]
	v_add3_u32 v5, v1, s11, 24
	v_cmp_gt_u32_e64 s[6:7], s8, v5
	s_and_b64 exec, exec, s[6:7]
	s_cbranch_execz .LBB171_62
; %bb.33:
	v_mul_lo_u32 v5, v5, s10
	s_and_saveexec_b64 s[14:15], vcc
	s_cbranch_execnz .LBB171_69
; %bb.34:
	s_or_b64 exec, exec, s[14:15]
	s_and_saveexec_b64 s[14:15], s[0:1]
	s_cbranch_execnz .LBB171_70
.LBB171_35:
	s_or_b64 exec, exec, s[14:15]
	s_and_saveexec_b64 s[14:15], s[2:3]
	s_cbranch_execnz .LBB171_71
.LBB171_36:
	s_or_b64 exec, exec, s[14:15]
	s_and_saveexec_b64 s[14:15], s[4:5]
	s_cbranch_execz .LBB171_38
.LBB171_37:
	v_bfe_u32 v6, v37, 16, 1
	s_movk_i32 s6, 0x7fff
	v_add3_u32 v6, v37, v6, s6
	v_lshrrev_b32_e32 v6, 16, v6
	v_mov_b32_e32 v7, 0x7fc0
	v_cmp_o_f32_e64 s[6:7], v37, v37
	s_nop 1
	v_cndmask_b32_e64 v8, v7, v6, s[6:7]
	v_add_u32_e32 v6, v5, v4
	v_mov_b32_e32 v7, 0
	s_waitcnt lgkmcnt(0)
	v_lshl_add_u64 v[6:7], v[6:7], 1, s[12:13]
	global_store_short v[6:7], v8, off
.LBB171_38:
	s_or_b64 exec, exec, s[14:15]
	v_add3_u32 v5, v1, s11, 32
	v_cmp_gt_u32_e64 s[6:7], s8, v5
	s_and_b64 exec, exec, s[6:7]
	s_cbranch_execz .LBB171_62
; %bb.39:
	v_mul_lo_u32 v5, v5, s10
	s_and_saveexec_b64 s[14:15], vcc
	s_cbranch_execnz .LBB171_72
; %bb.40:
	s_or_b64 exec, exec, s[14:15]
	s_and_saveexec_b64 s[14:15], s[0:1]
	s_cbranch_execnz .LBB171_73
.LBB171_41:
	s_or_b64 exec, exec, s[14:15]
	s_and_saveexec_b64 s[14:15], s[2:3]
	s_cbranch_execnz .LBB171_74
.LBB171_42:
	s_or_b64 exec, exec, s[14:15]
	s_and_saveexec_b64 s[14:15], s[4:5]
	s_cbranch_execz .LBB171_44
.LBB171_43:
	v_bfe_u32 v6, v28, 16, 1
	s_movk_i32 s6, 0x7fff
	v_add3_u32 v6, v28, v6, s6
	v_lshrrev_b32_e32 v6, 16, v6
	v_mov_b32_e32 v7, 0x7fc0
	v_cmp_o_f32_e64 s[6:7], v28, v28
	s_nop 1
	v_cndmask_b32_e64 v8, v7, v6, s[6:7]
	v_add_u32_e32 v6, v5, v4
	v_mov_b32_e32 v7, 0
	s_waitcnt lgkmcnt(0)
	v_lshl_add_u64 v[6:7], v[6:7], 1, s[12:13]
	global_store_short v[6:7], v8, off
.LBB171_44:
	s_or_b64 exec, exec, s[14:15]
	v_add3_u32 v5, v1, s11, 40
	v_cmp_gt_u32_e64 s[6:7], s8, v5
	s_and_b64 exec, exec, s[6:7]
	s_cbranch_execz .LBB171_62
; %bb.45:
	v_mul_lo_u32 v5, v5, s10
	s_and_saveexec_b64 s[14:15], vcc
	s_cbranch_execnz .LBB171_75
; %bb.46:
	s_or_b64 exec, exec, s[14:15]
	s_and_saveexec_b64 s[14:15], s[0:1]
	s_cbranch_execnz .LBB171_76
.LBB171_47:
	s_or_b64 exec, exec, s[14:15]
	s_and_saveexec_b64 s[14:15], s[2:3]
	s_cbranch_execnz .LBB171_77
.LBB171_48:
	s_or_b64 exec, exec, s[14:15]
	s_and_saveexec_b64 s[14:15], s[4:5]
	s_cbranch_execz .LBB171_50
.LBB171_49:
	v_bfe_u32 v6, v29, 16, 1
	s_movk_i32 s6, 0x7fff
	v_add3_u32 v6, v29, v6, s6
	v_lshrrev_b32_e32 v6, 16, v6
	v_mov_b32_e32 v7, 0x7fc0
	v_cmp_o_f32_e64 s[6:7], v29, v29
	s_nop 1
	v_cndmask_b32_e64 v8, v7, v6, s[6:7]
	v_add_u32_e32 v6, v5, v4
	v_mov_b32_e32 v7, 0
	s_waitcnt lgkmcnt(0)
	v_lshl_add_u64 v[6:7], v[6:7], 1, s[12:13]
	global_store_short v[6:7], v8, off
.LBB171_50:
	s_or_b64 exec, exec, s[14:15]
	v_add3_u32 v5, v1, s11, 48
	v_cmp_gt_u32_e64 s[6:7], s8, v5
	s_and_b64 exec, exec, s[6:7]
	s_cbranch_execz .LBB171_62
; %bb.51:
	v_mul_lo_u32 v5, v5, s10
	s_and_saveexec_b64 s[14:15], vcc
	s_cbranch_execnz .LBB171_78
; %bb.52:
	s_or_b64 exec, exec, s[14:15]
	s_and_saveexec_b64 s[14:15], s[0:1]
	s_cbranch_execnz .LBB171_79
.LBB171_53:
	s_or_b64 exec, exec, s[14:15]
	s_and_saveexec_b64 s[14:15], s[2:3]
	s_cbranch_execnz .LBB171_80
.LBB171_54:
	s_or_b64 exec, exec, s[14:15]
	s_and_saveexec_b64 s[14:15], s[4:5]
	s_cbranch_execz .LBB171_56
.LBB171_55:
	v_bfe_u32 v6, v20, 16, 1
	s_movk_i32 s6, 0x7fff
	v_add3_u32 v6, v20, v6, s6
	v_lshrrev_b32_e32 v6, 16, v6
	v_mov_b32_e32 v7, 0x7fc0
	v_cmp_o_f32_e64 s[6:7], v20, v20
	s_nop 1
	v_cndmask_b32_e64 v8, v7, v6, s[6:7]
	v_add_u32_e32 v6, v5, v4
	v_mov_b32_e32 v7, 0
	s_waitcnt lgkmcnt(0)
	v_lshl_add_u64 v[6:7], v[6:7], 1, s[12:13]
	global_store_short v[6:7], v8, off
.LBB171_56:
	s_or_b64 exec, exec, s[14:15]
	v_add3_u32 v1, v1, s11, 56
	v_cmp_gt_u32_e64 s[6:7], s8, v1
	s_and_b64 exec, exec, s[6:7]
	s_cbranch_execz .LBB171_62
; %bb.57:
	v_mul_lo_u32 v1, v1, s10
	s_and_saveexec_b64 s[6:7], vcc
	s_cbranch_execnz .LBB171_81
; %bb.58:
	s_or_b64 exec, exec, s[6:7]
	s_and_saveexec_b64 s[6:7], s[0:1]
	s_cbranch_execnz .LBB171_82
.LBB171_59:
	s_or_b64 exec, exec, s[6:7]
	s_and_saveexec_b64 s[0:1], s[2:3]
	s_cbranch_execnz .LBB171_83
.LBB171_60:
	s_or_b64 exec, exec, s[0:1]
	s_and_b64 exec, exec, s[4:5]
	s_cbranch_execz .LBB171_62
.LBB171_61:
	v_bfe_u32 v0, v21, 16, 1
	s_movk_i32 s0, 0x7fff
	v_add3_u32 v0, v21, v0, s0
	v_lshrrev_b32_e32 v0, 16, v0
	v_mov_b32_e32 v2, 0x7fc0
	v_cmp_o_f32_e32 vcc, v21, v21
	s_nop 1
	v_cndmask_b32_e32 v2, v2, v0, vcc
	v_add_u32_e32 v0, v1, v4
	v_mov_b32_e32 v1, 0
	s_waitcnt lgkmcnt(0)
	v_lshl_add_u64 v[0:1], v[0:1], 1, s[12:13]
	global_store_short v[0:1], v2, off
.LBB171_62:
	s_endpgm
.LBB171_63:
	v_bfe_u32 v6, v51, 16, 1
	s_movk_i32 s6, 0x7fff
	v_add3_u32 v6, v51, v6, s6
	v_lshrrev_b32_e32 v6, 16, v6
	v_mov_b32_e32 v7, 0x7fc0
	v_cmp_o_f32_e64 s[6:7], v51, v51
	s_nop 1
	v_cndmask_b32_e64 v8, v7, v6, s[6:7]
	v_add_u32_e32 v6, v5, v0
	v_mov_b32_e32 v7, 0
	s_waitcnt lgkmcnt(0)
	v_lshl_add_u64 v[6:7], v[6:7], 1, s[12:13]
	global_store_short v[6:7], v8, off
	s_or_b64 exec, exec, s[14:15]
	s_and_saveexec_b64 s[14:15], s[0:1]
	s_cbranch_execz .LBB171_23
.LBB171_64:
	v_bfe_u32 v6, v49, 16, 1
	s_movk_i32 s6, 0x7fff
	v_add3_u32 v6, v49, v6, s6
	v_lshrrev_b32_e32 v6, 16, v6
	v_mov_b32_e32 v7, 0x7fc0
	v_cmp_o_f32_e64 s[6:7], v49, v49
	s_nop 1
	v_cndmask_b32_e64 v8, v7, v6, s[6:7]
	v_add_u32_e32 v6, v5, v2
	v_mov_b32_e32 v7, 0
	s_waitcnt lgkmcnt(0)
	v_lshl_add_u64 v[6:7], v[6:7], 1, s[12:13]
	global_store_short v[6:7], v8, off
	s_or_b64 exec, exec, s[14:15]
	s_and_saveexec_b64 s[14:15], s[2:3]
	s_cbranch_execz .LBB171_24
.LBB171_65:
	v_bfe_u32 v6, v47, 16, 1
	s_movk_i32 s6, 0x7fff
	v_add3_u32 v6, v47, v6, s6
	v_lshrrev_b32_e32 v6, 16, v6
	v_mov_b32_e32 v7, 0x7fc0
	v_cmp_o_f32_e64 s[6:7], v47, v47
	s_nop 1
	v_cndmask_b32_e64 v8, v7, v6, s[6:7]
	v_add_u32_e32 v6, v5, v3
	v_mov_b32_e32 v7, 0
	s_waitcnt lgkmcnt(0)
	v_lshl_add_u64 v[6:7], v[6:7], 1, s[12:13]
	global_store_short v[6:7], v8, off
	s_or_b64 exec, exec, s[14:15]
	s_and_saveexec_b64 s[14:15], s[4:5]
	s_cbranch_execnz .LBB171_25
	s_branch .LBB171_26
.LBB171_66:
	v_bfe_u32 v6, v42, 16, 1
	s_movk_i32 s6, 0x7fff
	v_add3_u32 v6, v42, v6, s6
	v_lshrrev_b32_e32 v6, 16, v6
	v_mov_b32_e32 v7, 0x7fc0
	v_cmp_o_f32_e64 s[6:7], v42, v42
	s_nop 1
	v_cndmask_b32_e64 v8, v7, v6, s[6:7]
	v_add_u32_e32 v6, v5, v0
	v_mov_b32_e32 v7, 0
	s_waitcnt lgkmcnt(0)
	v_lshl_add_u64 v[6:7], v[6:7], 1, s[12:13]
	global_store_short v[6:7], v8, off
	s_or_b64 exec, exec, s[14:15]
	s_and_saveexec_b64 s[14:15], s[0:1]
	s_cbranch_execz .LBB171_29
.LBB171_67:
	v_bfe_u32 v6, v40, 16, 1
	s_movk_i32 s6, 0x7fff
	v_add3_u32 v6, v40, v6, s6
	v_lshrrev_b32_e32 v6, 16, v6
	v_mov_b32_e32 v7, 0x7fc0
	v_cmp_o_f32_e64 s[6:7], v40, v40
	s_nop 1
	v_cndmask_b32_e64 v8, v7, v6, s[6:7]
	v_add_u32_e32 v6, v5, v2
	v_mov_b32_e32 v7, 0
	s_waitcnt lgkmcnt(0)
	v_lshl_add_u64 v[6:7], v[6:7], 1, s[12:13]
	global_store_short v[6:7], v8, off
	s_or_b64 exec, exec, s[14:15]
	s_and_saveexec_b64 s[14:15], s[2:3]
	s_cbranch_execz .LBB171_30
.LBB171_68:
	v_bfe_u32 v6, v38, 16, 1
	s_movk_i32 s6, 0x7fff
	v_add3_u32 v6, v38, v6, s6
	v_lshrrev_b32_e32 v6, 16, v6
	v_mov_b32_e32 v7, 0x7fc0
	v_cmp_o_f32_e64 s[6:7], v38, v38
	s_nop 1
	v_cndmask_b32_e64 v8, v7, v6, s[6:7]
	v_add_u32_e32 v6, v5, v3
	v_mov_b32_e32 v7, 0
	s_waitcnt lgkmcnt(0)
	v_lshl_add_u64 v[6:7], v[6:7], 1, s[12:13]
	global_store_short v[6:7], v8, off
	s_or_b64 exec, exec, s[14:15]
	s_and_saveexec_b64 s[14:15], s[4:5]
	s_cbranch_execnz .LBB171_31
	s_branch .LBB171_32
.LBB171_69:
	v_bfe_u32 v6, v43, 16, 1
	s_movk_i32 s6, 0x7fff
	v_add3_u32 v6, v43, v6, s6
	v_lshrrev_b32_e32 v6, 16, v6
	v_mov_b32_e32 v7, 0x7fc0
	v_cmp_o_f32_e64 s[6:7], v43, v43
	s_nop 1
	v_cndmask_b32_e64 v8, v7, v6, s[6:7]
	v_add_u32_e32 v6, v5, v0
	v_mov_b32_e32 v7, 0
	s_waitcnt lgkmcnt(0)
	v_lshl_add_u64 v[6:7], v[6:7], 1, s[12:13]
	global_store_short v[6:7], v8, off
	s_or_b64 exec, exec, s[14:15]
	s_and_saveexec_b64 s[14:15], s[0:1]
	s_cbranch_execz .LBB171_35
.LBB171_70:
	v_bfe_u32 v6, v41, 16, 1
	s_movk_i32 s6, 0x7fff
	v_add3_u32 v6, v41, v6, s6
	v_lshrrev_b32_e32 v6, 16, v6
	v_mov_b32_e32 v7, 0x7fc0
	v_cmp_o_f32_e64 s[6:7], v41, v41
	s_nop 1
	v_cndmask_b32_e64 v8, v7, v6, s[6:7]
	v_add_u32_e32 v6, v5, v2
	v_mov_b32_e32 v7, 0
	s_waitcnt lgkmcnt(0)
	v_lshl_add_u64 v[6:7], v[6:7], 1, s[12:13]
	global_store_short v[6:7], v8, off
	s_or_b64 exec, exec, s[14:15]
	s_and_saveexec_b64 s[14:15], s[2:3]
	s_cbranch_execz .LBB171_36
.LBB171_71:
	v_bfe_u32 v6, v39, 16, 1
	s_movk_i32 s6, 0x7fff
	v_add3_u32 v6, v39, v6, s6
	v_lshrrev_b32_e32 v6, 16, v6
	v_mov_b32_e32 v7, 0x7fc0
	v_cmp_o_f32_e64 s[6:7], v39, v39
	s_nop 1
	v_cndmask_b32_e64 v8, v7, v6, s[6:7]
	v_add_u32_e32 v6, v5, v3
	v_mov_b32_e32 v7, 0
	s_waitcnt lgkmcnt(0)
	v_lshl_add_u64 v[6:7], v[6:7], 1, s[12:13]
	global_store_short v[6:7], v8, off
	s_or_b64 exec, exec, s[14:15]
	s_and_saveexec_b64 s[14:15], s[4:5]
	s_cbranch_execnz .LBB171_37
	s_branch .LBB171_38
.LBB171_72:
	v_bfe_u32 v6, v34, 16, 1
	s_movk_i32 s6, 0x7fff
	v_add3_u32 v6, v34, v6, s6
	v_lshrrev_b32_e32 v6, 16, v6
	v_mov_b32_e32 v7, 0x7fc0
	v_cmp_o_f32_e64 s[6:7], v34, v34
	s_nop 1
	v_cndmask_b32_e64 v8, v7, v6, s[6:7]
	v_add_u32_e32 v6, v5, v0
	v_mov_b32_e32 v7, 0
	s_waitcnt lgkmcnt(0)
	v_lshl_add_u64 v[6:7], v[6:7], 1, s[12:13]
	global_store_short v[6:7], v8, off
	s_or_b64 exec, exec, s[14:15]
	s_and_saveexec_b64 s[14:15], s[0:1]
	s_cbranch_execz .LBB171_41
.LBB171_73:
	v_bfe_u32 v6, v32, 16, 1
	s_movk_i32 s6, 0x7fff
	v_add3_u32 v6, v32, v6, s6
	v_lshrrev_b32_e32 v6, 16, v6
	v_mov_b32_e32 v7, 0x7fc0
	v_cmp_o_f32_e64 s[6:7], v32, v32
	s_nop 1
	v_cndmask_b32_e64 v8, v7, v6, s[6:7]
	v_add_u32_e32 v6, v5, v2
	v_mov_b32_e32 v7, 0
	s_waitcnt lgkmcnt(0)
	v_lshl_add_u64 v[6:7], v[6:7], 1, s[12:13]
	global_store_short v[6:7], v8, off
	s_or_b64 exec, exec, s[14:15]
	s_and_saveexec_b64 s[14:15], s[2:3]
	s_cbranch_execz .LBB171_42
.LBB171_74:
	v_bfe_u32 v6, v30, 16, 1
	s_movk_i32 s6, 0x7fff
	v_add3_u32 v6, v30, v6, s6
	v_lshrrev_b32_e32 v6, 16, v6
	v_mov_b32_e32 v7, 0x7fc0
	v_cmp_o_f32_e64 s[6:7], v30, v30
	s_nop 1
	v_cndmask_b32_e64 v8, v7, v6, s[6:7]
	v_add_u32_e32 v6, v5, v3
	v_mov_b32_e32 v7, 0
	s_waitcnt lgkmcnt(0)
	v_lshl_add_u64 v[6:7], v[6:7], 1, s[12:13]
	global_store_short v[6:7], v8, off
	s_or_b64 exec, exec, s[14:15]
	s_and_saveexec_b64 s[14:15], s[4:5]
	s_cbranch_execnz .LBB171_43
	s_branch .LBB171_44
.LBB171_75:
	v_bfe_u32 v6, v35, 16, 1
	s_movk_i32 s6, 0x7fff
	v_add3_u32 v6, v35, v6, s6
	v_lshrrev_b32_e32 v6, 16, v6
	v_mov_b32_e32 v7, 0x7fc0
	v_cmp_o_f32_e64 s[6:7], v35, v35
	s_nop 1
	v_cndmask_b32_e64 v8, v7, v6, s[6:7]
	v_add_u32_e32 v6, v5, v0
	v_mov_b32_e32 v7, 0
	s_waitcnt lgkmcnt(0)
	v_lshl_add_u64 v[6:7], v[6:7], 1, s[12:13]
	global_store_short v[6:7], v8, off
	s_or_b64 exec, exec, s[14:15]
	s_and_saveexec_b64 s[14:15], s[0:1]
	s_cbranch_execz .LBB171_47
.LBB171_76:
	v_bfe_u32 v6, v33, 16, 1
	s_movk_i32 s6, 0x7fff
	v_add3_u32 v6, v33, v6, s6
	v_lshrrev_b32_e32 v6, 16, v6
	v_mov_b32_e32 v7, 0x7fc0
	v_cmp_o_f32_e64 s[6:7], v33, v33
	s_nop 1
	v_cndmask_b32_e64 v8, v7, v6, s[6:7]
	v_add_u32_e32 v6, v5, v2
	v_mov_b32_e32 v7, 0
	s_waitcnt lgkmcnt(0)
	v_lshl_add_u64 v[6:7], v[6:7], 1, s[12:13]
	global_store_short v[6:7], v8, off
	s_or_b64 exec, exec, s[14:15]
	s_and_saveexec_b64 s[14:15], s[2:3]
	s_cbranch_execz .LBB171_48
.LBB171_77:
	v_bfe_u32 v6, v31, 16, 1
	s_movk_i32 s6, 0x7fff
	v_add3_u32 v6, v31, v6, s6
	v_lshrrev_b32_e32 v6, 16, v6
	v_mov_b32_e32 v7, 0x7fc0
	v_cmp_o_f32_e64 s[6:7], v31, v31
	s_nop 1
	v_cndmask_b32_e64 v8, v7, v6, s[6:7]
	v_add_u32_e32 v6, v5, v3
	v_mov_b32_e32 v7, 0
	s_waitcnt lgkmcnt(0)
	v_lshl_add_u64 v[6:7], v[6:7], 1, s[12:13]
	global_store_short v[6:7], v8, off
	s_or_b64 exec, exec, s[14:15]
	s_and_saveexec_b64 s[14:15], s[4:5]
	s_cbranch_execnz .LBB171_49
	s_branch .LBB171_50
.LBB171_78:
	v_bfe_u32 v6, v26, 16, 1
	s_movk_i32 s6, 0x7fff
	v_add3_u32 v6, v26, v6, s6
	v_lshrrev_b32_e32 v6, 16, v6
	v_mov_b32_e32 v7, 0x7fc0
	v_cmp_o_f32_e64 s[6:7], v26, v26
	s_nop 1
	v_cndmask_b32_e64 v8, v7, v6, s[6:7]
	v_add_u32_e32 v6, v5, v0
	v_mov_b32_e32 v7, 0
	s_waitcnt lgkmcnt(0)
	v_lshl_add_u64 v[6:7], v[6:7], 1, s[12:13]
	global_store_short v[6:7], v8, off
	s_or_b64 exec, exec, s[14:15]
	s_and_saveexec_b64 s[14:15], s[0:1]
	s_cbranch_execz .LBB171_53
.LBB171_79:
	v_bfe_u32 v6, v24, 16, 1
	s_movk_i32 s6, 0x7fff
	v_add3_u32 v6, v24, v6, s6
	v_lshrrev_b32_e32 v6, 16, v6
	v_mov_b32_e32 v7, 0x7fc0
	v_cmp_o_f32_e64 s[6:7], v24, v24
	s_nop 1
	v_cndmask_b32_e64 v8, v7, v6, s[6:7]
	v_add_u32_e32 v6, v5, v2
	v_mov_b32_e32 v7, 0
	s_waitcnt lgkmcnt(0)
	v_lshl_add_u64 v[6:7], v[6:7], 1, s[12:13]
	global_store_short v[6:7], v8, off
	s_or_b64 exec, exec, s[14:15]
	s_and_saveexec_b64 s[14:15], s[2:3]
	s_cbranch_execz .LBB171_54
.LBB171_80:
	v_bfe_u32 v6, v22, 16, 1
	s_movk_i32 s6, 0x7fff
	v_add3_u32 v6, v22, v6, s6
	v_lshrrev_b32_e32 v6, 16, v6
	v_mov_b32_e32 v7, 0x7fc0
	v_cmp_o_f32_e64 s[6:7], v22, v22
	s_nop 1
	v_cndmask_b32_e64 v8, v7, v6, s[6:7]
	v_add_u32_e32 v6, v5, v3
	v_mov_b32_e32 v7, 0
	s_waitcnt lgkmcnt(0)
	v_lshl_add_u64 v[6:7], v[6:7], 1, s[12:13]
	global_store_short v[6:7], v8, off
	s_or_b64 exec, exec, s[14:15]
	s_and_saveexec_b64 s[14:15], s[4:5]
	s_cbranch_execnz .LBB171_55
	s_branch .LBB171_56
.LBB171_81:
	v_bfe_u32 v5, v27, 16, 1
	s_movk_i32 s8, 0x7fff
	v_add3_u32 v5, v27, v5, s8
	v_lshrrev_b32_e32 v5, 16, v5
	v_mov_b32_e32 v6, 0x7fc0
	v_cmp_o_f32_e32 vcc, v27, v27
	v_mov_b32_e32 v7, 0
	s_nop 0
	v_cndmask_b32_e32 v5, v6, v5, vcc
	v_add_u32_e32 v6, v1, v0
	s_waitcnt lgkmcnt(0)
	v_lshl_add_u64 v[6:7], v[6:7], 1, s[12:13]
	global_store_short v[6:7], v5, off
	s_or_b64 exec, exec, s[6:7]
	s_and_saveexec_b64 s[6:7], s[0:1]
	s_cbranch_execz .LBB171_59
.LBB171_82:
	v_bfe_u32 v0, v25, 16, 1
	s_movk_i32 s0, 0x7fff
	v_add3_u32 v0, v25, v0, s0
	v_lshrrev_b32_e32 v0, 16, v0
	v_mov_b32_e32 v5, 0x7fc0
	v_cmp_o_f32_e32 vcc, v25, v25
	v_add_u32_e32 v6, v1, v2
	v_mov_b32_e32 v7, 0
	v_cndmask_b32_e32 v0, v5, v0, vcc
	s_waitcnt lgkmcnt(0)
	v_lshl_add_u64 v[6:7], v[6:7], 1, s[12:13]
	global_store_short v[6:7], v0, off
	s_or_b64 exec, exec, s[6:7]
	s_and_saveexec_b64 s[0:1], s[2:3]
	s_cbranch_execz .LBB171_60
.LBB171_83:
	v_bfe_u32 v0, v23, 16, 1
	s_movk_i32 s2, 0x7fff
	v_add3_u32 v0, v23, v0, s2
	v_lshrrev_b32_e32 v0, 16, v0
	v_mov_b32_e32 v2, 0x7fc0
	v_cmp_o_f32_e32 vcc, v23, v23
	s_nop 1
	v_cndmask_b32_e32 v0, v2, v0, vcc
	v_add_u32_e32 v2, v1, v3
	v_mov_b32_e32 v3, 0
	s_waitcnt lgkmcnt(0)
	v_lshl_add_u64 v[2:3], v[2:3], 1, s[12:13]
	global_store_short v[2:3], v0, off
	s_or_b64 exec, exec, s[0:1]
	s_and_b64 exec, exec, s[4:5]
	s_cbranch_execnz .LBB171_61
	s_branch .LBB171_62
	.section	.rodata,"a",@progbits
	.p2align	6, 0x0
	.amdhsa_kernel _ZL12mul_mat_q4_KIN3c108BFloat16ELb0EEvPKvS3_PT_iiiii
		.amdhsa_group_segment_fixed_size 28752
		.amdhsa_private_segment_fixed_size 36
		.amdhsa_kernarg_size 44
		.amdhsa_user_sgpr_count 2
		.amdhsa_user_sgpr_dispatch_ptr 0
		.amdhsa_user_sgpr_queue_ptr 0
		.amdhsa_user_sgpr_kernarg_segment_ptr 1
		.amdhsa_user_sgpr_dispatch_id 0
		.amdhsa_user_sgpr_kernarg_preload_length 0
		.amdhsa_user_sgpr_kernarg_preload_offset 0
		.amdhsa_user_sgpr_private_segment_size 0
		.amdhsa_uses_dynamic_stack 0
		.amdhsa_enable_private_segment 1
		.amdhsa_system_sgpr_workgroup_id_x 1
		.amdhsa_system_sgpr_workgroup_id_y 1
		.amdhsa_system_sgpr_workgroup_id_z 0
		.amdhsa_system_sgpr_workgroup_info 0
		.amdhsa_system_vgpr_workitem_id 1
		.amdhsa_next_free_vgpr 256
		.amdhsa_next_free_sgpr 20
		.amdhsa_accum_offset 256
		.amdhsa_reserve_vcc 1
		.amdhsa_float_round_mode_32 0
		.amdhsa_float_round_mode_16_64 0
		.amdhsa_float_denorm_mode_32 3
		.amdhsa_float_denorm_mode_16_64 3
		.amdhsa_dx10_clamp 1
		.amdhsa_ieee_mode 1
		.amdhsa_fp16_overflow 0
		.amdhsa_tg_split 0
		.amdhsa_exception_fp_ieee_invalid_op 0
		.amdhsa_exception_fp_denorm_src 0
		.amdhsa_exception_fp_ieee_div_zero 0
		.amdhsa_exception_fp_ieee_overflow 0
		.amdhsa_exception_fp_ieee_underflow 0
		.amdhsa_exception_fp_ieee_inexact 0
		.amdhsa_exception_int_div_zero 0
	.end_amdhsa_kernel
	.section	.text._ZL12mul_mat_q4_KIN3c108BFloat16ELb0EEvPKvS3_PT_iiiii,"axG",@progbits,_ZL12mul_mat_q4_KIN3c108BFloat16ELb0EEvPKvS3_PT_iiiii,comdat
.Lfunc_end171:
	.size	_ZL12mul_mat_q4_KIN3c108BFloat16ELb0EEvPKvS3_PT_iiiii, .Lfunc_end171-_ZL12mul_mat_q4_KIN3c108BFloat16ELb0EEvPKvS3_PT_iiiii
                                        ; -- End function
	.section	.AMDGPU.csdata,"",@progbits
; Kernel info:
; codeLenInByte = 18128
; NumSgprs: 26
; NumVgprs: 256
; NumAgprs: 0
; TotalNumVgprs: 256
; ScratchSize: 36
; MemoryBound: 0
; FloatMode: 240
; IeeeMode: 1
; LDSByteSize: 28752 bytes/workgroup (compile time only)
; SGPRBlocks: 3
; VGPRBlocks: 31
; NumSGPRsForWavesPerEU: 26
; NumVGPRsForWavesPerEU: 256
; AccumOffset: 256
; Occupancy: 2
; WaveLimiterHint : 0
; COMPUTE_PGM_RSRC2:SCRATCH_EN: 1
; COMPUTE_PGM_RSRC2:USER_SGPR: 2
; COMPUTE_PGM_RSRC2:TRAP_HANDLER: 0
; COMPUTE_PGM_RSRC2:TGID_X_EN: 1
; COMPUTE_PGM_RSRC2:TGID_Y_EN: 1
; COMPUTE_PGM_RSRC2:TGID_Z_EN: 0
; COMPUTE_PGM_RSRC2:TIDIG_COMP_CNT: 1
; COMPUTE_PGM_RSRC3_GFX90A:ACCUM_OFFSET: 63
; COMPUTE_PGM_RSRC3_GFX90A:TG_SPLIT: 0
	.section	.text._ZL12mul_mat_q4_KIN3c108BFloat16ELb1EEvPKvS3_PT_iiiii,"axG",@progbits,_ZL12mul_mat_q4_KIN3c108BFloat16ELb1EEvPKvS3_PT_iiiii,comdat
	.globl	_ZL12mul_mat_q4_KIN3c108BFloat16ELb1EEvPKvS3_PT_iiiii ; -- Begin function _ZL12mul_mat_q4_KIN3c108BFloat16ELb1EEvPKvS3_PT_iiiii
	.p2align	8
	.type	_ZL12mul_mat_q4_KIN3c108BFloat16ELb1EEvPKvS3_PT_iiiii,@function
_ZL12mul_mat_q4_KIN3c108BFloat16ELb1EEvPKvS3_PT_iiiii: ; @_ZL12mul_mat_q4_KIN3c108BFloat16ELb1EEvPKvS3_PT_iiiii
; %bb.0:
	s_load_dwordx4 s[8:11], s[0:1], 0x18
	s_load_dword s14, s[0:1], 0x28
	s_lshl_b32 s15, s3, 6
	v_bfe_u32 v54, v0, 10, 10
	s_waitcnt lgkmcnt(0)
	s_cmpk_gt_i32 s8, 0xff
	s_cbranch_scc1 .LBB172_2
; %bb.1:
	v_bfe_u32 v1, v0, 10, 10
	v_and_b32_e32 v49, 0x3ff, v0
	v_add_u32_e32 v2, s15, v1
	s_mov_b64 s[4:5], 0
	s_mov_b32 s3, 0
	s_branch .LBB172_3
.LBB172_2:
	s_mov_b64 s[4:5], -1
                                        ; implicit-def: $sgpr3
                                        ; implicit-def: $vgpr1
                                        ; implicit-def: $vgpr49
                                        ; implicit-def: $vgpr2
.LBB172_3:
	s_load_dwordx2 s[12:13], s[0:1], 0x10
	s_lshl_b32 s6, s2, 7
	s_andn2_b64 vcc, exec, s[4:5]
	v_mov_b32_e32 v21, s3
	v_mov_b32_e32 v20, s3
	;; [unrolled: 1-line block ×32, first 2 shown]
	s_cbranch_vccnz .LBB172_11
; %bb.4:
	s_ashr_i32 s4, s8, 31
	s_lshr_b32 s4, s4, 24
	s_load_dwordx4 s[0:3], s[0:1], 0x0
	s_add_i32 s4, s8, s4
	s_ashr_i32 s7, s4, 8
	s_ashr_i32 s4, s11, 31
	s_lshr_b32 s4, s4, 27
	s_add_i32 s4, s11, s4
	s_mul_i32 s5, s7, s6
	s_ashr_i32 s4, s4, 5
	s_mul_hi_i32 s16, s5, 0x90
	s_mulk_i32 s5, 0x90
	s_waitcnt lgkmcnt(0)
	s_add_u32 s11, s0, s5
	s_addc_u32 s16, s1, s16
	s_not_b32 s0, s6
	s_add_i32 s5, s0, s9
	v_and_b32_e32 v49, 0x3ff, v0
	v_lshlrev_b32_e32 v0, 2, v49
	v_min_i32_e32 v1, s5, v54
	s_movk_i32 s1, 0x84
	v_mul_lo_u32 v2, v1, s7
	v_mad_u64_u32 v[56:57], s[18:19], v1, s1, v[0:1]
	v_add_u32_e32 v1, 8, v54
	scratch_store_dwordx2 off, v[2:3], off  ; 8-byte Folded Spill
	v_min_i32_e32 v2, s5, v1
	v_mul_lo_u32 v4, v2, s7
	scratch_store_dwordx2 off, v[4:5], off offset:8 ; 8-byte Folded Spill
	v_add_u32_e32 v5, 16, v54
	v_mad_u64_u32 v[60:61], s[18:19], v2, s1, v[0:1]
	v_min_i32_e32 v2, s5, v5
	v_add_u32_e32 v7, 24, v54
	v_mul_lo_u32 v4, v2, s7
	v_mad_u64_u32 v[66:67], s[18:19], v2, s1, v[0:1]
	v_min_i32_e32 v2, s5, v7
	v_add_u32_e32 v12, 32, v54
	scratch_store_dwordx2 off, v[4:5], off offset:16 ; 8-byte Folded Spill
	v_mul_lo_u32 v4, v2, s7
	v_mad_u64_u32 v[70:71], s[18:19], v2, s1, v[0:1]
	v_min_i32_e32 v2, s5, v12
	v_add_u32_e32 v13, 40, v54
	scratch_store_dwordx2 off, v[4:5], off offset:24 ; 8-byte Folded Spill
	;; [unrolled: 5-line block ×4, first 2 shown]
	v_mul_lo_u32 v4, v2, s7
	v_mad_u64_u32 v[82:83], s[18:19], v2, s1, v[0:1]
	v_min_i32_e32 v2, s5, v15
	scratch_store_dwordx2 off, v[4:5], off offset:48 ; 8-byte Folded Spill
	v_mul_lo_u32 v4, v2, s7
	v_mad_u64_u32 v[86:87], s[18:19], v2, s1, v[0:1]
	v_add_u32_e32 v2, 64, v54
	v_min_i32_e32 v2, s5, v2
	scratch_store_dwordx2 off, v[4:5], off offset:56 ; 8-byte Folded Spill
	v_mul_lo_u32 v4, v2, s7
	v_mad_u64_u32 v[90:91], s[18:19], v2, s1, v[0:1]
	v_add_u32_e32 v2, 0x48, v54
	;; [unrolled: 5-line block ×3, first 2 shown]
	v_min_i32_e32 v2, s5, v2
	v_mul_lo_u32 v96, v2, s7
	v_mad_u64_u32 v[98:99], s[18:19], v2, s1, v[0:1]
	v_add_u32_e32 v2, 0x58, v54
	v_min_i32_e32 v2, s5, v2
	v_mul_lo_u32 v100, v2, s7
	v_mad_u64_u32 v[102:103], s[18:19], v2, s1, v[0:1]
	v_add_u32_e32 v2, 0x60, v54
	;; [unrolled: 4-line block ×5, first 2 shown]
	v_min_i32_e32 v2, s5, v2
	v_lshlrev_b32_e32 v59, 5, v54
	v_mul_lo_u32 v116, v2, s7
	v_mad_u64_u32 v[118:119], s[18:19], v2, s1, v[0:1]
	v_add_u32_e32 v2, v59, v49
	v_and_b32_e32 v2, 0x7f, v2
	v_min_i32_e32 v2, s5, v2
	v_ashrrev_i32_e32 v3, 31, v2
	v_lshrrev_b32_e32 v3, 27, v3
	v_add_u32_e32 v3, v2, v3
	v_ashrrev_i32_e32 v3, 5, v3
	scratch_store_dwordx2 off, v[4:5], off offset:72 ; 8-byte Folded Spill
	v_mul_lo_u32 v4, v2, s7
	v_lshlrev_b32_e32 v3, 2, v3
	v_lshlrev_b32_e32 v2, 2, v2
	s_movk_i32 s9, 0x6e40
	v_add3_u32 v61, v3, v2, s9
	v_lshrrev_b32_e32 v2, 2, v49
	v_lshl_add_u32 v3, v54, 3, v2
	v_and_b32_e32 v2, 3, v49
	scratch_store_dwordx2 off, v[4:5], off offset:80 ; 8-byte Folded Spill
	v_add_u32_e32 v4, 0xfe, v2
	v_cmp_gt_u32_e32 vcc, 2, v2
	v_mov_b32_e32 v51, 0
	v_lshlrev_b32_e32 v16, 2, v2
	v_cndmask_b32_e32 v4, v4, v2, vcc
	v_and_b32_e32 v8, 0xff, v4
	v_cmp_ne_u32_e32 vcc, 0, v2
	v_lshlrev_b32_e32 v67, 1, v8
	s_movk_i32 s17, 0x6200
	v_addc_co_u32_e32 v4, vcc, 0, v8, vcc
	v_and_b32_e32 v8, 0x7f, v3
	v_min_i32_e32 v9, s5, v8
	v_ashrrev_i32_e32 v10, 31, v9
	v_lshrrev_b32_e32 v10, 29, v10
	v_add_u32_e32 v10, v9, v10
	v_xor_b32_e32 v8, 64, v8
	v_ashrrev_i32_e32 v10, 3, v10
	v_min_i32_e32 v8, s5, v8
	v_mul_lo_u32 v122, v9, s7
	v_lshlrev_b32_e32 v10, 2, v10
	v_lshlrev_b32_e32 v18, 4, v9
	v_ashrrev_i32_e32 v9, 31, v8
	v_add3_u32 v17, v10, v16, s17
	v_lshrrev_b32_e32 v9, 29, v9
	v_and_b32_e32 v10, 28, v0
	v_mov_b32_e32 v11, v51
	v_and_b32_e32 v3, 63, v3
	v_add_u32_e32 v9, v8, v9
	s_add_i32 s5, s10, -1
	v_lshl_add_u64 v[126:127], s[2:3], 0, v[10:11]
	v_or_b32_e32 v10, s15, v3
	v_ashrrev_i32_e32 v9, 3, v9
	v_min_i32_e32 v10, s5, v10
	v_cmp_lt_u32_e32 vcc, 1, v2
	v_lshlrev_b32_e32 v9, 2, v9
	v_add_u32_e32 v22, s15, v54
	v_mad_u64_u32 v[128:129], s[18:19], v10, s4, v[2:3]
	v_lshl_or_b32 v2, v3, 4, v16
	v_mul_lo_u32 v124, v8, s7
	v_add3_u32 v19, v9, v16, s17
	v_lshlrev_b32_e32 v20, 4, v8
	v_cvt_f64_i32_e32 v[8:9], s5
	v_add_u32_e32 v69, 0x6a40, v2
	v_cvt_f64_u32_e32 v[2:3], v22
	v_min_f64 v[2:3], v[2:3], v[8:9]
	v_and_b32_e32 v21, 31, v49
	v_cvt_i32_f64_e32 v2, v[2:3]
	v_mul_lo_u32 v73, s4, v2
	v_or_b32_e32 v2, v59, v21
	v_mov_b32_e32 v10, 0x4200
	v_lshl_add_u32 v75, v2, 2, v10
	v_add_u32_e32 v2, 8, v22
	v_cvt_f64_u32_e32 v[2:3], v2
	v_lshlrev_b32_e32 v79, 5, v1
	v_min_f64 v[2:3], v[2:3], v[8:9]
	v_or_b32_e32 v1, v79, v21
	v_cvt_i32_f64_e32 v2, v[2:3]
	v_lshl_add_u32 v81, v1, 2, v10
	v_add_u32_e32 v1, 16, v22
	v_mul_lo_u32 v77, s4, v2
	v_cvt_f64_u32_e32 v[2:3], v1
	v_min_f64 v[2:3], v[2:3], v[8:9]
	v_cvt_i32_f64_e32 v1, v[2:3]
	v_lshlrev_b32_e32 v85, 5, v5
	v_mul_lo_u32 v83, s4, v1
	v_or_b32_e32 v1, v85, v21
	v_lshl_add_u32 v87, v1, 2, v10
	v_add_u32_e32 v1, 24, v22
	v_cvt_f64_u32_e32 v[2:3], v1
	v_min_f64 v[2:3], v[2:3], v[8:9]
	v_cvt_i32_f64_e32 v1, v[2:3]
	v_lshlrev_b32_e32 v91, 5, v7
	v_mul_lo_u32 v89, s4, v1
	v_or_b32_e32 v1, v91, v21
	v_lshl_add_u32 v93, v1, 2, v10
	v_add_u32_e32 v1, 32, v22
	;; [unrolled: 8-line block ×5, first 2 shown]
	v_cvt_f64_u32_e32 v[2:3], v1
	v_min_f64 v[2:3], v[2:3], v[8:9]
	v_cvt_i32_f64_e32 v1, v[2:3]
	v_lshlrev_b32_e32 v115, 5, v15
	v_lshrrev_b32_e32 v48, 5, v49
	v_mul_lo_u32 v113, s4, v1
	v_or_b32_e32 v1, v115, v21
	v_lshl_add_u32 v117, v1, 2, v10
	v_lshlrev_b32_e32 v1, 2, v48
	v_add3_u32 v119, v1, v0, s9
	v_add_u32_e32 v1, 32, v49
	v_lshrrev_b32_e32 v92, 3, v1
	v_lshlrev_b32_e32 v2, 2, v1
	v_and_b32_e32 v1, 60, v92
	v_add3_u32 v123, v0, v1, s9
	v_add_u32_e32 v1, 64, v49
	v_lshlrev_b32_e32 v3, 2, v1
	v_lshrrev_b32_e32 v1, 3, v1
	v_and_b32_e32 v5, 60, v1
	v_add3_u32 v125, v0, v5, s9
	v_add_u32_e32 v5, 0x60, v49
	v_lshlrev_b32_e32 v7, 2, v5
	v_lshrrev_b32_e32 v5, 3, v5
	v_and_b32_e32 v8, 60, v5
	v_add3_u32 v129, v0, v8, s9
	v_mov_b32_e32 v8, 0x1080
	v_mad_u32_u24 v153, v49, s1, v8
	v_mov_b32_e32 v8, 0x2100
	s_mov_b32 s0, 0
	v_mad_u32_u24 v155, v49, s1, v8
	v_mov_b32_e32 v8, 0x3180
	v_and_b32_e32 v6, 4, v0
	v_mad_u32_u24 v157, v49, s1, v8
	v_mad_u32_u24 v159, v49, s1, 64
	s_mov_b32 s1, s0
	v_cndmask_b32_e32 v65, 0, v6, vcc
	v_cndmask_b32_e64 v6, 0, 1, vcc
	v_lshrrev_b32_e32 v71, 3, v49
	v_mov_b32_e32 v8, 0x6a40
	v_mov_b64_e32 v[62:63], s[0:1]
	s_movk_i32 s8, 0x90
	v_and_b32_e32 v50, 0x7c, v0
	scratch_store_dword off, v22, off offset:92 ; 4-byte Folded Spill
	v_mul_u32_u24_e32 v151, 0x84, v49
	v_lshl_add_u32 v161, v54, 4, v8
	v_lshl_add_u32 v172, v54, 7, v10
	v_lshlrev_b32_e32 v173, 4, v49
	v_lshlrev_b32_e32 v174, 2, v5
	;; [unrolled: 1-line block ×7, first 2 shown]
	s_mov_b32 s1, 0x30303030
	v_add_u32_e32 v84, v17, v18
	v_add_u32_e32 v88, v19, v20
	v_lshlrev_b32_e32 v180, 2, v2
	v_lshlrev_b32_e32 v181, 2, v3
	;; [unrolled: 1-line block ×3, first 2 shown]
	v_mov_b32_e32 v131, v51
	v_mov_b32_e32 v133, v51
	v_lshlrev_b32_e32 v183, 2, v0
	v_mov_b64_e32 v[42:43], v[62:63]
	v_mov_b64_e32 v[34:35], v[62:63]
	;; [unrolled: 1-line block ×15, first 2 shown]
	scratch_store_dword off, v54, off offset:88 ; 4-byte Folded Spill
.LBB172_5:                              ; =>This Loop Header: Depth=1
                                        ;     Child Loop BB172_6 Depth 2
                                        ;     Child Loop BB172_8 Depth 2
	scratch_load_dwordx2 v[4:5], off, off   ; 8-byte Folded Reload
	scratch_load_dwordx2 v[6:7], off, off offset:8 ; 8-byte Folded Reload
	scratch_load_dwordx2 v[8:9], off, off offset:16 ; 8-byte Folded Reload
	scratch_load_dwordx2 v[10:11], off, off offset:24 ; 8-byte Folded Reload
	scratch_load_dwordx2 v[12:13], off, off offset:32 ; 8-byte Folded Reload
	scratch_load_dwordx2 v[14:15], off, off offset:40 ; 8-byte Folded Reload
	scratch_load_dwordx2 v[16:17], off, off offset:48 ; 8-byte Folded Reload
	scratch_load_dwordx2 v[18:19], off, off offset:56 ; 8-byte Folded Reload
	s_mul_i32 s4, s0, 0x90
	s_mul_hi_u32 s5, s0, 0x90
	s_add_u32 s4, s11, s4
	s_addc_u32 s5, s16, s5
	v_mov_b64_e32 v[0:1], s[4:5]
	v_mad_u64_u32 v[2:3], s[4:5], v48, s8, v[0:1]
	v_lshl_add_u64 v[2:3], v[2:3], 0, v[50:51]
	v_lshl_add_u64 v[2:3], v[2:3], 0, 16
	s_lshl_b32 s9, s0, 3
	v_add_u32_e32 v147, s9, v128
	s_mov_b32 s18, 0
	s_waitcnt vmcnt(7)
	v_mad_i64_i32 v[4:5], s[4:5], v4, s8, v[2:3]
	s_waitcnt vmcnt(6)
	v_mad_i64_i32 v[6:7], s[4:5], v6, s8, v[2:3]
	;; [unrolled: 2-line block ×5, first 2 shown]
	v_mad_i64_i32 v[12:13], s[4:5], v12, s8, v[2:3]
	v_mad_i64_i32 v[14:15], s[4:5], v14, s8, v[2:3]
	;; [unrolled: 1-line block ×3, first 2 shown]
	global_load_dword v54, v[4:5], off
	global_load_dword v55, v[6:7], off
	;; [unrolled: 1-line block ×7, first 2 shown]
	s_nop 0
	global_load_dword v18, v[18:19], off
	s_nop 0
	scratch_load_dwordx2 v[4:5], off, off offset:64 ; 8-byte Folded Reload
	scratch_load_dwordx2 v[6:7], off, off offset:72 ; 8-byte Folded Reload
	v_mad_i64_i32 v[8:9], s[4:5], v96, s8, v[2:3]
	v_mad_i64_i32 v[10:11], s[4:5], v100, s8, v[2:3]
	;; [unrolled: 1-line block ×5, first 2 shown]
	s_waitcnt vmcnt(1)
	v_mad_i64_i32 v[4:5], s[4:5], v4, s8, v[2:3]
	s_waitcnt vmcnt(0)
	v_mad_i64_i32 v[6:7], s[4:5], v6, s8, v[2:3]
	v_mad_i64_i32 v[2:3], s[4:5], v116, s8, v[2:3]
	global_load_dword v19, v[4:5], off
	global_load_dword v76, v[6:7], off
	;; [unrolled: 1-line block ×6, first 2 shown]
	s_nop 0
	global_load_dword v16, v[16:17], off
	s_nop 0
	global_load_dword v17, v[2:3], off
	s_nop 0
	scratch_load_dwordx2 v[2:3], off, off offset:80 ; 8-byte Folded Reload
	v_mad_i64_i32 v[4:5], s[4:5], v122, s8, v[0:1]
	v_lshl_add_u64 v[4:5], v[4:5], 0, 4
	v_lshl_add_u64 v[6:7], v[4:5], 0, v[130:131]
	;; [unrolled: 1-line block ×3, first 2 shown]
	v_add_u32_e32 v14, s9, v71
	v_add_u32_e32 v10, v14, v101
	;; [unrolled: 1-line block ×3, first 2 shown]
	v_mad_i64_i32 v[10:11], s[4:5], v10, 36, v[126:127]
	v_mad_i64_i32 v[12:13], s[4:5], v12, 36, v[126:127]
	s_waitcnt vmcnt(0)
	v_mad_i64_i32 v[2:3], s[4:5], v2, s8, v[0:1]
	v_mad_i64_i32 v[0:1], s[4:5], v124, s8, v[0:1]
	v_lshl_add_u64 v[0:1], v[0:1], 0, 4
	v_lshl_add_u64 v[8:9], v[0:1], 0, v[130:131]
	;; [unrolled: 1-line block ×3, first 2 shown]
	global_load_dword v135, v[2:3], off
	global_load_dword v136, v[6:7], off
	;; [unrolled: 1-line block ×5, first 2 shown]
	v_add_u32_e32 v0, v14, v73
	v_add_u32_e32 v2, v14, v77
	;; [unrolled: 1-line block ×5, first 2 shown]
	v_mad_i64_i32 v[0:1], s[4:5], v0, 36, v[126:127]
	v_mad_i64_i32 v[2:3], s[4:5], v2, 36, v[126:127]
	;; [unrolled: 1-line block ×5, first 2 shown]
	v_add_u32_e32 v14, v14, v113
	v_mad_i64_i32 v[14:15], s[4:5], v14, 36, v[126:127]
	global_load_dword v140, v[0:1], off offset:4
	s_nop 0
	global_load_dword v2, v[2:3], off offset:4
	s_nop 0
	;; [unrolled: 2-line block ×3, first 2 shown]
	global_load_dword v4, v[6:7], off offset:4
	global_load_dword v5, v[8:9], off offset:4
	s_nop 0
	global_load_dword v6, v[10:11], off offset:4
	global_load_dword v7, v[12:13], off offset:4
	;; [unrolled: 1-line block ×3, first 2 shown]
	v_mad_u64_u32 v[0:1], s[4:5], v147, 36, s[2:3]
	global_load_dword v0, v[0:1], off
	s_mov_b64 s[4:5], -1
	ds_write_b32 v56, v54
	ds_write_b32 v60, v55
	;; [unrolled: 1-line block ×16, first 2 shown]
	s_waitcnt vmcnt(13)
	ds_write_b32 v61, v135
	s_waitcnt vmcnt(12)
	v_ashrrev_i32_e32 v1, v65, v136
	v_and_b32_e32 v1, 0xf0f0f0f, v1
	s_waitcnt vmcnt(11)
	v_ashrrev_i32_e32 v9, v67, v137
	v_and_or_b32 v1, v9, s1, v1
	ds_write_b32 v84, v1
	s_waitcnt vmcnt(10)
	v_ashrrev_i32_e32 v1, v65, v138
	v_and_b32_e32 v1, 0xf0f0f0f, v1
	s_waitcnt vmcnt(9)
	v_ashrrev_i32_e32 v9, v67, v139
	v_and_or_b32 v1, v9, s1, v1
	ds_write_b32 v88, v1
	s_waitcnt vmcnt(8)
	ds_write_b32 v75, v140
	s_waitcnt vmcnt(7)
	;; [unrolled: 2-line block ×9, first 2 shown]
	ds_write_b32 v69, v0
	s_waitcnt lgkmcnt(0)
	s_barrier
	ds_read_b32 v0, v119
	ds_read_b32 v1, v123 offset:128
	ds_read_b32 v2, v125 offset:256
	;; [unrolled: 1-line block ×3, first 2 shown]
	s_waitcnt lgkmcnt(3)
	v_cvt_f32_f16_e32 v16, v0
	v_cvt_f32_f16_sdwa v18, v0 dst_sel:DWORD dst_unused:UNUSED_PAD src0_sel:WORD_1
	s_waitcnt lgkmcnt(2)
	v_cvt_f32_f16_e32 v134, v1
	v_cvt_f32_f16_sdwa v136, v1 dst_sel:DWORD dst_unused:UNUSED_PAD src0_sel:WORD_1
	;; [unrolled: 3-line block ×4, first 2 shown]
	v_mov_b32_e32 v17, v16
	v_mov_b32_e32 v19, v18
	;; [unrolled: 1-line block ×8, first 2 shown]
.LBB172_6:                              ;   Parent Loop BB172_5 Depth=1
                                        ; =>  This Inner Loop Header: Depth=2
	s_lshl_b32 s17, s18, 1
	s_lshr_b32 s19, s18, 2
	v_or_b32_e32 v0, s17, v59
	s_lshl_b32 s18, s18, 2
	s_addk_i32 s19, 0x6200
	v_lshlrev_b32_e32 v1, 2, v0
	v_add_u32_e32 v57, s18, v151
	v_lshrrev_b32_e32 v54, 1, v0
	ds_read_b128 v[12:15], v1 offset:16896
	ds_read_b128 v[8:11], v1 offset:16912
	ds_read_b128 v[4:7], v1 offset:16928
	ds_read_b128 v[0:3], v1 offset:16944
	ds_read_b64 v[162:163], v54 offset:27200
	v_add3_u32 v55, s19, v177, v183
	ds_read2_b32 v[148:149], v57 offset1:1
	ds_read2_b32 v[164:165], v57 offset0:2 offset1:3
	ds_read2_b32 v[166:167], v57 offset0:4 offset1:5
	;; [unrolled: 1-line block ×3, first 2 shown]
	ds_read_u16 v57, v55
	ds_read_u8 v58, v55 offset:8
	ds_read_u8 v55, v55 offset:9
	s_waitcnt lgkmcnt(6)
	v_and_b32_e32 v196, 0xf0f0f0f, v148
	v_and_b32_e32 v197, 0xf0f0f0f, v149
	s_waitcnt lgkmcnt(5)
	v_and_b32_e32 v198, 0xf0f0f0f, v164
	s_waitcnt lgkmcnt(1)
	v_cvt_f32_ubyte0_e32 v150, v58
	v_lshrrev_b32_e32 v58, 4, v148
	v_and_b32_e32 v195, 0xf0f0f0f, v58
	v_lshrrev_b32_e32 v58, 4, v149
	v_and_b32_e32 v214, 0xf0f0f0f, v58
	;; [unrolled: 2-line block ×8, first 2 shown]
	s_waitcnt lgkmcnt(0)
	v_cvt_f32_ubyte0_e32 v154, v55
	v_add3_u32 v55, s19, v176, v180
	v_add_u32_e32 v58, s18, v153
	v_and_b32_e32 v199, 0xf0f0f0f, v165
	v_and_b32_e32 v200, 0xf0f0f0f, v166
	;; [unrolled: 1-line block ×5, first 2 shown]
	ds_read2_b32 v[148:149], v58 offset1:1
	ds_read2_b32 v[164:165], v58 offset0:2 offset1:3
	ds_read2_b32 v[166:167], v58 offset0:4 offset1:5
	;; [unrolled: 1-line block ×3, first 2 shown]
	ds_read_u16 v64, v55
	ds_read_u8 v58, v55 offset:8
	ds_read_u8 v68, v55 offset:9
	s_waitcnt lgkmcnt(6)
	v_lshrrev_b32_e32 v72, 4, v149
	v_and_b32_e32 v193, 0xf0f0f0f, v148
	v_and_b32_e32 v206, 0xf0f0f0f, v149
	v_lshrrev_b32_e32 v55, 4, v148
	s_waitcnt lgkmcnt(0)
	v_cvt_f32_ubyte0_e32 v158, v68
	v_add_u32_e32 v68, s18, v155
	v_and_b32_e32 v223, 0xf0f0f0f, v72
	v_lshrrev_b32_e32 v72, 4, v164
	ds_read2_b32 v[148:149], v68 offset1:1
	v_and_b32_e32 v207, 0xf0f0f0f, v164
	v_and_b32_e32 v208, 0xf0f0f0f, v165
	;; [unrolled: 1-line block ×3, first 2 shown]
	v_lshrrev_b32_e32 v72, 4, v165
	ds_read2_b32 v[164:165], v68 offset0:2 offset1:3
	v_and_b32_e32 v225, 0xf0f0f0f, v72
	v_lshrrev_b32_e32 v72, 4, v166
	v_and_b32_e32 v209, 0xf0f0f0f, v166
	v_and_b32_e32 v210, 0xf0f0f0f, v167
	;; [unrolled: 1-line block ×3, first 2 shown]
	v_lshrrev_b32_e32 v72, 4, v167
	ds_read2_b32 v[166:167], v68 offset0:4 offset1:5
	v_and_b32_e32 v229, 0xf0f0f0f, v72
	v_lshrrev_b32_e32 v72, 4, v168
	v_and_b32_e32 v211, 0xf0f0f0f, v168
	v_and_b32_e32 v212, 0xf0f0f0f, v169
	v_and_b32_e32 v230, 0xf0f0f0f, v72
	v_lshrrev_b32_e32 v72, 4, v169
	ds_read2_b32 v[168:169], v68 offset0:6 offset1:7
	s_waitcnt lgkmcnt(3)
	v_lshrrev_b32_e32 v76, 4, v149
	v_and_b32_e32 v239, 0xf0f0f0f, v76
	s_waitcnt lgkmcnt(2)
	v_lshrrev_b32_e32 v76, 4, v164
	v_and_b32_e32 v240, 0xf0f0f0f, v76
	v_lshrrev_b32_e32 v76, 4, v165
	v_and_b32_e32 v241, 0xf0f0f0f, v76
	s_waitcnt lgkmcnt(1)
	v_lshrrev_b32_e32 v76, 4, v166
	v_and_b32_e32 v242, 0xf0f0f0f, v76
	;; [unrolled: 5-line block ×3, first 2 shown]
	v_lshrrev_b32_e32 v76, 4, v169
	v_and_b32_e32 v204, 0xff, v64
	v_lshrrev_b16_e32 v227, 8, v64
	v_add3_u32 v64, s19, v175, v181
	v_and_b32_e32 v246, 0xf0f0f0f, v76
	v_add_u32_e32 v76, s18, v157
	v_and_b32_e32 v231, 0xf0f0f0f, v72
	v_and_b32_e32 v233, 0xf0f0f0f, v164
	v_and_b32_e32 v234, 0xf0f0f0f, v165
	ds_read_u16 v72, v64
	ds_read_u8 v68, v64 offset:8
	ds_read_u8 v64, v64 offset:9
	ds_read2_b32 v[164:165], v76 offset1:1
	v_mov_b32_e32 v54, 0
	v_and_b32_e32 v194, 0xff, v57
	v_lshrrev_b16_e32 v213, 8, v57
	v_mov_b32_e32 v57, 0
	v_and_b32_e32 v205, 0xf0f0f0f, v148
	v_mov_b32_e32 v255, 0
	s_waitcnt lgkmcnt(1)
	v_cvt_f32_ubyte0_e32 v160, v64
	s_waitcnt lgkmcnt(0)
	v_and_b32_e32 v228, 0xf0f0f0f, v164
	v_mov_b32_e32 v64, 0
	v_dot4c_i32_i8_e32 v54, v196, v12
	v_dot4c_i32_i8_e32 v57, v193, v12
	;; [unrolled: 1-line block ×3, first 2 shown]
	v_and_b32_e32 v232, 0xf0f0f0f, v149
	v_dot4c_i32_i8_e32 v64, v228, v12
	v_and_b32_e32 v247, 0xf0f0f0f, v165
	v_dot4c_i32_i8_e32 v54, v197, v13
	v_dot4c_i32_i8_e32 v57, v206, v13
	;; [unrolled: 1-line block ×4, first 2 shown]
	ds_read2_b32 v[12:13], v76 offset0:2 offset1:3
	v_dot4c_i32_i8_e32 v54, v198, v14
	v_dot4c_i32_i8_e32 v57, v207, v14
	;; [unrolled: 1-line block ×4, first 2 shown]
	s_waitcnt lgkmcnt(0)
	v_and_b32_e32 v248, 0xf0f0f0f, v12
	v_dot4c_i32_i8_e32 v64, v248, v14
	v_and_b32_e32 v249, 0xf0f0f0f, v13
	v_dot4c_i32_i8_e32 v57, v208, v15
	v_dot4c_i32_i8_e32 v255, v234, v15
	;; [unrolled: 1-line block ×3, first 2 shown]
	ds_read2_b32 v[14:15], v76 offset0:4 offset1:5
	v_and_b32_e32 v235, 0xf0f0f0f, v166
	v_dot4c_i32_i8_e32 v54, v200, v8
	v_dot4c_i32_i8_e32 v57, v209, v8
	;; [unrolled: 1-line block ×3, first 2 shown]
	s_waitcnt lgkmcnt(0)
	v_and_b32_e32 v250, 0xf0f0f0f, v14
	v_and_b32_e32 v236, 0xf0f0f0f, v167
	v_dot4c_i32_i8_e32 v64, v250, v8
	v_and_b32_e32 v251, 0xf0f0f0f, v15
	v_dot4c_i32_i8_e32 v54, v201, v9
	v_dot4c_i32_i8_e32 v57, v210, v9
	;; [unrolled: 1-line block ×4, first 2 shown]
	ds_read2_b32 v[8:9], v76 offset0:6 offset1:7
	v_and_b32_e32 v237, 0xf0f0f0f, v168
	v_dot4c_i32_i8_e32 v54, v202, v10
	v_dot4c_i32_i8_e32 v57, v211, v10
	;; [unrolled: 1-line block ×3, first 2 shown]
	s_waitcnt lgkmcnt(0)
	v_and_b32_e32 v252, 0xf0f0f0f, v8
	v_and_b32_e32 v238, 0xf0f0f0f, v169
	;; [unrolled: 1-line block ×3, first 2 shown]
	v_lshrrev_b16_e32 v243, 8, v72
	v_add3_u32 v72, s19, v174, v182
	v_dot4c_i32_i8_e32 v64, v252, v10
	v_and_b32_e32 v253, 0xf0f0f0f, v9
	v_dot4c_i32_i8_e32 v54, v203, v11
	v_dot4c_i32_i8_e32 v57, v212, v11
	;; [unrolled: 1-line block ×4, first 2 shown]
	ds_read_u16 v10, v72
	ds_read_u8 v11, v72 offset:8
	ds_read_u8 v76, v72 offset:9
	v_cvt_f32_ubyte0_e32 v156, v68
	v_lshrrev_b32_e32 v68, 4, v148
	v_mov_b32_e32 v254, 0
	s_waitcnt lgkmcnt(1)
	v_cvt_f32_ubyte0_e32 v148, v11
	v_lshrrev_b32_e32 v11, 4, v164
	v_cvt_f32_ubyte0_e32 v152, v58
	v_and_b32_e32 v55, 0xf0f0f0f, v55
	v_mov_b32_e32 v58, 0
	v_and_b32_e32 v222, 0xf0f0f0f, v68
	v_mov_b32_e32 v68, 0
	;; [unrolled: 2-line block ×3, first 2 shown]
	v_dot4c_i32_i8_e32 v254, v195, v4
	v_dot4c_i32_i8_e32 v58, v55, v4
	;; [unrolled: 1-line block ×4, first 2 shown]
	v_lshrrev_b32_e32 v4, 4, v165
	v_and_b32_e32 v192, 0xf0f0f0f, v4
	v_lshrrev_b32_e32 v4, 4, v12
	v_dot4c_i32_i8_e32 v254, v214, v5
	v_dot4c_i32_i8_e32 v58, v223, v5
	v_dot4c_i32_i8_e32 v68, v239, v5
	v_dot4c_i32_i8_e32 v72, v192, v5
	v_and_b32_e32 v190, 0xf0f0f0f, v4
	v_lshrrev_b32_e32 v4, 4, v13
	v_dot4c_i32_i8_e32 v254, v215, v6
	v_dot4c_i32_i8_e32 v58, v224, v6
	v_dot4c_i32_i8_e32 v68, v240, v6
	v_dot4c_i32_i8_e32 v72, v190, v6
	;; [unrolled: 6-line block ×3, first 2 shown]
	v_and_b32_e32 v186, 0xf0f0f0f, v4
	v_dot4c_i32_i8_e32 v254, v217, v0
	v_dot4c_i32_i8_e32 v58, v226, v0
	;; [unrolled: 1-line block ×4, first 2 shown]
	v_lshrrev_b32_e32 v0, 4, v15
	v_and_b32_e32 v187, 0xf0f0f0f, v0
	v_lshrrev_b32_e32 v0, 4, v8
	v_and_b32_e32 v188, 0xf0f0f0f, v0
	v_lshrrev_b32_e32 v0, 4, v9
	v_dot4c_i32_i8_e32 v254, v218, v1
	v_dot4c_i32_i8_e32 v58, v229, v1
	;; [unrolled: 1-line block ×4, first 2 shown]
	v_and_b32_e32 v189, 0xf0f0f0f, v0
	v_or_b32_e32 v0, s17, v79
	v_dot4c_i32_i8_e32 v254, v219, v2
	v_dot4c_i32_i8_e32 v58, v230, v2
	v_dot4c_i32_i8_e32 v68, v245, v2
	v_dot4c_i32_i8_e32 v72, v188, v2
	v_lshlrev_b32_e32 v1, 2, v0
	v_dot4c_i32_i8_e32 v254, v220, v3
	v_dot4c_i32_i8_e32 v58, v231, v3
	;; [unrolled: 1-line block ×3, first 2 shown]
	v_and_b32_e32 v149, 0xff, v10
	v_dot4c_i32_i8_e32 v72, v189, v3
	v_lshrrev_b16_e32 v184, 8, v10
	s_waitcnt lgkmcnt(0)
	v_cvt_f32_ubyte0_e32 v146, v76
	v_lshrrev_b32_e32 v76, 1, v0
	ds_read_b128 v[12:15], v1 offset:16896
	ds_read_b128 v[8:11], v1 offset:16912
	;; [unrolled: 1-line block ×4, first 2 shown]
	ds_read_b64 v[166:167], v76 offset:27200
	v_mov_b32_e32 v76, 0
	s_waitcnt lgkmcnt(4)
	v_dot4c_i32_i8_e32 v76, v196, v12
	v_mov_b32_e32 v80, 0
	v_dot4c_i32_i8_e32 v76, v197, v13
	s_waitcnt lgkmcnt(2)
	v_dot4c_i32_i8_e32 v80, v195, v4
	v_dot4c_i32_i8_e32 v76, v198, v14
	v_dot4c_i32_i8_e32 v80, v214, v5
	v_dot4c_i32_i8_e32 v76, v199, v15
	v_dot4c_i32_i8_e32 v80, v215, v6
	v_dot4c_i32_i8_e32 v76, v200, v8
	v_dot4c_i32_i8_e32 v80, v216, v7
	v_dot4c_i32_i8_e32 v76, v201, v9
	s_waitcnt lgkmcnt(1)
	v_dot4c_i32_i8_e32 v80, v217, v0
	v_mul_lo_u32 v54, v54, v194
	v_dot4c_i32_i8_e32 v76, v202, v10
	v_dot4c_i32_i8_e32 v80, v218, v1
	v_cvt_f32_f16_e32 v168, v162
	v_cvt_f32_f16_sdwa v170, v162 dst_sel:DWORD dst_unused:UNUSED_PAD src0_sel:WORD_1
	v_cvt_f32_i32_e32 v162, v54
	v_mul_lo_u32 v54, v254, v213
	v_dot4c_i32_i8_e32 v76, v203, v11
	v_dot4c_i32_i8_e32 v80, v219, v2
	v_cvt_f32_i32_e32 v120, v54
	v_mov_b32_e32 v54, 0
	v_dot4c_i32_i8_e32 v80, v220, v3
	v_mul_lo_u32 v76, v76, v194
	v_dot4c_i32_i8_e32 v54, v193, v12
	s_waitcnt lgkmcnt(0)
	v_cvt_f32_f16_e32 v169, v166
	v_cvt_f32_f16_sdwa v171, v166 dst_sel:DWORD dst_unused:UNUSED_PAD src0_sel:WORD_1
	v_cvt_f32_f16_e32 v164, v163
	v_cvt_f32_f16_sdwa v166, v163 dst_sel:DWORD dst_unused:UNUSED_PAD src0_sel:WORD_1
	v_cvt_f32_i32_e32 v163, v76
	v_mul_lo_u32 v76, v80, v213
	v_dot4c_i32_i8_e32 v54, v206, v13
	v_cvt_f32_f16_e32 v165, v167
	v_cvt_f32_f16_sdwa v167, v167 dst_sel:DWORD dst_unused:UNUSED_PAD src0_sel:WORD_1
	v_cvt_f32_i32_e32 v121, v76
	v_dot4c_i32_i8_e32 v54, v207, v14
	v_dot4c_i32_i8_e32 v54, v208, v15
	;; [unrolled: 1-line block ×3, first 2 shown]
	v_mov_b32_e32 v76, 0
	v_pk_fma_f32 v[162:163], v[168:169], v[162:163], 0 op_sel_hi:[1,1,0]
	v_pk_fma_f32 v[178:179], v[150:151], v[170:171], 0 op_sel_hi:[0,1,0]
	v_dot4c_i32_i8_e32 v54, v210, v9
	v_dot4c_i32_i8_e32 v76, v55, v4
	v_pk_fma_f32 v[120:121], v[164:165], v[120:121], v[162:163]
	v_pk_fma_f32 v[162:163], v[154:155], v[166:167], v[178:179] op_sel_hi:[0,1,1]
	v_dot4c_i32_i8_e32 v54, v211, v10
	v_dot4c_i32_i8_e32 v76, v223, v5
	v_pk_mul_f32 v[162:163], v[162:163], v[18:19]
	v_dot4c_i32_i8_e32 v54, v212, v11
	v_dot4c_i32_i8_e32 v76, v224, v6
	v_pk_fma_f32 v[120:121], v[120:121], v[16:17], v[162:163] neg_lo:[0,0,1] neg_hi:[0,0,1]
	v_dot4c_i32_i8_e32 v76, v225, v7
	v_mul_lo_u32 v54, v54, v204
	v_pk_add_f32 v[62:63], v[62:63], v[120:121]
	v_dot4c_i32_i8_e32 v76, v226, v0
	v_cvt_f32_i32_e32 v121, v54
	v_mul_lo_u32 v54, v58, v227
	v_dot4c_i32_i8_e32 v76, v229, v1
	v_cvt_f32_i32_e32 v178, v54
	v_mov_b32_e32 v54, 0
	v_dot4c_i32_i8_e32 v76, v230, v2
	v_dot4c_i32_i8_e32 v54, v205, v12
	;; [unrolled: 1-line block ×3, first 2 shown]
	v_mul_lo_u32 v57, v57, v204
	v_dot4c_i32_i8_e32 v54, v232, v13
	v_cvt_f32_i32_e32 v120, v57
	v_mul_lo_u32 v57, v76, v227
	v_dot4c_i32_i8_e32 v54, v233, v14
	v_cvt_f32_i32_e32 v179, v57
	v_dot4c_i32_i8_e32 v54, v234, v15
	v_dot4c_i32_i8_e32 v54, v235, v8
	v_pk_fma_f32 v[162:163], v[152:153], v[170:171], 0 op_sel_hi:[0,1,0]
	v_dot4c_i32_i8_e32 v54, v236, v9
	v_pk_fma_f32 v[120:121], v[168:169], v[120:121], 0 op_sel_hi:[1,1,0]
	v_pk_fma_f32 v[162:163], v[158:159], v[166:167], v[162:163] op_sel_hi:[0,1,1]
	v_dot4c_i32_i8_e32 v54, v237, v10
	v_pk_fma_f32 v[120:121], v[164:165], v[178:179], v[120:121]
	v_pk_mul_f32 v[162:163], v[162:163], v[136:137]
	v_dot4c_i32_i8_e32 v54, v238, v11
	v_pk_fma_f32 v[120:121], v[120:121], v[134:135], v[162:163] neg_lo:[0,0,1] neg_hi:[0,0,1]
	v_mov_b32_e32 v57, 0
	v_pk_add_f32 v[52:53], v[52:53], v[120:121]
	v_mul_lo_u32 v54, v54, v221
	v_cvt_f32_i32_e32 v121, v54
	v_mul_lo_u32 v54, v68, v243
	v_cvt_f32_i32_e32 v178, v54
	v_mov_b32_e32 v54, 0
	v_dot4c_i32_i8_e32 v54, v228, v12
	v_dot4c_i32_i8_e32 v54, v247, v13
	;; [unrolled: 1-line block ×5, first 2 shown]
	v_mov_b32_e32 v8, 0
	v_dot4c_i32_i8_e32 v8, v191, v4
	v_dot4c_i32_i8_e32 v8, v192, v5
	;; [unrolled: 1-line block ×17, first 2 shown]
	v_mul_lo_u32 v0, v64, v149
	v_mul_lo_u32 v1, v54, v149
	v_cvt_f32_i32_e32 v1, v1
	v_cvt_f32_i32_e32 v0, v0
	v_mul_lo_u32 v4, v72, v184
	v_mul_lo_u32 v5, v8, v184
	v_dot4c_i32_i8_e32 v57, v245, v2
	v_cvt_f32_i32_e32 v5, v5
	v_cvt_f32_i32_e32 v4, v4
	v_dot4c_i32_i8_e32 v57, v246, v3
	v_mul_lo_u32 v58, v255, v221
	v_cvt_f32_i32_e32 v120, v58
	v_pk_fma_f32 v[2:3], v[148:149], v[170:171], 0 op_sel_hi:[0,1,0]
	v_mul_lo_u32 v57, v57, v243
	v_cvt_f32_i32_e32 v179, v57
	v_pk_fma_f32 v[0:1], v[168:169], v[0:1], 0 op_sel_hi:[1,1,0]
	v_pk_fma_f32 v[2:3], v[146:147], v[166:167], v[2:3] op_sel_hi:[0,1,1]
	v_pk_fma_f32 v[0:1], v[164:165], v[4:5], v[0:1]
	v_pk_mul_f32 v[2:3], v[2:3], v[144:145]
	v_pk_fma_f32 v[162:163], v[156:157], v[170:171], 0 op_sel_hi:[0,1,0]
	v_pk_fma_f32 v[0:1], v[0:1], v[142:143], v[2:3] neg_lo:[0,0,1] neg_hi:[0,0,1]
	v_pk_fma_f32 v[120:121], v[168:169], v[120:121], 0 op_sel_hi:[1,1,0]
	v_pk_fma_f32 v[162:163], v[160:161], v[166:167], v[162:163] op_sel_hi:[0,1,1]
	v_pk_add_f32 v[44:45], v[44:45], v[0:1]
	v_or_b32_e32 v0, s17, v85
	v_pk_fma_f32 v[120:121], v[164:165], v[178:179], v[120:121]
	v_pk_mul_f32 v[162:163], v[162:163], v[140:141]
	v_lshlrev_b32_e32 v1, 2, v0
	v_pk_fma_f32 v[120:121], v[120:121], v[138:139], v[162:163] neg_lo:[0,0,1] neg_hi:[0,0,1]
	v_lshrrev_b32_e32 v54, 1, v0
	ds_read_b128 v[12:15], v1 offset:16896
	ds_read_b128 v[8:11], v1 offset:16912
	;; [unrolled: 1-line block ×4, first 2 shown]
	ds_read_b64 v[162:163], v54 offset:27200
	v_mov_b32_e32 v68, 0
	v_mov_b32_e32 v72, 0
	;; [unrolled: 1-line block ×8, first 2 shown]
	s_waitcnt lgkmcnt(4)
	v_dot4c_i32_i8_e32 v68, v196, v12
	s_waitcnt lgkmcnt(2)
	v_dot4c_i32_i8_e32 v72, v195, v4
	v_dot4c_i32_i8_e32 v76, v193, v12
	v_dot4c_i32_i8_e32 v80, v55, v4
	v_dot4c_i32_i8_e32 v58, v205, v12
	v_dot4c_i32_i8_e32 v64, v222, v4
	v_dot4c_i32_i8_e32 v54, v228, v12
	v_dot4c_i32_i8_e32 v57, v191, v4
	v_dot4c_i32_i8_e32 v68, v197, v13
	v_dot4c_i32_i8_e32 v72, v214, v5
	v_dot4c_i32_i8_e32 v76, v206, v13
	v_dot4c_i32_i8_e32 v80, v223, v5
	v_dot4c_i32_i8_e32 v58, v232, v13
	v_dot4c_i32_i8_e32 v64, v239, v5
	v_dot4c_i32_i8_e32 v54, v247, v13
	v_dot4c_i32_i8_e32 v57, v192, v5
	v_dot4c_i32_i8_e32 v68, v198, v14
	v_dot4c_i32_i8_e32 v72, v215, v6
	v_dot4c_i32_i8_e32 v76, v207, v14
	v_dot4c_i32_i8_e32 v80, v224, v6
	v_dot4c_i32_i8_e32 v58, v233, v14
	v_dot4c_i32_i8_e32 v64, v240, v6
	v_dot4c_i32_i8_e32 v54, v248, v14
	v_dot4c_i32_i8_e32 v57, v190, v6
	v_dot4c_i32_i8_e32 v68, v199, v15
	v_dot4c_i32_i8_e32 v72, v216, v7
	v_dot4c_i32_i8_e32 v76, v208, v15
	v_dot4c_i32_i8_e32 v80, v225, v7
	v_dot4c_i32_i8_e32 v58, v234, v15
	v_dot4c_i32_i8_e32 v64, v241, v7
	v_dot4c_i32_i8_e32 v54, v249, v15
	v_dot4c_i32_i8_e32 v57, v185, v7
	v_dot4c_i32_i8_e32 v68, v200, v8
	s_waitcnt lgkmcnt(1)
	v_dot4c_i32_i8_e32 v72, v217, v0
	v_dot4c_i32_i8_e32 v76, v209, v8
	;; [unrolled: 1-line block ×15, first 2 shown]
	v_or_b32_e32 v0, s17, v91
	v_pk_add_f32 v[46:47], v[46:47], v[120:121]
	v_dot4c_i32_i8_e32 v68, v202, v10
	v_dot4c_i32_i8_e32 v72, v219, v2
	;; [unrolled: 1-line block ×8, first 2 shown]
	v_lshlrev_b32_e32 v1, 2, v0
	v_lshrrev_b32_e32 v120, 1, v0
	v_dot4c_i32_i8_e32 v68, v203, v11
	v_dot4c_i32_i8_e32 v72, v220, v3
	v_dot4c_i32_i8_e32 v76, v212, v11
	v_dot4c_i32_i8_e32 v80, v231, v3
	v_dot4c_i32_i8_e32 v58, v238, v11
	v_dot4c_i32_i8_e32 v64, v246, v3
	v_dot4c_i32_i8_e32 v54, v253, v11
	v_dot4c_i32_i8_e32 v57, v189, v3
	ds_read_b128 v[12:15], v1 offset:16896
	ds_read_b128 v[8:11], v1 offset:16912
	;; [unrolled: 1-line block ×4, first 2 shown]
	ds_read_b64 v[120:121], v120 offset:27200
	v_mov_b32_e32 v178, 0
	s_waitcnt lgkmcnt(4)
	v_dot4c_i32_i8_e32 v178, v196, v12
	v_dot4c_i32_i8_e32 v178, v197, v13
	v_mov_b32_e32 v179, 0
	v_dot4c_i32_i8_e32 v178, v198, v14
	s_waitcnt lgkmcnt(2)
	v_dot4c_i32_i8_e32 v179, v195, v4
	v_dot4c_i32_i8_e32 v178, v199, v15
	;; [unrolled: 1-line block ×8, first 2 shown]
	s_waitcnt lgkmcnt(1)
	v_dot4c_i32_i8_e32 v179, v217, v0
	v_dot4c_i32_i8_e32 v178, v203, v11
	;; [unrolled: 1-line block ×4, first 2 shown]
	s_waitcnt lgkmcnt(0)
	v_cvt_f32_f16_e32 v169, v120
	v_cvt_f32_f16_sdwa v171, v120 dst_sel:DWORD dst_unused:UNUSED_PAD src0_sel:WORD_1
	v_mul_lo_u32 v68, v68, v194
	v_mul_lo_u32 v120, v178, v194
	v_dot4c_i32_i8_e32 v179, v220, v3
	v_cvt_f32_f16_e32 v165, v121
	v_cvt_f32_f16_sdwa v167, v121 dst_sel:DWORD dst_unused:UNUSED_PAD src0_sel:WORD_1
	v_cvt_f32_i32_e32 v121, v120
	v_cvt_f32_i32_e32 v120, v68
	v_mul_lo_u32 v68, v72, v213
	v_mul_lo_u32 v72, v179, v213
	v_cvt_f32_i32_e32 v178, v68
	v_mov_b32_e32 v68, 0
	v_cvt_f32_i32_e32 v179, v72
	v_dot4c_i32_i8_e32 v68, v193, v12
	v_mov_b32_e32 v72, 0
	v_cvt_f32_f16_sdwa v170, v162 dst_sel:DWORD dst_unused:UNUSED_PAD src0_sel:WORD_1
	v_dot4c_i32_i8_e32 v68, v206, v13
	v_dot4c_i32_i8_e32 v72, v55, v4
	v_cvt_f32_f16_e32 v168, v162
	v_cvt_f32_f16_sdwa v166, v163 dst_sel:DWORD dst_unused:UNUSED_PAD src0_sel:WORD_1
	v_dot4c_i32_i8_e32 v68, v207, v14
	v_dot4c_i32_i8_e32 v72, v223, v5
	v_cvt_f32_f16_e32 v164, v163
	v_dot4c_i32_i8_e32 v68, v208, v15
	v_dot4c_i32_i8_e32 v72, v224, v6
	;; [unrolled: 1-line block ×4, first 2 shown]
	v_pk_fma_f32 v[162:163], v[150:151], v[170:171], 0 op_sel_hi:[0,1,0]
	v_dot4c_i32_i8_e32 v68, v210, v9
	v_dot4c_i32_i8_e32 v72, v226, v0
	v_pk_fma_f32 v[120:121], v[120:121], v[168:169], 0 op_sel_hi:[1,1,0]
	v_pk_fma_f32 v[162:163], v[154:155], v[166:167], v[162:163] op_sel_hi:[0,1,1]
	v_dot4c_i32_i8_e32 v68, v211, v10
	v_dot4c_i32_i8_e32 v72, v229, v1
	v_pk_fma_f32 v[120:121], v[178:179], v[164:165], v[120:121]
	v_pk_mul_f32 v[162:163], v[162:163], v[18:19]
	v_dot4c_i32_i8_e32 v68, v212, v11
	v_dot4c_i32_i8_e32 v72, v230, v2
	v_pk_fma_f32 v[120:121], v[120:121], v[16:17], v[162:163] neg_lo:[0,0,1] neg_hi:[0,0,1]
	v_dot4c_i32_i8_e32 v72, v231, v3
	v_mul_lo_u32 v76, v76, v204
	v_mul_lo_u32 v68, v68, v204
	v_pk_add_f32 v[42:43], v[42:43], v[120:121]
	v_cvt_f32_i32_e32 v121, v68
	v_cvt_f32_i32_e32 v120, v76
	v_mul_lo_u32 v68, v80, v227
	v_mul_lo_u32 v72, v72, v227
	v_cvt_f32_i32_e32 v179, v72
	v_cvt_f32_i32_e32 v178, v68
	v_pk_fma_f32 v[162:163], v[152:153], v[170:171], 0 op_sel_hi:[0,1,0]
	v_pk_fma_f32 v[120:121], v[120:121], v[168:169], 0 op_sel_hi:[1,1,0]
	v_pk_fma_f32 v[162:163], v[158:159], v[166:167], v[162:163] op_sel_hi:[0,1,1]
	v_pk_fma_f32 v[120:121], v[178:179], v[164:165], v[120:121]
	v_pk_mul_f32 v[162:163], v[162:163], v[136:137]
	v_mul_lo_u32 v58, v58, v221
	v_pk_fma_f32 v[120:121], v[120:121], v[134:135], v[162:163] neg_lo:[0,0,1] neg_hi:[0,0,1]
	v_mov_b32_e32 v68, 0
	v_pk_add_f32 v[40:41], v[40:41], v[120:121]
	v_cvt_f32_i32_e32 v120, v58
	v_mul_lo_u32 v58, v64, v243
	v_cvt_f32_i32_e32 v178, v58
	v_mov_b32_e32 v58, 0
	v_dot4c_i32_i8_e32 v68, v205, v12
	v_dot4c_i32_i8_e32 v58, v228, v12
	;; [unrolled: 1-line block ×10, first 2 shown]
	v_mov_b32_e32 v8, 0
	v_dot4c_i32_i8_e32 v8, v191, v4
	v_mov_b32_e32 v72, 0
	v_dot4c_i32_i8_e32 v8, v192, v5
	v_dot4c_i32_i8_e32 v72, v222, v4
	v_dot4c_i32_i8_e32 v8, v190, v6
	v_dot4c_i32_i8_e32 v72, v239, v5
	v_dot4c_i32_i8_e32 v8, v185, v7
	v_dot4c_i32_i8_e32 v72, v240, v6
	v_dot4c_i32_i8_e32 v58, v251, v9
	v_dot4c_i32_i8_e32 v8, v186, v0
	v_dot4c_i32_i8_e32 v72, v241, v7
	v_dot4c_i32_i8_e32 v58, v252, v10
	v_dot4c_i32_i8_e32 v8, v187, v1
	v_dot4c_i32_i8_e32 v72, v242, v0
	v_dot4c_i32_i8_e32 v58, v253, v11
	v_dot4c_i32_i8_e32 v8, v188, v2
	v_dot4c_i32_i8_e32 v68, v236, v9
	v_dot4c_i32_i8_e32 v72, v244, v1
	v_dot4c_i32_i8_e32 v8, v189, v3
	v_mul_lo_u32 v0, v54, v149
	v_mul_lo_u32 v1, v58, v149
	v_dot4c_i32_i8_e32 v68, v237, v10
	v_cvt_f32_i32_e32 v1, v1
	v_cvt_f32_i32_e32 v0, v0
	v_mul_lo_u32 v4, v57, v184
	v_mul_lo_u32 v5, v8, v184
	v_dot4c_i32_i8_e32 v68, v238, v11
	v_dot4c_i32_i8_e32 v72, v245, v2
	v_cvt_f32_i32_e32 v5, v5
	v_cvt_f32_i32_e32 v4, v4
	v_dot4c_i32_i8_e32 v72, v246, v3
	v_mul_lo_u32 v68, v68, v221
	v_cvt_f32_i32_e32 v121, v68
	v_pk_fma_f32 v[2:3], v[148:149], v[170:171], 0 op_sel_hi:[0,1,0]
	v_mul_lo_u32 v64, v72, v243
	v_cvt_f32_i32_e32 v179, v64
	v_pk_fma_f32 v[0:1], v[0:1], v[168:169], 0 op_sel_hi:[1,1,0]
	v_pk_fma_f32 v[2:3], v[146:147], v[166:167], v[2:3] op_sel_hi:[0,1,1]
	v_pk_fma_f32 v[0:1], v[4:5], v[164:165], v[0:1]
	v_pk_mul_f32 v[2:3], v[2:3], v[144:145]
	v_pk_fma_f32 v[162:163], v[156:157], v[170:171], 0 op_sel_hi:[0,1,0]
	v_pk_fma_f32 v[0:1], v[0:1], v[142:143], v[2:3] neg_lo:[0,0,1] neg_hi:[0,0,1]
	v_pk_fma_f32 v[120:121], v[120:121], v[168:169], 0 op_sel_hi:[1,1,0]
	v_pk_fma_f32 v[162:163], v[160:161], v[166:167], v[162:163] op_sel_hi:[0,1,1]
	v_pk_add_f32 v[36:37], v[36:37], v[0:1]
	v_or_b32_e32 v0, s17, v97
	v_pk_fma_f32 v[120:121], v[178:179], v[164:165], v[120:121]
	v_pk_mul_f32 v[162:163], v[162:163], v[140:141]
	v_lshlrev_b32_e32 v1, 2, v0
	v_pk_fma_f32 v[120:121], v[120:121], v[138:139], v[162:163] neg_lo:[0,0,1] neg_hi:[0,0,1]
	v_lshrrev_b32_e32 v54, 1, v0
	ds_read_b128 v[12:15], v1 offset:16896
	ds_read_b128 v[8:11], v1 offset:16912
	;; [unrolled: 1-line block ×4, first 2 shown]
	ds_read_b64 v[162:163], v54 offset:27200
	v_mov_b32_e32 v68, 0
	v_mov_b32_e32 v72, 0
	;; [unrolled: 1-line block ×8, first 2 shown]
	s_waitcnt lgkmcnt(4)
	v_dot4c_i32_i8_e32 v68, v196, v12
	s_waitcnt lgkmcnt(2)
	v_dot4c_i32_i8_e32 v72, v195, v4
	v_dot4c_i32_i8_e32 v76, v193, v12
	;; [unrolled: 1-line block ×32, first 2 shown]
	s_waitcnt lgkmcnt(1)
	v_dot4c_i32_i8_e32 v72, v217, v0
	v_dot4c_i32_i8_e32 v76, v209, v8
	;; [unrolled: 1-line block ×15, first 2 shown]
	v_or_b32_e32 v0, s17, v103
	v_pk_add_f32 v[38:39], v[38:39], v[120:121]
	v_dot4c_i32_i8_e32 v68, v202, v10
	v_dot4c_i32_i8_e32 v72, v219, v2
	;; [unrolled: 1-line block ×8, first 2 shown]
	v_lshlrev_b32_e32 v1, 2, v0
	v_lshrrev_b32_e32 v120, 1, v0
	v_dot4c_i32_i8_e32 v68, v203, v11
	v_dot4c_i32_i8_e32 v72, v220, v3
	;; [unrolled: 1-line block ×8, first 2 shown]
	ds_read_b128 v[12:15], v1 offset:16896
	ds_read_b128 v[8:11], v1 offset:16912
	;; [unrolled: 1-line block ×4, first 2 shown]
	ds_read_b64 v[120:121], v120 offset:27200
	v_mov_b32_e32 v178, 0
	s_waitcnt lgkmcnt(4)
	v_dot4c_i32_i8_e32 v178, v196, v12
	v_dot4c_i32_i8_e32 v178, v197, v13
	v_mov_b32_e32 v179, 0
	v_dot4c_i32_i8_e32 v178, v198, v14
	s_waitcnt lgkmcnt(2)
	v_dot4c_i32_i8_e32 v179, v195, v4
	v_dot4c_i32_i8_e32 v178, v199, v15
	;; [unrolled: 1-line block ×8, first 2 shown]
	s_waitcnt lgkmcnt(1)
	v_dot4c_i32_i8_e32 v179, v217, v0
	v_dot4c_i32_i8_e32 v178, v203, v11
	;; [unrolled: 1-line block ×4, first 2 shown]
	s_waitcnt lgkmcnt(0)
	v_cvt_f32_f16_e32 v169, v120
	v_cvt_f32_f16_sdwa v171, v120 dst_sel:DWORD dst_unused:UNUSED_PAD src0_sel:WORD_1
	v_mul_lo_u32 v68, v68, v194
	v_mul_lo_u32 v120, v178, v194
	v_dot4c_i32_i8_e32 v179, v220, v3
	v_cvt_f32_f16_e32 v165, v121
	v_cvt_f32_f16_sdwa v167, v121 dst_sel:DWORD dst_unused:UNUSED_PAD src0_sel:WORD_1
	v_cvt_f32_i32_e32 v121, v120
	v_cvt_f32_i32_e32 v120, v68
	v_mul_lo_u32 v68, v72, v213
	v_mul_lo_u32 v72, v179, v213
	v_cvt_f32_i32_e32 v178, v68
	v_mov_b32_e32 v68, 0
	v_cvt_f32_i32_e32 v179, v72
	v_dot4c_i32_i8_e32 v68, v193, v12
	v_mov_b32_e32 v72, 0
	v_cvt_f32_f16_sdwa v170, v162 dst_sel:DWORD dst_unused:UNUSED_PAD src0_sel:WORD_1
	v_dot4c_i32_i8_e32 v68, v206, v13
	v_dot4c_i32_i8_e32 v72, v55, v4
	v_cvt_f32_f16_e32 v168, v162
	v_cvt_f32_f16_sdwa v166, v163 dst_sel:DWORD dst_unused:UNUSED_PAD src0_sel:WORD_1
	v_dot4c_i32_i8_e32 v68, v207, v14
	v_dot4c_i32_i8_e32 v72, v223, v5
	v_cvt_f32_f16_e32 v164, v163
	v_dot4c_i32_i8_e32 v68, v208, v15
	v_dot4c_i32_i8_e32 v72, v224, v6
	;; [unrolled: 1-line block ×4, first 2 shown]
	v_pk_fma_f32 v[162:163], v[150:151], v[170:171], 0 op_sel_hi:[0,1,0]
	v_dot4c_i32_i8_e32 v68, v210, v9
	v_dot4c_i32_i8_e32 v72, v226, v0
	v_pk_fma_f32 v[120:121], v[120:121], v[168:169], 0 op_sel_hi:[1,1,0]
	v_pk_fma_f32 v[162:163], v[154:155], v[166:167], v[162:163] op_sel_hi:[0,1,1]
	v_dot4c_i32_i8_e32 v68, v211, v10
	v_dot4c_i32_i8_e32 v72, v229, v1
	v_pk_fma_f32 v[120:121], v[178:179], v[164:165], v[120:121]
	v_pk_mul_f32 v[162:163], v[162:163], v[18:19]
	v_dot4c_i32_i8_e32 v68, v212, v11
	v_dot4c_i32_i8_e32 v72, v230, v2
	v_pk_fma_f32 v[120:121], v[120:121], v[16:17], v[162:163] neg_lo:[0,0,1] neg_hi:[0,0,1]
	v_dot4c_i32_i8_e32 v72, v231, v3
	v_mul_lo_u32 v76, v76, v204
	v_mul_lo_u32 v68, v68, v204
	v_pk_add_f32 v[34:35], v[34:35], v[120:121]
	v_cvt_f32_i32_e32 v121, v68
	v_cvt_f32_i32_e32 v120, v76
	v_mul_lo_u32 v68, v80, v227
	v_mul_lo_u32 v72, v72, v227
	v_cvt_f32_i32_e32 v179, v72
	v_cvt_f32_i32_e32 v178, v68
	v_pk_fma_f32 v[162:163], v[152:153], v[170:171], 0 op_sel_hi:[0,1,0]
	v_pk_fma_f32 v[120:121], v[120:121], v[168:169], 0 op_sel_hi:[1,1,0]
	;; [unrolled: 1-line block ×3, first 2 shown]
	v_pk_fma_f32 v[120:121], v[178:179], v[164:165], v[120:121]
	v_pk_mul_f32 v[162:163], v[162:163], v[136:137]
	v_mul_lo_u32 v58, v58, v221
	v_pk_fma_f32 v[120:121], v[120:121], v[134:135], v[162:163] neg_lo:[0,0,1] neg_hi:[0,0,1]
	v_mov_b32_e32 v68, 0
	v_pk_add_f32 v[32:33], v[32:33], v[120:121]
	v_cvt_f32_i32_e32 v120, v58
	v_mul_lo_u32 v58, v64, v243
	v_cvt_f32_i32_e32 v178, v58
	v_mov_b32_e32 v58, 0
	v_dot4c_i32_i8_e32 v68, v205, v12
	v_dot4c_i32_i8_e32 v58, v228, v12
	;; [unrolled: 1-line block ×10, first 2 shown]
	v_mov_b32_e32 v8, 0
	v_dot4c_i32_i8_e32 v8, v191, v4
	v_mov_b32_e32 v72, 0
	v_dot4c_i32_i8_e32 v8, v192, v5
	v_dot4c_i32_i8_e32 v72, v222, v4
	;; [unrolled: 1-line block ×16, first 2 shown]
	v_mul_lo_u32 v0, v54, v149
	v_mul_lo_u32 v1, v58, v149
	v_cvt_f32_i32_e32 v1, v1
	v_cvt_f32_i32_e32 v0, v0
	v_mul_lo_u32 v4, v57, v184
	v_mul_lo_u32 v5, v8, v184
	v_cvt_f32_i32_e32 v5, v5
	v_cvt_f32_i32_e32 v4, v4
	v_dot4c_i32_i8_e32 v72, v245, v2
	v_dot4c_i32_i8_e32 v72, v246, v3
	v_pk_fma_f32 v[2:3], v[148:149], v[170:171], 0 op_sel_hi:[0,1,0]
	v_pk_fma_f32 v[0:1], v[0:1], v[168:169], 0 op_sel_hi:[1,1,0]
	;; [unrolled: 1-line block ×3, first 2 shown]
	v_pk_fma_f32 v[0:1], v[4:5], v[164:165], v[0:1]
	v_pk_mul_f32 v[2:3], v[2:3], v[144:145]
	v_dot4c_i32_i8_e32 v68, v236, v9
	v_pk_fma_f32 v[0:1], v[0:1], v[142:143], v[2:3] neg_lo:[0,0,1] neg_hi:[0,0,1]
	v_dot4c_i32_i8_e32 v68, v237, v10
	v_pk_add_f32 v[28:29], v[28:29], v[0:1]
	v_or_b32_e32 v0, s17, v109
	v_lshlrev_b32_e32 v1, 2, v0
	v_dot4c_i32_i8_e32 v68, v238, v11
	v_pk_fma_f32 v[162:163], v[156:157], v[170:171], 0 op_sel_hi:[0,1,0]
	v_lshrrev_b32_e32 v54, 1, v0
	ds_read_b128 v[12:15], v1 offset:16896
	ds_read_b128 v[8:11], v1 offset:16912
	;; [unrolled: 1-line block ×4, first 2 shown]
	ds_read_b64 v[170:171], v54 offset:27200
	v_mul_lo_u32 v68, v68, v221
	v_mul_lo_u32 v64, v72, v243
	v_cvt_f32_i32_e32 v121, v68
	v_cvt_f32_i32_e32 v179, v64
	v_mov_b32_e32 v58, 0
	v_mov_b32_e32 v64, 0
	;; [unrolled: 1-line block ×8, first 2 shown]
	s_waitcnt lgkmcnt(4)
	v_dot4c_i32_i8_e32 v58, v196, v12
	s_waitcnt lgkmcnt(2)
	v_dot4c_i32_i8_e32 v64, v195, v4
	v_dot4c_i32_i8_e32 v68, v193, v12
	;; [unrolled: 1-line block ×31, first 2 shown]
	v_pk_fma_f32 v[120:121], v[120:121], v[168:169], 0 op_sel_hi:[1,1,0]
	v_pk_fma_f32 v[162:163], v[160:161], v[166:167], v[162:163] op_sel_hi:[0,1,1]
	v_dot4c_i32_i8_e32 v58, v200, v8
	s_waitcnt lgkmcnt(1)
	v_dot4c_i32_i8_e32 v64, v217, v0
	v_dot4c_i32_i8_e32 v68, v209, v8
	;; [unrolled: 1-line block ×7, first 2 shown]
	v_pk_fma_f32 v[120:121], v[178:179], v[164:165], v[120:121]
	v_pk_mul_f32 v[162:163], v[162:163], v[140:141]
	v_dot4c_i32_i8_e32 v58, v201, v9
	v_dot4c_i32_i8_e32 v64, v218, v1
	;; [unrolled: 1-line block ×8, first 2 shown]
	v_or_b32_e32 v0, s17, v115
	v_pk_fma_f32 v[120:121], v[120:121], v[138:139], v[162:163] neg_lo:[0,0,1] neg_hi:[0,0,1]
	v_dot4c_i32_i8_e32 v58, v202, v10
	v_dot4c_i32_i8_e32 v64, v219, v2
	;; [unrolled: 1-line block ×8, first 2 shown]
	v_lshlrev_b32_e32 v1, 2, v0
	v_pk_add_f32 v[30:31], v[30:31], v[120:121]
	v_dot4c_i32_i8_e32 v58, v203, v11
	v_dot4c_i32_i8_e32 v64, v220, v3
	;; [unrolled: 1-line block ×8, first 2 shown]
	v_lshrrev_b32_e32 v76, 1, v0
	ds_read_b128 v[12:15], v1 offset:16896
	ds_read_b128 v[8:11], v1 offset:16912
	;; [unrolled: 1-line block ×4, first 2 shown]
	ds_read_b64 v[120:121], v76 offset:27200
	v_mov_b32_e32 v80, 0
	v_mov_b32_e32 v76, 0
	s_waitcnt lgkmcnt(2)
	v_dot4c_i32_i8_e32 v80, v195, v4
	v_dot4c_i32_i8_e32 v76, v196, v12
	v_dot4c_i32_i8_e32 v80, v214, v5
	v_dot4c_i32_i8_e32 v76, v197, v13
	v_dot4c_i32_i8_e32 v80, v215, v6
	v_dot4c_i32_i8_e32 v76, v198, v14
	v_dot4c_i32_i8_e32 v80, v216, v7
	v_dot4c_i32_i8_e32 v76, v199, v15
	s_waitcnt lgkmcnt(1)
	v_dot4c_i32_i8_e32 v80, v217, v0
	v_dot4c_i32_i8_e32 v76, v200, v8
	;; [unrolled: 1-line block ×5, first 2 shown]
	v_mul_lo_u32 v58, v58, v194
	v_dot4c_i32_i8_e32 v76, v202, v10
	v_dot4c_i32_i8_e32 v80, v220, v3
	s_waitcnt lgkmcnt(0)
	v_cvt_f32_f16_e32 v169, v120
	v_cvt_f32_f16_sdwa v167, v120 dst_sel:DWORD dst_unused:UNUSED_PAD src0_sel:WORD_1
	v_cvt_f32_i32_e32 v120, v58
	v_mul_lo_u32 v58, v64, v213
	v_dot4c_i32_i8_e32 v76, v203, v11
	v_mul_lo_u32 v64, v80, v213
	v_cvt_f32_i32_e32 v178, v58
	v_mov_b32_e32 v58, 0
	v_cvt_f32_f16_sdwa v166, v170 dst_sel:DWORD dst_unused:UNUSED_PAD src0_sel:WORD_1
	v_mul_lo_u32 v76, v76, v194
	v_cvt_f32_i32_e32 v179, v64
	v_dot4c_i32_i8_e32 v58, v193, v12
	v_mov_b32_e32 v64, 0
	v_cvt_f32_f16_e32 v168, v170
	v_cvt_f32_f16_e32 v165, v121
	v_cvt_f32_f16_sdwa v163, v121 dst_sel:DWORD dst_unused:UNUSED_PAD src0_sel:WORD_1
	v_cvt_f32_f16_sdwa v162, v171 dst_sel:DWORD dst_unused:UNUSED_PAD src0_sel:WORD_1
	v_cvt_f32_i32_e32 v121, v76
	v_dot4c_i32_i8_e32 v58, v206, v13
	v_dot4c_i32_i8_e32 v64, v55, v4
	v_cvt_f32_f16_e32 v164, v171
	v_dot4c_i32_i8_e32 v58, v207, v14
	v_dot4c_i32_i8_e32 v64, v223, v5
	;; [unrolled: 1-line block ×4, first 2 shown]
	v_pk_fma_f32 v[170:171], v[150:151], v[166:167], 0 op_sel_hi:[0,1,0]
	v_dot4c_i32_i8_e32 v58, v209, v8
	v_dot4c_i32_i8_e32 v64, v225, v7
	v_pk_fma_f32 v[120:121], v[120:121], v[168:169], 0 op_sel_hi:[1,1,0]
	v_pk_fma_f32 v[170:171], v[154:155], v[162:163], v[170:171] op_sel_hi:[0,1,1]
	v_dot4c_i32_i8_e32 v58, v210, v9
	v_dot4c_i32_i8_e32 v64, v226, v0
	v_pk_fma_f32 v[120:121], v[178:179], v[164:165], v[120:121]
	v_pk_mul_f32 v[170:171], v[170:171], v[18:19]
	v_dot4c_i32_i8_e32 v58, v211, v10
	v_dot4c_i32_i8_e32 v64, v229, v1
	v_pk_fma_f32 v[120:121], v[120:121], v[16:17], v[170:171] neg_lo:[0,0,1] neg_hi:[0,0,1]
	v_dot4c_i32_i8_e32 v58, v212, v11
	v_dot4c_i32_i8_e32 v64, v230, v2
	v_mul_lo_u32 v55, v68, v204
	v_pk_add_f32 v[26:27], v[26:27], v[120:121]
	v_dot4c_i32_i8_e32 v64, v231, v3
	v_mul_lo_u32 v58, v58, v204
	v_cvt_f32_i32_e32 v120, v55
	v_mul_lo_u32 v55, v72, v227
	v_cvt_f32_i32_e32 v121, v58
	;; [unrolled: 2-line block ×3, first 2 shown]
	v_mov_b32_e32 v55, 0
	v_cvt_f32_i32_e32 v179, v58
	v_dot4c_i32_i8_e32 v55, v205, v12
	v_mov_b32_e32 v58, 0
	v_dot4c_i32_i8_e32 v55, v232, v13
	v_dot4c_i32_i8_e32 v58, v222, v4
	;; [unrolled: 1-line block ×12, first 2 shown]
	v_pk_fma_f32 v[170:171], v[152:153], v[166:167], 0 op_sel_hi:[0,1,0]
	v_dot4c_i32_i8_e32 v55, v238, v11
	v_dot4c_i32_i8_e32 v58, v245, v2
	v_pk_fma_f32 v[120:121], v[120:121], v[168:169], 0 op_sel_hi:[1,1,0]
	v_pk_fma_f32 v[170:171], v[158:159], v[162:163], v[170:171] op_sel_hi:[0,1,1]
	v_dot4c_i32_i8_e32 v58, v246, v3
	v_mul_lo_u32 v54, v54, v221
	v_mul_lo_u32 v55, v55, v221
	v_pk_fma_f32 v[120:121], v[178:179], v[164:165], v[120:121]
	v_pk_mul_f32 v[170:171], v[170:171], v[136:137]
	v_cvt_f32_i32_e32 v55, v55
	v_cvt_f32_i32_e32 v54, v54
	v_mul_lo_u32 v57, v57, v243
	v_mul_lo_u32 v58, v58, v243
	v_pk_fma_f32 v[120:121], v[120:121], v[134:135], v[170:171] neg_lo:[0,0,1] neg_hi:[0,0,1]
	v_cvt_f32_i32_e32 v171, v58
	v_cvt_f32_i32_e32 v170, v57
	v_pk_add_f32 v[24:25], v[24:25], v[120:121]
	v_pk_fma_f32 v[120:121], v[156:157], v[166:167], 0 op_sel_hi:[0,1,0]
	v_pk_fma_f32 v[54:55], v[54:55], v[168:169], 0 op_sel_hi:[1,1,0]
	;; [unrolled: 1-line block ×3, first 2 shown]
	v_pk_fma_f32 v[54:55], v[170:171], v[164:165], v[54:55]
	v_pk_mul_f32 v[120:121], v[120:121], v[140:141]
	s_mov_b32 s18, 8
	v_pk_fma_f32 v[54:55], v[54:55], v[138:139], v[120:121] neg_lo:[0,0,1] neg_hi:[0,0,1]
	s_and_b64 vcc, exec, s[4:5]
	v_pk_add_f32 v[22:23], v[22:23], v[54:55]
	v_mov_b32_e32 v54, 0
	v_dot4c_i32_i8_e32 v54, v228, v12
	v_dot4c_i32_i8_e32 v54, v247, v13
	;; [unrolled: 1-line block ×5, first 2 shown]
	v_mov_b32_e32 v8, 0
	v_dot4c_i32_i8_e32 v8, v191, v4
	v_dot4c_i32_i8_e32 v8, v192, v5
	;; [unrolled: 1-line block ×11, first 2 shown]
	v_mul_lo_u32 v0, v255, v149
	v_mul_lo_u32 v1, v54, v149
	v_cvt_f32_i32_e32 v1, v1
	v_cvt_f32_i32_e32 v0, v0
	v_mul_lo_u32 v4, v254, v184
	v_mul_lo_u32 v5, v8, v184
	v_cvt_f32_i32_e32 v5, v5
	v_cvt_f32_i32_e32 v4, v4
	v_pk_fma_f32 v[2:3], v[148:149], v[166:167], 0 op_sel_hi:[0,1,0]
	v_pk_fma_f32 v[0:1], v[0:1], v[168:169], 0 op_sel_hi:[1,1,0]
	;; [unrolled: 1-line block ×3, first 2 shown]
	v_pk_fma_f32 v[0:1], v[4:5], v[164:165], v[0:1]
	v_pk_mul_f32 v[2:3], v[2:3], v[144:145]
	s_mov_b64 s[4:5], 0
	v_pk_fma_f32 v[0:1], v[0:1], v[142:143], v[2:3] neg_lo:[0,0,1] neg_hi:[0,0,1]
	s_nop 0
	v_pk_add_f32 v[20:21], v[20:21], v[0:1]
	s_cbranch_vccnz .LBB172_6
; %bb.7:                                ;   in Loop: Header=BB172_5 Depth=1
	v_add_u32_e32 v14, s9, v92
	v_add_u32_e32 v0, v14, v73
	;; [unrolled: 1-line block ×6, first 2 shown]
	v_mad_i64_i32 v[0:1], s[4:5], v0, 36, v[126:127]
	v_mad_i64_i32 v[2:3], s[4:5], v2, 36, v[126:127]
	;; [unrolled: 1-line block ×5, first 2 shown]
	v_add_u32_e32 v10, v14, v101
	v_add_u32_e32 v12, v14, v107
	v_add_u32_e32 v14, v14, v113
	s_barrier
	v_mad_i64_i32 v[10:11], s[4:5], v10, 36, v[126:127]
	v_mad_i64_i32 v[12:13], s[4:5], v12, 36, v[126:127]
	;; [unrolled: 1-line block ×3, first 2 shown]
	global_load_dword v16, v[0:1], off offset:4
	s_nop 0
	global_load_dword v2, v[2:3], off offset:4
	s_nop 0
	;; [unrolled: 2-line block ×3, first 2 shown]
	global_load_dword v4, v[6:7], off offset:4
	global_load_dword v5, v[8:9], off offset:4
	s_nop 0
	global_load_dword v6, v[10:11], off offset:4
	global_load_dword v7, v[12:13], off offset:4
	;; [unrolled: 1-line block ×3, first 2 shown]
	v_add_u32_e32 v0, 4, v147
	v_mad_u64_u32 v[0:1], s[4:5], v0, 36, s[2:3]
	global_load_dword v0, v[0:1], off
	s_mov_b32 s4, 16
	s_mov_b32 s5, 0
	v_mov_b32_e32 v163, v172
	v_mov_b32_e32 v165, v161
	s_mov_b32 s9, 0
	v_mov_b32_e32 v184, v159
	s_waitcnt vmcnt(8)
	ds_write_b32 v75, v16
	s_waitcnt vmcnt(7)
	ds_write_b32 v81, v2
	;; [unrolled: 2-line block ×9, first 2 shown]
	s_waitcnt lgkmcnt(0)
	s_barrier
	ds_read_b32 v0, v119
	ds_read_b32 v1, v123 offset:128
	ds_read_b32 v2, v125 offset:256
	;; [unrolled: 1-line block ×3, first 2 shown]
	s_waitcnt lgkmcnt(2)
	v_cvt_f32_f16_e32 v138, v1
	v_cvt_f32_f16_e32 v134, v0
	v_cvt_f32_f16_sdwa v136, v0 dst_sel:DWORD dst_unused:UNUSED_PAD src0_sel:WORD_1
	v_cvt_f32_f16_sdwa v140, v1 dst_sel:DWORD dst_unused:UNUSED_PAD src0_sel:WORD_1
	s_waitcnt lgkmcnt(1)
	v_cvt_f32_f16_e32 v142, v2
	v_cvt_f32_f16_sdwa v144, v2 dst_sel:DWORD dst_unused:UNUSED_PAD src0_sel:WORD_1
	s_waitcnt lgkmcnt(0)
	v_cvt_f32_f16_e32 v146, v3
	v_cvt_f32_f16_sdwa v148, v3 dst_sel:DWORD dst_unused:UNUSED_PAD src0_sel:WORD_1
	v_mov_b32_e32 v135, v134
	v_mov_b32_e32 v137, v136
	;; [unrolled: 1-line block ×8, first 2 shown]
.LBB172_8:                              ;   Parent Loop BB172_5 Depth=1
                                        ; =>  This Inner Loop Header: Depth=2
	ds_read_b128 v[16:19], v163
	ds_read_b128 v[12:15], v163 offset:16
	ds_read_b128 v[8:11], v163 offset:32
	;; [unrolled: 1-line block ×3, first 2 shown]
	ds_read2_b64 v[0:3], v165 offset1:16
	ds_read2_b32 v[120:121], v184 offset1:1
	ds_read2_b32 v[166:167], v184 offset0:2 offset1:3
	ds_read2_b32 v[168:169], v184 offset0:4 offset1:5
	;; [unrolled: 1-line block ×3, first 2 shown]
	s_lshr_b32 s17, s4, 2
	s_and_b32 s17, s17, 0x3ffffffc
	v_add_u32_e32 v72, s5, v173
	s_waitcnt lgkmcnt(3)
	v_lshrrev_b32_e32 v64, 4, v121
	v_add3_u32 v55, v177, s17, v72
	v_and_b32_e32 v225, 0xf0f0f0f, v64
	s_waitcnt lgkmcnt(2)
	v_lshrrev_b32_e32 v64, 4, v166
	ds_read_u16 v57, v55 offset:25088
	ds_read_u16 v55, v55 offset:25096
	v_and_b32_e32 v226, 0xf0f0f0f, v64
	v_lshrrev_b32_e32 v64, 4, v167
	v_and_b32_e32 v227, 0xf0f0f0f, v64
	s_waitcnt lgkmcnt(3)
	v_lshrrev_b32_e32 v64, 4, v168
	v_and_b32_e32 v228, 0xf0f0f0f, v64
	v_lshrrev_b32_e32 v64, 4, v169
	v_and_b32_e32 v229, 0xf0f0f0f, v64
	s_waitcnt lgkmcnt(2)
	v_lshrrev_b32_e32 v64, 4, v170
	s_waitcnt lgkmcnt(1)
	v_and_b32_e32 v211, 0xff, v57
	v_and_b32_e32 v230, 0xf0f0f0f, v64
	v_lshrrev_b32_e32 v64, 4, v171
	v_lshrrev_b16_e32 v224, 8, v57
	v_add_u32_e32 v57, 0x1080, v184
	v_and_b32_e32 v202, 0xf0f0f0f, v120
	v_and_b32_e32 v201, 0xf0f0f0f, v121
	v_lshrrev_b32_e32 v58, 4, v120
	v_and_b32_e32 v233, 0xf0f0f0f, v64
	ds_read2_b32 v[120:121], v57 offset1:1
	v_add_u32_e32 v64, 0x1088, v184
	v_and_b32_e32 v204, 0xf0f0f0f, v166
	v_and_b32_e32 v205, 0xf0f0f0f, v167
	ds_read2_b32 v[166:167], v64 offset1:1
	v_add_u32_e32 v64, 0x1090, v184
	v_and_b32_e32 v208, 0xf0f0f0f, v168
	;; [unrolled: 4-line block ×3, first 2 shown]
	v_and_b32_e32 v214, 0xf0f0f0f, v171
	ds_read2_b32 v[170:171], v64 offset1:1
	s_waitcnt lgkmcnt(3)
	v_lshrrev_b32_e32 v76, 4, v121
	v_and_b32_e32 v235, 0xf0f0f0f, v76
	s_waitcnt lgkmcnt(2)
	v_lshrrev_b32_e32 v76, 4, v166
	v_cvt_f32_ubyte0_e32 v154, v55
	v_cvt_f32_ubyte1_e32 v158, v55
	v_add3_u32 v55, v176, s17, v72
	v_and_b32_e32 v237, 0xf0f0f0f, v76
	v_lshrrev_b32_e32 v76, 4, v167
	ds_read_u16 v64, v55 offset:25600
	ds_read_u16 v55, v55 offset:25608
	v_and_b32_e32 v239, 0xf0f0f0f, v76
	s_waitcnt lgkmcnt(3)
	v_lshrrev_b32_e32 v76, 4, v168
	v_and_b32_e32 v241, 0xf0f0f0f, v76
	v_lshrrev_b32_e32 v76, 4, v169
	v_and_b32_e32 v244, 0xf0f0f0f, v76
	s_waitcnt lgkmcnt(2)
	v_lshrrev_b32_e32 v76, 4, v170
	v_and_b32_e32 v245, 0xf0f0f0f, v76
	v_lshrrev_b32_e32 v76, 4, v171
	s_waitcnt lgkmcnt(1)
	v_and_b32_e32 v218, 0xff, v64
	v_and_b32_e32 v247, 0xf0f0f0f, v76
	v_lshrrev_b16_e32 v242, 8, v64
	v_add_u32_e32 v64, 0x2100, v184
	v_add_u32_e32 v76, 0x2108, v184
	v_and_b32_e32 v203, 0xf0f0f0f, v120
	v_and_b32_e32 v206, 0xf0f0f0f, v121
	;; [unrolled: 1-line block ×4, first 2 shown]
	v_lshrrev_b32_e32 v68, 4, v120
	ds_read2_b32 v[120:121], v64 offset1:1
	ds_read2_b32 v[166:167], v76 offset1:1
	v_add_u32_e32 v76, 0x2110, v184
	v_and_b32_e32 v216, 0xf0f0f0f, v168
	v_and_b32_e32 v217, 0xf0f0f0f, v169
	s_waitcnt lgkmcnt(2)
	v_cvt_f32_ubyte0_e32 v156, v55
	v_cvt_f32_ubyte1_e32 v162, v55
	v_add3_u32 v55, v175, s17, v72
	ds_read2_b32 v[168:169], v76 offset1:1
	v_add_u32_e32 v76, 0x2118, v184
	v_and_b32_e32 v219, 0xf0f0f0f, v170
	v_and_b32_e32 v220, 0xf0f0f0f, v171
	ds_read2_b32 v[170:171], v76 offset1:1
	ds_read_u16 v80, v55 offset:26112
	ds_read_u16 v150, v55 offset:26120
	s_waitcnt lgkmcnt(5)
	v_lshrrev_b32_e32 v55, 4, v120
	v_and_b32_e32 v221, 0xf0f0f0f, v120
	v_and_b32_e32 v223, 0xf0f0f0f, v121
	s_waitcnt lgkmcnt(1)
	v_and_b32_e32 v234, 0xff, v80
	v_lshrrev_b16_e32 v253, 8, v80
	v_add3_u32 v80, v174, s17, v72
	v_add_u32_e32 v72, 0x3180, v184
	v_and_b32_e32 v246, 0xf0f0f0f, v55
	v_lshrrev_b32_e32 v55, 4, v121
	ds_read2_b32 v[120:121], v72 offset1:1
	v_mov_b32_e32 v54, 0
	v_mov_b32_e32 v57, 0
	;; [unrolled: 1-line block ×4, first 2 shown]
	s_waitcnt lgkmcnt(0)
	v_and_b32_e32 v248, 0xf0f0f0f, v120
	v_dot4c_i32_i8_e32 v54, v202, v16
	v_dot4c_i32_i8_e32 v57, v203, v16
	;; [unrolled: 1-line block ×4, first 2 shown]
	v_and_b32_e32 v207, 0xf0f0f0f, v121
	v_add_u32_e32 v16, 0x3188, v184
	v_dot4c_i32_i8_e32 v54, v201, v17
	v_dot4c_i32_i8_e32 v57, v206, v17
	v_dot4c_i32_i8_e32 v64, v223, v17
	v_dot4c_i32_i8_e32 v72, v207, v17
	ds_read2_b32 v[16:17], v16 offset1:1
	v_and_b32_e32 v231, 0xf0f0f0f, v166
	v_dot4c_i32_i8_e32 v54, v204, v18
	v_dot4c_i32_i8_e32 v57, v210, v18
	v_dot4c_i32_i8_e32 v64, v231, v18
	s_waitcnt lgkmcnt(0)
	v_and_b32_e32 v196, 0xf0f0f0f, v16
	v_and_b32_e32 v232, 0xf0f0f0f, v167
	v_dot4c_i32_i8_e32 v72, v196, v18
	v_and_b32_e32 v195, 0xf0f0f0f, v17
	v_add_u32_e32 v18, 0x3190, v184
	v_dot4c_i32_i8_e32 v54, v205, v19
	v_dot4c_i32_i8_e32 v57, v212, v19
	v_dot4c_i32_i8_e32 v64, v232, v19
	v_dot4c_i32_i8_e32 v72, v195, v19
	ds_read2_b32 v[18:19], v18 offset1:1
	v_and_b32_e32 v236, 0xf0f0f0f, v168
	v_dot4c_i32_i8_e32 v54, v208, v12
	v_dot4c_i32_i8_e32 v57, v216, v12
	v_dot4c_i32_i8_e32 v64, v236, v12
	s_waitcnt lgkmcnt(0)
	v_and_b32_e32 v197, 0xf0f0f0f, v18
	v_and_b32_e32 v238, 0xf0f0f0f, v169
	v_dot4c_i32_i8_e32 v72, v197, v12
	;; [unrolled: 15-line block ×3, first 2 shown]
	v_and_b32_e32 v200, 0xf0f0f0f, v13
	v_dot4c_i32_i8_e32 v54, v214, v15
	v_dot4c_i32_i8_e32 v57, v220, v15
	;; [unrolled: 1-line block ×4, first 2 shown]
	ds_read_u16 v14, v80 offset:26624
	ds_read_u16 v15, v80 offset:26632
	v_lshrrev_b32_e32 v80, 4, v120
	v_and_b32_e32 v215, 0xf0f0f0f, v58
	v_mov_b32_e32 v58, 0
	v_and_b32_e32 v222, 0xf0f0f0f, v68
	v_mov_b32_e32 v68, 0
	v_mov_b32_e32 v76, 0
	v_and_b32_e32 v191, 0xf0f0f0f, v80
	v_mov_b32_e32 v80, 0
	v_dot4c_i32_i8_e32 v58, v215, v8
	v_dot4c_i32_i8_e32 v68, v222, v8
	;; [unrolled: 1-line block ×4, first 2 shown]
	v_lshrrev_b32_e32 v8, 4, v121
	v_and_b32_e32 v249, 0xf0f0f0f, v55
	v_lshrrev_b32_e32 v55, 4, v166
	v_and_b32_e32 v194, 0xf0f0f0f, v8
	v_lshrrev_b32_e32 v8, 4, v16
	v_dot4c_i32_i8_e32 v58, v225, v9
	v_dot4c_i32_i8_e32 v68, v235, v9
	;; [unrolled: 1-line block ×3, first 2 shown]
	v_and_b32_e32 v250, 0xf0f0f0f, v55
	v_lshrrev_b32_e32 v55, 4, v167
	v_dot4c_i32_i8_e32 v80, v194, v9
	v_and_b32_e32 v193, 0xf0f0f0f, v8
	v_lshrrev_b32_e32 v8, 4, v17
	v_dot4c_i32_i8_e32 v58, v226, v10
	v_dot4c_i32_i8_e32 v68, v237, v10
	;; [unrolled: 1-line block ×3, first 2 shown]
	v_and_b32_e32 v251, 0xf0f0f0f, v55
	v_lshrrev_b32_e32 v55, 4, v168
	v_dot4c_i32_i8_e32 v80, v193, v10
	v_and_b32_e32 v187, 0xf0f0f0f, v8
	v_lshrrev_b32_e32 v8, 4, v18
	v_dot4c_i32_i8_e32 v58, v227, v11
	v_dot4c_i32_i8_e32 v68, v239, v11
	;; [unrolled: 1-line block ×3, first 2 shown]
	v_and_b32_e32 v252, 0xf0f0f0f, v55
	v_dot4c_i32_i8_e32 v80, v187, v11
	v_and_b32_e32 v188, 0xf0f0f0f, v8
	v_dot4c_i32_i8_e32 v58, v228, v4
	v_dot4c_i32_i8_e32 v68, v241, v4
	;; [unrolled: 1-line block ×3, first 2 shown]
	v_lshrrev_b32_e32 v55, 4, v169
	v_dot4c_i32_i8_e32 v80, v188, v4
	v_lshrrev_b32_e32 v4, 4, v19
	v_and_b32_e32 v254, 0xf0f0f0f, v55
	v_lshrrev_b32_e32 v55, 4, v170
	v_and_b32_e32 v189, 0xf0f0f0f, v4
	v_lshrrev_b32_e32 v4, 4, v12
	v_dot4c_i32_i8_e32 v58, v229, v5
	v_dot4c_i32_i8_e32 v68, v244, v5
	;; [unrolled: 1-line block ×3, first 2 shown]
	v_and_b32_e32 v255, 0xf0f0f0f, v55
	v_lshrrev_b32_e32 v55, 4, v171
	v_dot4c_i32_i8_e32 v80, v189, v5
	v_and_b32_e32 v190, 0xf0f0f0f, v4
	v_lshrrev_b32_e32 v4, 4, v13
	v_dot4c_i32_i8_e32 v58, v230, v6
	v_dot4c_i32_i8_e32 v68, v245, v6
	;; [unrolled: 1-line block ×3, first 2 shown]
	v_and_b32_e32 v55, 0xf0f0f0f, v55
	v_dot4c_i32_i8_e32 v80, v190, v6
	v_and_b32_e32 v192, 0xf0f0f0f, v4
	v_dot4c_i32_i8_e32 v58, v233, v7
	v_dot4c_i32_i8_e32 v68, v247, v7
	v_cvt_f32_ubyte0_e32 v160, v150
	v_dot4c_i32_i8_e32 v76, v55, v7
	v_cvt_f32_ubyte1_e32 v164, v150
	s_waitcnt lgkmcnt(1)
	v_and_b32_e32 v186, 0xff, v14
	s_waitcnt lgkmcnt(0)
	v_cvt_f32_ubyte0_e32 v152, v15
	v_dot4c_i32_i8_e32 v80, v192, v7
	v_lshrrev_b16_e32 v185, 8, v14
	v_cvt_f32_ubyte1_e32 v150, v15
	ds_read_b128 v[16:19], v163 offset:1024
	ds_read_b128 v[12:15], v163 offset:1040
	;; [unrolled: 1-line block ×4, first 2 shown]
	v_mov_b32_e32 v120, 0
	s_waitcnt lgkmcnt(3)
	v_dot4c_i32_i8_e32 v120, v202, v16
	v_mov_b32_e32 v178, 0
	v_dot4c_i32_i8_e32 v120, v201, v17
	s_waitcnt lgkmcnt(1)
	v_dot4c_i32_i8_e32 v178, v215, v8
	v_dot4c_i32_i8_e32 v120, v204, v18
	;; [unrolled: 1-line block ×8, first 2 shown]
	s_waitcnt lgkmcnt(0)
	v_dot4c_i32_i8_e32 v178, v228, v4
	v_dot4c_i32_i8_e32 v120, v213, v14
	;; [unrolled: 1-line block ×6, first 2 shown]
	v_cvt_f32_f16_e32 v169, v2
	v_cvt_f32_f16_e32 v168, v0
	v_cvt_f32_f16_sdwa v171, v2 dst_sel:DWORD dst_unused:UNUSED_PAD src0_sel:WORD_1
	v_cvt_f32_f16_sdwa v170, v0 dst_sel:DWORD dst_unused:UNUSED_PAD src0_sel:WORD_1
	v_cvt_f32_f16_e32 v166, v1
	v_cvt_f32_f16_sdwa v2, v1 dst_sel:DWORD dst_unused:UNUSED_PAD src0_sel:WORD_1
	v_mul_lo_u32 v0, v54, v211
	v_mul_lo_u32 v1, v120, v211
	v_cvt_f32_f16_e32 v167, v3
	v_cvt_f32_f16_sdwa v3, v3 dst_sel:DWORD dst_unused:UNUSED_PAD src0_sel:WORD_1
	v_cvt_f32_i32_e32 v1, v1
	v_cvt_f32_i32_e32 v0, v0
	v_mul_lo_u32 v54, v58, v224
	v_mul_lo_u32 v58, v178, v224
	v_cvt_f32_i32_e32 v179, v58
	v_cvt_f32_i32_e32 v178, v54
	v_pk_fma_f32 v[120:121], v[154:155], v[170:171], 0 op_sel_hi:[0,1,0]
	v_pk_fma_f32 v[0:1], v[168:169], v[0:1], 0 op_sel_hi:[1,1,0]
	;; [unrolled: 1-line block ×3, first 2 shown]
	v_pk_fma_f32 v[0:1], v[166:167], v[178:179], v[0:1]
	v_pk_mul_f32 v[120:121], v[120:121], v[136:137]
	v_mov_b32_e32 v54, 0
	v_pk_fma_f32 v[0:1], v[0:1], v[134:135], v[120:121] neg_lo:[0,0,1] neg_hi:[0,0,1]
	v_dot4c_i32_i8_e32 v54, v222, v8
	v_pk_add_f32 v[62:63], v[62:63], v[0:1]
	v_mov_b32_e32 v0, 0
	v_dot4c_i32_i8_e32 v0, v203, v16
	v_dot4c_i32_i8_e32 v0, v206, v17
	;; [unrolled: 1-line block ×15, first 2 shown]
	v_mul_lo_u32 v57, v57, v218
	v_mul_lo_u32 v0, v0, v218
	v_cvt_f32_i32_e32 v1, v0
	v_cvt_f32_i32_e32 v0, v57
	v_mul_lo_u32 v57, v68, v242
	v_mul_lo_u32 v54, v54, v242
	v_cvt_f32_i32_e32 v179, v54
	v_cvt_f32_i32_e32 v178, v57
	v_pk_fma_f32 v[120:121], v[156:157], v[170:171], 0 op_sel_hi:[0,1,0]
	v_pk_fma_f32 v[0:1], v[168:169], v[0:1], 0 op_sel_hi:[1,1,0]
	;; [unrolled: 1-line block ×3, first 2 shown]
	v_pk_fma_f32 v[0:1], v[166:167], v[178:179], v[0:1]
	v_pk_mul_f32 v[120:121], v[120:121], v[140:141]
	v_mov_b32_e32 v54, 0
	v_pk_fma_f32 v[0:1], v[0:1], v[138:139], v[120:121] neg_lo:[0,0,1] neg_hi:[0,0,1]
	v_dot4c_i32_i8_e32 v54, v246, v8
	v_pk_add_f32 v[52:53], v[52:53], v[0:1]
	v_mov_b32_e32 v0, 0
	v_dot4c_i32_i8_e32 v0, v221, v16
	v_dot4c_i32_i8_e32 v0, v223, v17
	;; [unrolled: 1-line block ×15, first 2 shown]
	v_mul_lo_u32 v57, v64, v234
	v_mul_lo_u32 v0, v0, v234
	v_cvt_f32_i32_e32 v1, v0
	v_cvt_f32_i32_e32 v0, v57
	v_mul_lo_u32 v57, v76, v253
	v_mul_lo_u32 v54, v54, v253
	v_cvt_f32_i32_e32 v179, v54
	v_cvt_f32_i32_e32 v178, v57
	v_pk_fma_f32 v[120:121], v[160:161], v[170:171], 0 op_sel_hi:[0,1,0]
	v_pk_fma_f32 v[0:1], v[168:169], v[0:1], 0 op_sel_hi:[1,1,0]
	;; [unrolled: 1-line block ×3, first 2 shown]
	v_pk_fma_f32 v[0:1], v[166:167], v[178:179], v[0:1]
	v_pk_mul_f32 v[120:121], v[120:121], v[144:145]
	v_mov_b32_e32 v64, 0
	v_pk_fma_f32 v[0:1], v[0:1], v[142:143], v[120:121] neg_lo:[0,0,1] neg_hi:[0,0,1]
	v_mov_b32_e32 v68, 0
	v_pk_add_f32 v[46:47], v[46:47], v[0:1]
	v_mov_b32_e32 v0, 0
	v_dot4c_i32_i8_e32 v0, v248, v16
	v_dot4c_i32_i8_e32 v0, v207, v17
	;; [unrolled: 1-line block ×5, first 2 shown]
	v_mov_b32_e32 v12, 0
	v_dot4c_i32_i8_e32 v12, v191, v8
	v_dot4c_i32_i8_e32 v12, v194, v9
	;; [unrolled: 1-line block ×11, first 2 shown]
	v_mul_lo_u32 v4, v72, v186
	v_mul_lo_u32 v0, v0, v186
	v_cvt_f32_i32_e32 v1, v0
	v_cvt_f32_i32_e32 v0, v4
	v_mul_lo_u32 v6, v80, v185
	v_mul_lo_u32 v7, v12, v185
	v_cvt_f32_i32_e32 v7, v7
	v_cvt_f32_i32_e32 v6, v6
	v_pk_fma_f32 v[4:5], v[152:153], v[170:171], 0 op_sel_hi:[0,1,0]
	v_pk_fma_f32 v[0:1], v[168:169], v[0:1], 0 op_sel_hi:[1,1,0]
	;; [unrolled: 1-line block ×3, first 2 shown]
	v_pk_fma_f32 v[0:1], v[166:167], v[6:7], v[0:1]
	v_pk_mul_f32 v[2:3], v[2:3], v[148:149]
	v_mov_b32_e32 v72, 0
	v_pk_fma_f32 v[0:1], v[0:1], v[146:147], v[2:3] neg_lo:[0,0,1] neg_hi:[0,0,1]
	v_mov_b32_e32 v76, 0
	v_pk_add_f32 v[44:45], v[44:45], v[0:1]
	ds_read_b128 v[8:11], v163 offset:2048
	ds_read_b128 v[12:15], v163 offset:2064
	ds_read2_b64 v[16:19], v165 offset0:32 offset1:48
	ds_read_b128 v[4:7], v163 offset:2080
	ds_read_b128 v[0:3], v163 offset:2096
	v_mov_b32_e32 v58, 0
	v_mov_b32_e32 v80, 0
	v_mov_b32_e32 v54, 0
	v_mov_b32_e32 v57, 0
	s_waitcnt lgkmcnt(4)
	v_dot4c_i32_i8_e32 v64, v202, v8
	s_waitcnt lgkmcnt(1)
	v_dot4c_i32_i8_e32 v68, v215, v4
	v_dot4c_i32_i8_e32 v72, v203, v8
	;; [unrolled: 1-line block ×32, first 2 shown]
	s_waitcnt lgkmcnt(0)
	v_dot4c_i32_i8_e32 v68, v228, v0
	v_dot4c_i32_i8_e32 v72, v216, v12
	;; [unrolled: 1-line block ×31, first 2 shown]
	ds_read_b128 v[12:15], v163 offset:3072
	ds_read_b128 v[8:11], v163 offset:3088
	;; [unrolled: 1-line block ×4, first 2 shown]
	v_mov_b32_e32 v120, 0
	s_waitcnt lgkmcnt(3)
	v_dot4c_i32_i8_e32 v120, v202, v12
	v_mov_b32_e32 v178, 0
	v_dot4c_i32_i8_e32 v120, v201, v13
	s_waitcnt lgkmcnt(1)
	v_dot4c_i32_i8_e32 v178, v215, v4
	v_dot4c_i32_i8_e32 v120, v204, v14
	;; [unrolled: 1-line block ×8, first 2 shown]
	s_waitcnt lgkmcnt(0)
	v_dot4c_i32_i8_e32 v178, v228, v0
	v_dot4c_i32_i8_e32 v120, v213, v10
	;; [unrolled: 1-line block ×6, first 2 shown]
	v_cvt_f32_f16_e32 v169, v18
	v_cvt_f32_f16_e32 v168, v16
	v_cvt_f32_f16_sdwa v171, v18 dst_sel:DWORD dst_unused:UNUSED_PAD src0_sel:WORD_1
	v_cvt_f32_f16_sdwa v170, v16 dst_sel:DWORD dst_unused:UNUSED_PAD src0_sel:WORD_1
	v_cvt_f32_f16_e32 v166, v17
	v_cvt_f32_f16_sdwa v18, v17 dst_sel:DWORD dst_unused:UNUSED_PAD src0_sel:WORD_1
	v_mul_lo_u32 v16, v64, v211
	v_mul_lo_u32 v17, v120, v211
	v_cvt_f32_f16_e32 v167, v19
	v_cvt_f32_f16_sdwa v19, v19 dst_sel:DWORD dst_unused:UNUSED_PAD src0_sel:WORD_1
	v_cvt_f32_i32_e32 v17, v17
	v_cvt_f32_i32_e32 v16, v16
	v_mul_lo_u32 v64, v68, v224
	v_mul_lo_u32 v68, v178, v224
	v_cvt_f32_i32_e32 v179, v68
	v_cvt_f32_i32_e32 v178, v64
	v_pk_fma_f32 v[120:121], v[154:155], v[170:171], 0 op_sel_hi:[0,1,0]
	v_pk_fma_f32 v[16:17], v[16:17], v[168:169], 0 op_sel_hi:[1,1,0]
	;; [unrolled: 1-line block ×3, first 2 shown]
	v_pk_fma_f32 v[16:17], v[178:179], v[166:167], v[16:17]
	v_pk_mul_f32 v[120:121], v[120:121], v[136:137]
	v_mov_b32_e32 v64, 0
	v_pk_fma_f32 v[16:17], v[16:17], v[134:135], v[120:121] neg_lo:[0,0,1] neg_hi:[0,0,1]
	v_dot4c_i32_i8_e32 v64, v222, v4
	v_pk_add_f32 v[42:43], v[42:43], v[16:17]
	v_mov_b32_e32 v16, 0
	v_dot4c_i32_i8_e32 v16, v203, v12
	v_dot4c_i32_i8_e32 v16, v206, v13
	;; [unrolled: 1-line block ×15, first 2 shown]
	v_mul_lo_u32 v68, v72, v218
	v_mul_lo_u32 v16, v16, v218
	v_cvt_f32_i32_e32 v17, v16
	v_cvt_f32_i32_e32 v16, v68
	v_mul_lo_u32 v68, v76, v242
	v_mul_lo_u32 v64, v64, v242
	v_cvt_f32_i32_e32 v179, v64
	v_cvt_f32_i32_e32 v178, v68
	v_pk_fma_f32 v[120:121], v[156:157], v[170:171], 0 op_sel_hi:[0,1,0]
	v_pk_fma_f32 v[16:17], v[16:17], v[168:169], 0 op_sel_hi:[1,1,0]
	;; [unrolled: 1-line block ×3, first 2 shown]
	v_pk_fma_f32 v[16:17], v[178:179], v[166:167], v[16:17]
	v_pk_mul_f32 v[120:121], v[120:121], v[140:141]
	v_mov_b32_e32 v64, 0
	v_pk_fma_f32 v[16:17], v[16:17], v[138:139], v[120:121] neg_lo:[0,0,1] neg_hi:[0,0,1]
	v_dot4c_i32_i8_e32 v64, v246, v4
	v_pk_add_f32 v[40:41], v[40:41], v[16:17]
	v_mov_b32_e32 v16, 0
	v_dot4c_i32_i8_e32 v16, v221, v12
	v_dot4c_i32_i8_e32 v16, v223, v13
	;; [unrolled: 1-line block ×15, first 2 shown]
	v_mul_lo_u32 v58, v58, v234
	v_mul_lo_u32 v16, v16, v234
	v_cvt_f32_i32_e32 v17, v16
	v_cvt_f32_i32_e32 v16, v58
	v_mul_lo_u32 v58, v80, v253
	v_mul_lo_u32 v64, v64, v253
	v_cvt_f32_i32_e32 v179, v64
	v_cvt_f32_i32_e32 v178, v58
	v_pk_fma_f32 v[120:121], v[160:161], v[170:171], 0 op_sel_hi:[0,1,0]
	v_pk_fma_f32 v[16:17], v[16:17], v[168:169], 0 op_sel_hi:[1,1,0]
	v_pk_fma_f32 v[120:121], v[164:165], v[18:19], v[120:121] op_sel_hi:[0,1,1]
	v_pk_fma_f32 v[16:17], v[178:179], v[166:167], v[16:17]
	v_pk_mul_f32 v[120:121], v[120:121], v[144:145]
	v_mov_b32_e32 v68, 0
	v_pk_fma_f32 v[16:17], v[16:17], v[142:143], v[120:121] neg_lo:[0,0,1] neg_hi:[0,0,1]
	v_mov_b32_e32 v72, 0
	v_pk_add_f32 v[38:39], v[38:39], v[16:17]
	v_mov_b32_e32 v16, 0
	v_dot4c_i32_i8_e32 v16, v248, v12
	v_dot4c_i32_i8_e32 v16, v207, v13
	v_dot4c_i32_i8_e32 v16, v196, v14
	v_dot4c_i32_i8_e32 v16, v195, v15
	v_dot4c_i32_i8_e32 v16, v197, v8
	v_mov_b32_e32 v8, 0
	v_dot4c_i32_i8_e32 v8, v191, v4
	v_dot4c_i32_i8_e32 v8, v194, v5
	;; [unrolled: 1-line block ×11, first 2 shown]
	v_mul_lo_u32 v0, v54, v186
	v_mul_lo_u32 v1, v16, v186
	v_cvt_f32_i32_e32 v1, v1
	v_cvt_f32_i32_e32 v0, v0
	v_mul_lo_u32 v4, v57, v185
	v_mul_lo_u32 v5, v8, v185
	v_cvt_f32_i32_e32 v5, v5
	v_cvt_f32_i32_e32 v4, v4
	v_pk_fma_f32 v[2:3], v[152:153], v[170:171], 0 op_sel_hi:[0,1,0]
	v_pk_fma_f32 v[0:1], v[0:1], v[168:169], 0 op_sel_hi:[1,1,0]
	;; [unrolled: 1-line block ×3, first 2 shown]
	v_pk_fma_f32 v[0:1], v[4:5], v[166:167], v[0:1]
	v_pk_mul_f32 v[2:3], v[2:3], v[148:149]
	v_mov_b32_e32 v76, 0
	v_pk_fma_f32 v[0:1], v[0:1], v[146:147], v[2:3] neg_lo:[0,0,1] neg_hi:[0,0,1]
	v_mov_b32_e32 v80, 0
	v_pk_add_f32 v[36:37], v[36:37], v[0:1]
	ds_read_b128 v[12:15], v163 offset:4096
	ds_read_b128 v[8:11], v163 offset:4112
	ds_read2_b64 v[16:19], v165 offset0:64 offset1:80
	ds_read_b128 v[4:7], v163 offset:4128
	ds_read_b128 v[0:3], v163 offset:4144
	v_mov_b32_e32 v58, 0
	v_mov_b32_e32 v64, 0
	;; [unrolled: 1-line block ×4, first 2 shown]
	s_waitcnt lgkmcnt(4)
	v_dot4c_i32_i8_e32 v68, v202, v12
	s_waitcnt lgkmcnt(1)
	v_dot4c_i32_i8_e32 v72, v215, v4
	v_dot4c_i32_i8_e32 v76, v203, v12
	;; [unrolled: 1-line block ×32, first 2 shown]
	s_waitcnt lgkmcnt(0)
	v_dot4c_i32_i8_e32 v72, v228, v0
	v_dot4c_i32_i8_e32 v76, v216, v8
	;; [unrolled: 1-line block ×31, first 2 shown]
	ds_read_b128 v[12:15], v163 offset:5120
	ds_read_b128 v[8:11], v163 offset:5136
	;; [unrolled: 1-line block ×4, first 2 shown]
	v_mov_b32_e32 v120, 0
	s_waitcnt lgkmcnt(3)
	v_dot4c_i32_i8_e32 v120, v202, v12
	v_mov_b32_e32 v178, 0
	v_dot4c_i32_i8_e32 v120, v201, v13
	s_waitcnt lgkmcnt(1)
	v_dot4c_i32_i8_e32 v178, v215, v4
	v_dot4c_i32_i8_e32 v120, v204, v14
	;; [unrolled: 1-line block ×8, first 2 shown]
	s_waitcnt lgkmcnt(0)
	v_dot4c_i32_i8_e32 v178, v228, v0
	v_dot4c_i32_i8_e32 v120, v213, v10
	;; [unrolled: 1-line block ×6, first 2 shown]
	v_cvt_f32_f16_e32 v169, v18
	v_cvt_f32_f16_e32 v168, v16
	v_cvt_f32_f16_sdwa v171, v18 dst_sel:DWORD dst_unused:UNUSED_PAD src0_sel:WORD_1
	v_cvt_f32_f16_sdwa v170, v16 dst_sel:DWORD dst_unused:UNUSED_PAD src0_sel:WORD_1
	v_cvt_f32_f16_e32 v166, v17
	v_cvt_f32_f16_sdwa v18, v17 dst_sel:DWORD dst_unused:UNUSED_PAD src0_sel:WORD_1
	v_mul_lo_u32 v16, v68, v211
	v_mul_lo_u32 v17, v120, v211
	v_cvt_f32_f16_e32 v167, v19
	v_cvt_f32_f16_sdwa v19, v19 dst_sel:DWORD dst_unused:UNUSED_PAD src0_sel:WORD_1
	v_cvt_f32_i32_e32 v17, v17
	v_cvt_f32_i32_e32 v16, v16
	v_mul_lo_u32 v68, v72, v224
	v_mul_lo_u32 v72, v178, v224
	v_cvt_f32_i32_e32 v179, v72
	v_cvt_f32_i32_e32 v178, v68
	v_pk_fma_f32 v[120:121], v[154:155], v[170:171], 0 op_sel_hi:[0,1,0]
	v_pk_fma_f32 v[16:17], v[16:17], v[168:169], 0 op_sel_hi:[1,1,0]
	;; [unrolled: 1-line block ×3, first 2 shown]
	v_pk_fma_f32 v[16:17], v[178:179], v[166:167], v[16:17]
	v_pk_mul_f32 v[120:121], v[120:121], v[136:137]
	v_mov_b32_e32 v68, 0
	v_pk_fma_f32 v[16:17], v[16:17], v[134:135], v[120:121] neg_lo:[0,0,1] neg_hi:[0,0,1]
	v_dot4c_i32_i8_e32 v68, v222, v4
	v_pk_add_f32 v[34:35], v[34:35], v[16:17]
	v_mov_b32_e32 v16, 0
	v_dot4c_i32_i8_e32 v16, v203, v12
	v_dot4c_i32_i8_e32 v16, v206, v13
	v_dot4c_i32_i8_e32 v16, v210, v14
	v_dot4c_i32_i8_e32 v68, v235, v5
	v_dot4c_i32_i8_e32 v16, v212, v15
	v_dot4c_i32_i8_e32 v68, v237, v6
	v_dot4c_i32_i8_e32 v16, v216, v8
	v_dot4c_i32_i8_e32 v68, v239, v7
	v_dot4c_i32_i8_e32 v16, v217, v9
	v_dot4c_i32_i8_e32 v68, v241, v0
	v_dot4c_i32_i8_e32 v16, v219, v10
	v_dot4c_i32_i8_e32 v68, v244, v1
	v_dot4c_i32_i8_e32 v16, v220, v11
	v_dot4c_i32_i8_e32 v68, v245, v2
	v_dot4c_i32_i8_e32 v68, v247, v3
	v_mul_lo_u32 v72, v76, v218
	v_mul_lo_u32 v16, v16, v218
	v_cvt_f32_i32_e32 v17, v16
	v_cvt_f32_i32_e32 v16, v72
	v_mul_lo_u32 v72, v80, v242
	v_mul_lo_u32 v68, v68, v242
	v_cvt_f32_i32_e32 v179, v68
	v_cvt_f32_i32_e32 v178, v72
	v_pk_fma_f32 v[120:121], v[156:157], v[170:171], 0 op_sel_hi:[0,1,0]
	v_pk_fma_f32 v[16:17], v[16:17], v[168:169], 0 op_sel_hi:[1,1,0]
	;; [unrolled: 1-line block ×3, first 2 shown]
	v_pk_fma_f32 v[16:17], v[178:179], v[166:167], v[16:17]
	v_pk_mul_f32 v[120:121], v[120:121], v[140:141]
	v_mov_b32_e32 v68, 0
	v_pk_fma_f32 v[16:17], v[16:17], v[138:139], v[120:121] neg_lo:[0,0,1] neg_hi:[0,0,1]
	v_dot4c_i32_i8_e32 v68, v246, v4
	v_pk_add_f32 v[32:33], v[32:33], v[16:17]
	v_mov_b32_e32 v16, 0
	v_dot4c_i32_i8_e32 v16, v221, v12
	v_dot4c_i32_i8_e32 v16, v223, v13
	;; [unrolled: 1-line block ×15, first 2 shown]
	v_mul_lo_u32 v58, v58, v234
	v_mul_lo_u32 v16, v16, v234
	v_cvt_f32_i32_e32 v17, v16
	v_cvt_f32_i32_e32 v16, v58
	v_mul_lo_u32 v58, v64, v253
	v_mul_lo_u32 v64, v68, v253
	v_cvt_f32_i32_e32 v179, v64
	v_cvt_f32_i32_e32 v178, v58
	v_pk_fma_f32 v[120:121], v[160:161], v[170:171], 0 op_sel_hi:[0,1,0]
	v_pk_fma_f32 v[16:17], v[16:17], v[168:169], 0 op_sel_hi:[1,1,0]
	;; [unrolled: 1-line block ×3, first 2 shown]
	v_pk_fma_f32 v[16:17], v[178:179], v[166:167], v[16:17]
	v_pk_mul_f32 v[120:121], v[120:121], v[144:145]
	v_mov_b32_e32 v76, 0
	v_pk_fma_f32 v[16:17], v[16:17], v[142:143], v[120:121] neg_lo:[0,0,1] neg_hi:[0,0,1]
	v_mov_b32_e32 v80, 0
	v_pk_add_f32 v[30:31], v[30:31], v[16:17]
	v_mov_b32_e32 v16, 0
	v_dot4c_i32_i8_e32 v16, v248, v12
	v_dot4c_i32_i8_e32 v16, v207, v13
	;; [unrolled: 1-line block ×5, first 2 shown]
	v_mov_b32_e32 v8, 0
	v_dot4c_i32_i8_e32 v8, v191, v4
	v_dot4c_i32_i8_e32 v8, v194, v5
	;; [unrolled: 1-line block ×11, first 2 shown]
	v_mul_lo_u32 v0, v54, v186
	v_mul_lo_u32 v1, v16, v186
	v_cvt_f32_i32_e32 v1, v1
	v_cvt_f32_i32_e32 v0, v0
	v_mul_lo_u32 v4, v57, v185
	v_mul_lo_u32 v5, v8, v185
	v_cvt_f32_i32_e32 v5, v5
	v_cvt_f32_i32_e32 v4, v4
	v_pk_fma_f32 v[2:3], v[152:153], v[170:171], 0 op_sel_hi:[0,1,0]
	v_pk_fma_f32 v[0:1], v[0:1], v[168:169], 0 op_sel_hi:[1,1,0]
	;; [unrolled: 1-line block ×3, first 2 shown]
	v_pk_fma_f32 v[0:1], v[4:5], v[166:167], v[0:1]
	v_pk_mul_f32 v[2:3], v[2:3], v[148:149]
	v_mov_b32_e32 v68, 0
	v_pk_fma_f32 v[0:1], v[0:1], v[146:147], v[2:3] neg_lo:[0,0,1] neg_hi:[0,0,1]
	v_mov_b32_e32 v72, 0
	v_pk_add_f32 v[28:29], v[28:29], v[0:1]
	ds_read_b128 v[0:3], v163 offset:6144
	ds_read_b128 v[4:7], v163 offset:6160
	ds_read2_b64 v[16:19], v165 offset0:96 offset1:112
	ds_read_b128 v[8:11], v163 offset:6176
	ds_read_b128 v[12:15], v163 offset:6192
	v_mov_b32_e32 v58, 0
	v_mov_b32_e32 v64, 0
	;; [unrolled: 1-line block ×4, first 2 shown]
	s_waitcnt lgkmcnt(4)
	v_dot4c_i32_i8_e32 v76, v202, v0
	s_waitcnt lgkmcnt(1)
	v_dot4c_i32_i8_e32 v80, v215, v8
	v_dot4c_i32_i8_e32 v68, v203, v0
	;; [unrolled: 1-line block ×32, first 2 shown]
	s_waitcnt lgkmcnt(0)
	v_dot4c_i32_i8_e32 v80, v228, v12
	v_dot4c_i32_i8_e32 v68, v216, v4
	;; [unrolled: 1-line block ×31, first 2 shown]
	ds_read_b128 v[8:11], v163 offset:7168
	ds_read_b128 v[12:15], v163 offset:7184
	;; [unrolled: 1-line block ×4, first 2 shown]
	v_mov_b32_e32 v120, 0
	s_waitcnt lgkmcnt(3)
	v_dot4c_i32_i8_e32 v120, v202, v8
	v_mov_b32_e32 v178, 0
	v_dot4c_i32_i8_e32 v120, v201, v9
	s_waitcnt lgkmcnt(1)
	v_dot4c_i32_i8_e32 v178, v215, v4
	v_dot4c_i32_i8_e32 v120, v204, v10
	;; [unrolled: 1-line block ×8, first 2 shown]
	s_waitcnt lgkmcnt(0)
	v_dot4c_i32_i8_e32 v178, v228, v0
	v_dot4c_i32_i8_e32 v120, v213, v14
	;; [unrolled: 1-line block ×6, first 2 shown]
	v_cvt_f32_f16_e32 v171, v18
	v_cvt_f32_f16_e32 v170, v16
	v_cvt_f32_f16_sdwa v169, v18 dst_sel:DWORD dst_unused:UNUSED_PAD src0_sel:WORD_1
	v_cvt_f32_f16_sdwa v168, v16 dst_sel:DWORD dst_unused:UNUSED_PAD src0_sel:WORD_1
	v_cvt_f32_f16_e32 v166, v17
	v_cvt_f32_f16_sdwa v18, v17 dst_sel:DWORD dst_unused:UNUSED_PAD src0_sel:WORD_1
	v_mul_lo_u32 v16, v76, v211
	v_mul_lo_u32 v17, v120, v211
	v_cvt_f32_f16_e32 v167, v19
	v_cvt_f32_f16_sdwa v19, v19 dst_sel:DWORD dst_unused:UNUSED_PAD src0_sel:WORD_1
	v_cvt_f32_i32_e32 v17, v17
	v_cvt_f32_i32_e32 v16, v16
	v_mul_lo_u32 v76, v80, v224
	v_mul_lo_u32 v80, v178, v224
	v_cvt_f32_i32_e32 v179, v80
	v_cvt_f32_i32_e32 v178, v76
	v_pk_fma_f32 v[120:121], v[154:155], v[168:169], 0 op_sel_hi:[0,1,0]
	v_pk_fma_f32 v[16:17], v[16:17], v[170:171], 0 op_sel_hi:[1,1,0]
	v_pk_fma_f32 v[120:121], v[158:159], v[18:19], v[120:121] op_sel_hi:[0,1,1]
	v_pk_fma_f32 v[16:17], v[178:179], v[166:167], v[16:17]
	v_pk_mul_f32 v[120:121], v[120:121], v[136:137]
	v_mov_b32_e32 v76, 0
	v_pk_fma_f32 v[16:17], v[16:17], v[134:135], v[120:121] neg_lo:[0,0,1] neg_hi:[0,0,1]
	v_dot4c_i32_i8_e32 v76, v222, v4
	v_pk_add_f32 v[26:27], v[26:27], v[16:17]
	v_mov_b32_e32 v16, 0
	v_dot4c_i32_i8_e32 v16, v203, v8
	v_dot4c_i32_i8_e32 v16, v206, v9
	;; [unrolled: 1-line block ×15, first 2 shown]
	v_mul_lo_u32 v68, v68, v218
	v_mul_lo_u32 v16, v16, v218
	v_cvt_f32_i32_e32 v17, v16
	v_cvt_f32_i32_e32 v16, v68
	v_mul_lo_u32 v68, v72, v242
	v_mul_lo_u32 v72, v76, v242
	v_cvt_f32_i32_e32 v179, v72
	v_cvt_f32_i32_e32 v178, v68
	v_pk_fma_f32 v[120:121], v[156:157], v[168:169], 0 op_sel_hi:[0,1,0]
	v_pk_fma_f32 v[16:17], v[16:17], v[170:171], 0 op_sel_hi:[1,1,0]
	;; [unrolled: 1-line block ×3, first 2 shown]
	v_pk_fma_f32 v[16:17], v[178:179], v[166:167], v[16:17]
	v_pk_mul_f32 v[120:121], v[120:121], v[140:141]
	v_mov_b32_e32 v68, 0
	v_pk_fma_f32 v[16:17], v[16:17], v[138:139], v[120:121] neg_lo:[0,0,1] neg_hi:[0,0,1]
	v_dot4c_i32_i8_e32 v68, v246, v4
	v_pk_add_f32 v[24:25], v[24:25], v[16:17]
	v_mov_b32_e32 v16, 0
	v_dot4c_i32_i8_e32 v16, v221, v8
	v_dot4c_i32_i8_e32 v16, v223, v9
	;; [unrolled: 1-line block ×15, first 2 shown]
	v_mul_lo_u32 v55, v58, v234
	v_mul_lo_u32 v16, v16, v234
	v_cvt_f32_i32_e32 v17, v16
	v_cvt_f32_i32_e32 v16, v55
	v_mul_lo_u32 v55, v64, v253
	v_mul_lo_u32 v58, v68, v253
	v_cvt_f32_i32_e32 v179, v58
	v_cvt_f32_i32_e32 v178, v55
	v_pk_fma_f32 v[120:121], v[160:161], v[168:169], 0 op_sel_hi:[0,1,0]
	v_pk_fma_f32 v[16:17], v[16:17], v[170:171], 0 op_sel_hi:[1,1,0]
	;; [unrolled: 1-line block ×3, first 2 shown]
	v_pk_fma_f32 v[16:17], v[178:179], v[166:167], v[16:17]
	v_pk_mul_f32 v[120:121], v[120:121], v[144:145]
	s_add_i32 s4, s4, 8
	v_pk_fma_f32 v[16:17], v[16:17], v[142:143], v[120:121] neg_lo:[0,0,1] neg_hi:[0,0,1]
	s_add_i32 s17, s9, 8
	v_pk_add_f32 v[22:23], v[22:23], v[16:17]
	v_mov_b32_e32 v16, 0
	v_dot4c_i32_i8_e32 v16, v248, v8
	v_mov_b32_e32 v8, 0
	v_dot4c_i32_i8_e32 v16, v207, v9
	v_dot4c_i32_i8_e32 v8, v191, v4
	;; [unrolled: 1-line block ×15, first 2 shown]
	v_mul_lo_u32 v0, v54, v186
	v_mul_lo_u32 v1, v16, v186
	v_cvt_f32_i32_e32 v1, v1
	v_cvt_f32_i32_e32 v0, v0
	v_mul_lo_u32 v4, v57, v185
	v_mul_lo_u32 v5, v8, v185
	v_cvt_f32_i32_e32 v5, v5
	v_cvt_f32_i32_e32 v4, v4
	v_pk_fma_f32 v[2:3], v[152:153], v[168:169], 0 op_sel_hi:[0,1,0]
	v_pk_fma_f32 v[0:1], v[0:1], v[170:171], 0 op_sel_hi:[1,1,0]
	;; [unrolled: 1-line block ×3, first 2 shown]
	v_pk_fma_f32 v[0:1], v[4:5], v[166:167], v[0:1]
	v_pk_mul_f32 v[2:3], v[2:3], v[148:149]
	s_add_i32 s9, s9, 16
	v_pk_fma_f32 v[0:1], v[0:1], v[146:147], v[2:3] neg_lo:[0,0,1] neg_hi:[0,0,1]
	s_add_i32 s5, s5, 2
	v_pk_add_f32 v[20:21], v[20:21], v[0:1]
	v_add_u32_e32 v184, 32, v184
	v_add_u32_e32 v165, 8, v165
	;; [unrolled: 1-line block ×3, first 2 shown]
	s_cmp_lt_u32 s9, 24
	s_mov_b32 s9, s17
	s_cbranch_scc1 .LBB172_8
; %bb.9:                                ;   in Loop: Header=BB172_5 Depth=1
	s_add_i32 s0, s0, 1
	s_cmp_eq_u32 s0, s7
	s_barrier
	s_cbranch_scc0 .LBB172_5
; %bb.10:
	scratch_load_dword v1, off, off offset:88 ; 4-byte Folded Reload
	scratch_load_dword v2, off, off offset:92 ; 4-byte Folded Reload
.LBB172_11:
	s_waitcnt vmcnt(0)
	v_cmp_gt_u32_e32 vcc, s10, v2
	s_and_saveexec_b64 s[0:1], vcc
	s_cbranch_execz .LBB172_62
; %bb.12:
	v_add_u32_e32 v0, s6, v49
	v_mul_lo_u32 v5, v2, s14
	v_cmp_gt_u32_e32 vcc, s14, v0
	s_and_saveexec_b64 s[2:3], vcc
	s_cbranch_execz .LBB172_14
; %bb.13:
	v_bfe_u32 v2, v62, 16, 1
	s_movk_i32 s0, 0x7fff
	v_add3_u32 v2, v62, v2, s0
	v_lshrrev_b32_e32 v2, 16, v2
	v_mov_b32_e32 v3, 0x7fc0
	v_cmp_o_f32_e64 s[0:1], v62, v62
	s_nop 1
	v_cndmask_b32_e64 v4, v3, v2, s[0:1]
	v_add_u32_e32 v2, v0, v5
	v_mov_b32_e32 v3, 0
	s_waitcnt lgkmcnt(0)
	v_lshl_add_u64 v[2:3], v[2:3], 1, s[12:13]
	global_store_short v[2:3], v4, off
.LBB172_14:
	s_or_b64 exec, exec, s[2:3]
	v_add_u32_e32 v2, 32, v0
	v_cmp_gt_u32_e64 s[0:1], s14, v2
	s_and_saveexec_b64 s[4:5], s[0:1]
	s_cbranch_execz .LBB172_16
; %bb.15:
	v_bfe_u32 v3, v52, 16, 1
	s_movk_i32 s2, 0x7fff
	v_add3_u32 v3, v52, v3, s2
	v_lshrrev_b32_e32 v3, 16, v3
	v_mov_b32_e32 v4, 0x7fc0
	v_cmp_o_f32_e64 s[2:3], v52, v52
	v_add_u32_e32 v6, v2, v5
	v_mov_b32_e32 v7, 0
	v_cndmask_b32_e64 v3, v4, v3, s[2:3]
	s_waitcnt lgkmcnt(0)
	v_lshl_add_u64 v[6:7], v[6:7], 1, s[12:13]
	global_store_short v[6:7], v3, off
.LBB172_16:
	s_or_b64 exec, exec, s[4:5]
	v_add_u32_e32 v3, 64, v0
	v_cmp_gt_u32_e64 s[2:3], s14, v3
	s_and_saveexec_b64 s[6:7], s[2:3]
	s_cbranch_execz .LBB172_18
; %bb.17:
	v_bfe_u32 v4, v46, 16, 1
	s_movk_i32 s4, 0x7fff
	v_add3_u32 v4, v46, v4, s4
	v_lshrrev_b32_e32 v4, 16, v4
	v_mov_b32_e32 v6, 0x7fc0
	v_cmp_o_f32_e64 s[4:5], v46, v46
	v_mov_b32_e32 v7, 0
	s_nop 0
	v_cndmask_b32_e64 v4, v6, v4, s[4:5]
	v_add_u32_e32 v6, v3, v5
	s_waitcnt lgkmcnt(0)
	v_lshl_add_u64 v[6:7], v[6:7], 1, s[12:13]
	global_store_short v[6:7], v4, off
.LBB172_18:
	s_or_b64 exec, exec, s[6:7]
	v_add_u32_e32 v4, 0x60, v0
	v_cmp_gt_u32_e64 s[4:5], s14, v4
	s_and_saveexec_b64 s[8:9], s[4:5]
	s_cbranch_execz .LBB172_20
; %bb.19:
	v_bfe_u32 v6, v44, 16, 1
	s_movk_i32 s6, 0x7fff
	v_add3_u32 v6, v44, v6, s6
	v_lshrrev_b32_e32 v6, 16, v6
	v_mov_b32_e32 v7, 0x7fc0
	v_cmp_o_f32_e64 s[6:7], v44, v44
	s_nop 1
	v_cndmask_b32_e64 v8, v7, v6, s[6:7]
	v_add_u32_e32 v6, v4, v5
	v_mov_b32_e32 v7, 0
	s_waitcnt lgkmcnt(0)
	v_lshl_add_u64 v[6:7], v[6:7], 1, s[12:13]
	global_store_short v[6:7], v8, off
.LBB172_20:
	s_or_b64 exec, exec, s[8:9]
	v_add3_u32 v5, v1, s15, 8
	v_cmp_gt_u32_e64 s[6:7], s10, v5
	s_and_b64 exec, exec, s[6:7]
	s_cbranch_execz .LBB172_62
; %bb.21:
	v_mul_lo_u32 v5, v5, s14
	s_and_saveexec_b64 s[8:9], vcc
	s_cbranch_execnz .LBB172_63
; %bb.22:
	s_or_b64 exec, exec, s[8:9]
	s_and_saveexec_b64 s[8:9], s[0:1]
	s_cbranch_execnz .LBB172_64
.LBB172_23:
	s_or_b64 exec, exec, s[8:9]
	s_and_saveexec_b64 s[8:9], s[2:3]
	s_cbranch_execnz .LBB172_65
.LBB172_24:
	s_or_b64 exec, exec, s[8:9]
	s_and_saveexec_b64 s[8:9], s[4:5]
	s_cbranch_execz .LBB172_26
.LBB172_25:
	v_bfe_u32 v6, v45, 16, 1
	s_movk_i32 s6, 0x7fff
	v_add3_u32 v6, v45, v6, s6
	v_lshrrev_b32_e32 v6, 16, v6
	v_mov_b32_e32 v7, 0x7fc0
	v_cmp_o_f32_e64 s[6:7], v45, v45
	s_nop 1
	v_cndmask_b32_e64 v8, v7, v6, s[6:7]
	v_add_u32_e32 v6, v5, v4
	v_mov_b32_e32 v7, 0
	s_waitcnt lgkmcnt(0)
	v_lshl_add_u64 v[6:7], v[6:7], 1, s[12:13]
	global_store_short v[6:7], v8, off
.LBB172_26:
	s_or_b64 exec, exec, s[8:9]
	v_add3_u32 v5, v1, s15, 16
	v_cmp_gt_u32_e64 s[6:7], s10, v5
	s_and_b64 exec, exec, s[6:7]
	s_cbranch_execz .LBB172_62
; %bb.27:
	v_mul_lo_u32 v5, v5, s14
	s_and_saveexec_b64 s[8:9], vcc
	s_cbranch_execnz .LBB172_66
; %bb.28:
	s_or_b64 exec, exec, s[8:9]
	s_and_saveexec_b64 s[8:9], s[0:1]
	s_cbranch_execnz .LBB172_67
.LBB172_29:
	s_or_b64 exec, exec, s[8:9]
	s_and_saveexec_b64 s[8:9], s[2:3]
	s_cbranch_execnz .LBB172_68
.LBB172_30:
	s_or_b64 exec, exec, s[8:9]
	s_and_saveexec_b64 s[8:9], s[4:5]
	s_cbranch_execz .LBB172_32
.LBB172_31:
	v_bfe_u32 v6, v36, 16, 1
	s_movk_i32 s6, 0x7fff
	v_add3_u32 v6, v36, v6, s6
	v_lshrrev_b32_e32 v6, 16, v6
	v_mov_b32_e32 v7, 0x7fc0
	v_cmp_o_f32_e64 s[6:7], v36, v36
	s_nop 1
	v_cndmask_b32_e64 v8, v7, v6, s[6:7]
	v_add_u32_e32 v6, v5, v4
	v_mov_b32_e32 v7, 0
	s_waitcnt lgkmcnt(0)
	v_lshl_add_u64 v[6:7], v[6:7], 1, s[12:13]
	global_store_short v[6:7], v8, off
.LBB172_32:
	s_or_b64 exec, exec, s[8:9]
	v_add3_u32 v5, v1, s15, 24
	v_cmp_gt_u32_e64 s[6:7], s10, v5
	s_and_b64 exec, exec, s[6:7]
	s_cbranch_execz .LBB172_62
; %bb.33:
	v_mul_lo_u32 v5, v5, s14
	s_and_saveexec_b64 s[8:9], vcc
	s_cbranch_execnz .LBB172_69
; %bb.34:
	s_or_b64 exec, exec, s[8:9]
	s_and_saveexec_b64 s[8:9], s[0:1]
	s_cbranch_execnz .LBB172_70
.LBB172_35:
	s_or_b64 exec, exec, s[8:9]
	s_and_saveexec_b64 s[8:9], s[2:3]
	s_cbranch_execnz .LBB172_71
.LBB172_36:
	s_or_b64 exec, exec, s[8:9]
	s_and_saveexec_b64 s[8:9], s[4:5]
	s_cbranch_execz .LBB172_38
.LBB172_37:
	v_bfe_u32 v6, v37, 16, 1
	s_movk_i32 s6, 0x7fff
	v_add3_u32 v6, v37, v6, s6
	v_lshrrev_b32_e32 v6, 16, v6
	v_mov_b32_e32 v7, 0x7fc0
	v_cmp_o_f32_e64 s[6:7], v37, v37
	s_nop 1
	v_cndmask_b32_e64 v8, v7, v6, s[6:7]
	v_add_u32_e32 v6, v5, v4
	v_mov_b32_e32 v7, 0
	s_waitcnt lgkmcnt(0)
	v_lshl_add_u64 v[6:7], v[6:7], 1, s[12:13]
	global_store_short v[6:7], v8, off
.LBB172_38:
	s_or_b64 exec, exec, s[8:9]
	v_add3_u32 v5, v1, s15, 32
	v_cmp_gt_u32_e64 s[6:7], s10, v5
	s_and_b64 exec, exec, s[6:7]
	s_cbranch_execz .LBB172_62
; %bb.39:
	v_mul_lo_u32 v5, v5, s14
	s_and_saveexec_b64 s[8:9], vcc
	s_cbranch_execnz .LBB172_72
; %bb.40:
	s_or_b64 exec, exec, s[8:9]
	s_and_saveexec_b64 s[8:9], s[0:1]
	s_cbranch_execnz .LBB172_73
.LBB172_41:
	s_or_b64 exec, exec, s[8:9]
	s_and_saveexec_b64 s[8:9], s[2:3]
	s_cbranch_execnz .LBB172_74
.LBB172_42:
	s_or_b64 exec, exec, s[8:9]
	s_and_saveexec_b64 s[8:9], s[4:5]
	s_cbranch_execz .LBB172_44
.LBB172_43:
	v_bfe_u32 v6, v28, 16, 1
	s_movk_i32 s6, 0x7fff
	v_add3_u32 v6, v28, v6, s6
	v_lshrrev_b32_e32 v6, 16, v6
	v_mov_b32_e32 v7, 0x7fc0
	v_cmp_o_f32_e64 s[6:7], v28, v28
	s_nop 1
	v_cndmask_b32_e64 v8, v7, v6, s[6:7]
	v_add_u32_e32 v6, v5, v4
	v_mov_b32_e32 v7, 0
	s_waitcnt lgkmcnt(0)
	v_lshl_add_u64 v[6:7], v[6:7], 1, s[12:13]
	global_store_short v[6:7], v8, off
.LBB172_44:
	s_or_b64 exec, exec, s[8:9]
	v_add3_u32 v5, v1, s15, 40
	v_cmp_gt_u32_e64 s[6:7], s10, v5
	s_and_b64 exec, exec, s[6:7]
	s_cbranch_execz .LBB172_62
; %bb.45:
	v_mul_lo_u32 v5, v5, s14
	s_and_saveexec_b64 s[8:9], vcc
	s_cbranch_execnz .LBB172_75
; %bb.46:
	s_or_b64 exec, exec, s[8:9]
	s_and_saveexec_b64 s[8:9], s[0:1]
	s_cbranch_execnz .LBB172_76
.LBB172_47:
	s_or_b64 exec, exec, s[8:9]
	s_and_saveexec_b64 s[8:9], s[2:3]
	s_cbranch_execnz .LBB172_77
.LBB172_48:
	s_or_b64 exec, exec, s[8:9]
	s_and_saveexec_b64 s[8:9], s[4:5]
	s_cbranch_execz .LBB172_50
.LBB172_49:
	v_bfe_u32 v6, v29, 16, 1
	s_movk_i32 s6, 0x7fff
	v_add3_u32 v6, v29, v6, s6
	v_lshrrev_b32_e32 v6, 16, v6
	v_mov_b32_e32 v7, 0x7fc0
	v_cmp_o_f32_e64 s[6:7], v29, v29
	s_nop 1
	v_cndmask_b32_e64 v8, v7, v6, s[6:7]
	v_add_u32_e32 v6, v5, v4
	v_mov_b32_e32 v7, 0
	s_waitcnt lgkmcnt(0)
	v_lshl_add_u64 v[6:7], v[6:7], 1, s[12:13]
	global_store_short v[6:7], v8, off
.LBB172_50:
	s_or_b64 exec, exec, s[8:9]
	v_add3_u32 v5, v1, s15, 48
	v_cmp_gt_u32_e64 s[6:7], s10, v5
	s_and_b64 exec, exec, s[6:7]
	s_cbranch_execz .LBB172_62
; %bb.51:
	v_mul_lo_u32 v5, v5, s14
	s_and_saveexec_b64 s[8:9], vcc
	s_cbranch_execnz .LBB172_78
; %bb.52:
	s_or_b64 exec, exec, s[8:9]
	s_and_saveexec_b64 s[8:9], s[0:1]
	s_cbranch_execnz .LBB172_79
.LBB172_53:
	s_or_b64 exec, exec, s[8:9]
	s_and_saveexec_b64 s[8:9], s[2:3]
	s_cbranch_execnz .LBB172_80
.LBB172_54:
	s_or_b64 exec, exec, s[8:9]
	s_and_saveexec_b64 s[8:9], s[4:5]
	s_cbranch_execz .LBB172_56
.LBB172_55:
	v_bfe_u32 v6, v20, 16, 1
	s_movk_i32 s6, 0x7fff
	v_add3_u32 v6, v20, v6, s6
	v_lshrrev_b32_e32 v6, 16, v6
	v_mov_b32_e32 v7, 0x7fc0
	v_cmp_o_f32_e64 s[6:7], v20, v20
	s_nop 1
	v_cndmask_b32_e64 v8, v7, v6, s[6:7]
	v_add_u32_e32 v6, v5, v4
	v_mov_b32_e32 v7, 0
	s_waitcnt lgkmcnt(0)
	v_lshl_add_u64 v[6:7], v[6:7], 1, s[12:13]
	global_store_short v[6:7], v8, off
.LBB172_56:
	s_or_b64 exec, exec, s[8:9]
	v_add3_u32 v1, v1, s15, 56
	v_cmp_gt_u32_e64 s[6:7], s10, v1
	s_and_b64 exec, exec, s[6:7]
	s_cbranch_execz .LBB172_62
; %bb.57:
	v_mul_lo_u32 v1, v1, s14
	s_and_saveexec_b64 s[6:7], vcc
	s_cbranch_execnz .LBB172_81
; %bb.58:
	s_or_b64 exec, exec, s[6:7]
	s_and_saveexec_b64 s[6:7], s[0:1]
	s_cbranch_execnz .LBB172_82
.LBB172_59:
	s_or_b64 exec, exec, s[6:7]
	s_and_saveexec_b64 s[0:1], s[2:3]
	s_cbranch_execnz .LBB172_83
.LBB172_60:
	s_or_b64 exec, exec, s[0:1]
	s_and_b64 exec, exec, s[4:5]
	s_cbranch_execz .LBB172_62
.LBB172_61:
	v_bfe_u32 v0, v21, 16, 1
	s_movk_i32 s0, 0x7fff
	v_add3_u32 v0, v21, v0, s0
	v_lshrrev_b32_e32 v0, 16, v0
	v_mov_b32_e32 v2, 0x7fc0
	v_cmp_o_f32_e32 vcc, v21, v21
	s_nop 1
	v_cndmask_b32_e32 v2, v2, v0, vcc
	v_add_u32_e32 v0, v1, v4
	v_mov_b32_e32 v1, 0
	s_waitcnt lgkmcnt(0)
	v_lshl_add_u64 v[0:1], v[0:1], 1, s[12:13]
	global_store_short v[0:1], v2, off
.LBB172_62:
	s_endpgm
.LBB172_63:
	v_bfe_u32 v6, v63, 16, 1
	s_movk_i32 s6, 0x7fff
	v_add3_u32 v6, v63, v6, s6
	v_lshrrev_b32_e32 v6, 16, v6
	v_mov_b32_e32 v7, 0x7fc0
	v_cmp_o_f32_e64 s[6:7], v63, v63
	s_nop 1
	v_cndmask_b32_e64 v8, v7, v6, s[6:7]
	v_add_u32_e32 v6, v5, v0
	v_mov_b32_e32 v7, 0
	s_waitcnt lgkmcnt(0)
	v_lshl_add_u64 v[6:7], v[6:7], 1, s[12:13]
	global_store_short v[6:7], v8, off
	s_or_b64 exec, exec, s[8:9]
	s_and_saveexec_b64 s[8:9], s[0:1]
	s_cbranch_execz .LBB172_23
.LBB172_64:
	v_bfe_u32 v6, v53, 16, 1
	s_movk_i32 s6, 0x7fff
	v_add3_u32 v6, v53, v6, s6
	v_lshrrev_b32_e32 v6, 16, v6
	v_mov_b32_e32 v7, 0x7fc0
	v_cmp_o_f32_e64 s[6:7], v53, v53
	s_nop 1
	v_cndmask_b32_e64 v8, v7, v6, s[6:7]
	v_add_u32_e32 v6, v5, v2
	v_mov_b32_e32 v7, 0
	s_waitcnt lgkmcnt(0)
	v_lshl_add_u64 v[6:7], v[6:7], 1, s[12:13]
	global_store_short v[6:7], v8, off
	s_or_b64 exec, exec, s[8:9]
	s_and_saveexec_b64 s[8:9], s[2:3]
	s_cbranch_execz .LBB172_24
.LBB172_65:
	v_bfe_u32 v6, v47, 16, 1
	s_movk_i32 s6, 0x7fff
	v_add3_u32 v6, v47, v6, s6
	v_lshrrev_b32_e32 v6, 16, v6
	v_mov_b32_e32 v7, 0x7fc0
	v_cmp_o_f32_e64 s[6:7], v47, v47
	s_nop 1
	v_cndmask_b32_e64 v8, v7, v6, s[6:7]
	v_add_u32_e32 v6, v5, v3
	v_mov_b32_e32 v7, 0
	s_waitcnt lgkmcnt(0)
	v_lshl_add_u64 v[6:7], v[6:7], 1, s[12:13]
	global_store_short v[6:7], v8, off
	s_or_b64 exec, exec, s[8:9]
	s_and_saveexec_b64 s[8:9], s[4:5]
	s_cbranch_execnz .LBB172_25
	s_branch .LBB172_26
.LBB172_66:
	v_bfe_u32 v6, v42, 16, 1
	s_movk_i32 s6, 0x7fff
	v_add3_u32 v6, v42, v6, s6
	v_lshrrev_b32_e32 v6, 16, v6
	v_mov_b32_e32 v7, 0x7fc0
	v_cmp_o_f32_e64 s[6:7], v42, v42
	s_nop 1
	v_cndmask_b32_e64 v8, v7, v6, s[6:7]
	v_add_u32_e32 v6, v5, v0
	v_mov_b32_e32 v7, 0
	s_waitcnt lgkmcnt(0)
	v_lshl_add_u64 v[6:7], v[6:7], 1, s[12:13]
	global_store_short v[6:7], v8, off
	s_or_b64 exec, exec, s[8:9]
	s_and_saveexec_b64 s[8:9], s[0:1]
	s_cbranch_execz .LBB172_29
.LBB172_67:
	v_bfe_u32 v6, v40, 16, 1
	s_movk_i32 s6, 0x7fff
	v_add3_u32 v6, v40, v6, s6
	v_lshrrev_b32_e32 v6, 16, v6
	v_mov_b32_e32 v7, 0x7fc0
	v_cmp_o_f32_e64 s[6:7], v40, v40
	s_nop 1
	v_cndmask_b32_e64 v8, v7, v6, s[6:7]
	v_add_u32_e32 v6, v5, v2
	v_mov_b32_e32 v7, 0
	s_waitcnt lgkmcnt(0)
	v_lshl_add_u64 v[6:7], v[6:7], 1, s[12:13]
	global_store_short v[6:7], v8, off
	s_or_b64 exec, exec, s[8:9]
	s_and_saveexec_b64 s[8:9], s[2:3]
	s_cbranch_execz .LBB172_30
.LBB172_68:
	v_bfe_u32 v6, v38, 16, 1
	s_movk_i32 s6, 0x7fff
	v_add3_u32 v6, v38, v6, s6
	v_lshrrev_b32_e32 v6, 16, v6
	v_mov_b32_e32 v7, 0x7fc0
	v_cmp_o_f32_e64 s[6:7], v38, v38
	s_nop 1
	v_cndmask_b32_e64 v8, v7, v6, s[6:7]
	v_add_u32_e32 v6, v5, v3
	v_mov_b32_e32 v7, 0
	s_waitcnt lgkmcnt(0)
	v_lshl_add_u64 v[6:7], v[6:7], 1, s[12:13]
	global_store_short v[6:7], v8, off
	s_or_b64 exec, exec, s[8:9]
	s_and_saveexec_b64 s[8:9], s[4:5]
	s_cbranch_execnz .LBB172_31
	s_branch .LBB172_32
.LBB172_69:
	v_bfe_u32 v6, v43, 16, 1
	s_movk_i32 s6, 0x7fff
	v_add3_u32 v6, v43, v6, s6
	v_lshrrev_b32_e32 v6, 16, v6
	v_mov_b32_e32 v7, 0x7fc0
	v_cmp_o_f32_e64 s[6:7], v43, v43
	s_nop 1
	v_cndmask_b32_e64 v8, v7, v6, s[6:7]
	v_add_u32_e32 v6, v5, v0
	v_mov_b32_e32 v7, 0
	s_waitcnt lgkmcnt(0)
	v_lshl_add_u64 v[6:7], v[6:7], 1, s[12:13]
	global_store_short v[6:7], v8, off
	s_or_b64 exec, exec, s[8:9]
	s_and_saveexec_b64 s[8:9], s[0:1]
	s_cbranch_execz .LBB172_35
.LBB172_70:
	v_bfe_u32 v6, v41, 16, 1
	s_movk_i32 s6, 0x7fff
	v_add3_u32 v6, v41, v6, s6
	v_lshrrev_b32_e32 v6, 16, v6
	v_mov_b32_e32 v7, 0x7fc0
	v_cmp_o_f32_e64 s[6:7], v41, v41
	s_nop 1
	v_cndmask_b32_e64 v8, v7, v6, s[6:7]
	v_add_u32_e32 v6, v5, v2
	v_mov_b32_e32 v7, 0
	s_waitcnt lgkmcnt(0)
	v_lshl_add_u64 v[6:7], v[6:7], 1, s[12:13]
	global_store_short v[6:7], v8, off
	s_or_b64 exec, exec, s[8:9]
	s_and_saveexec_b64 s[8:9], s[2:3]
	s_cbranch_execz .LBB172_36
.LBB172_71:
	v_bfe_u32 v6, v39, 16, 1
	s_movk_i32 s6, 0x7fff
	v_add3_u32 v6, v39, v6, s6
	v_lshrrev_b32_e32 v6, 16, v6
	v_mov_b32_e32 v7, 0x7fc0
	v_cmp_o_f32_e64 s[6:7], v39, v39
	s_nop 1
	v_cndmask_b32_e64 v8, v7, v6, s[6:7]
	v_add_u32_e32 v6, v5, v3
	v_mov_b32_e32 v7, 0
	s_waitcnt lgkmcnt(0)
	v_lshl_add_u64 v[6:7], v[6:7], 1, s[12:13]
	global_store_short v[6:7], v8, off
	s_or_b64 exec, exec, s[8:9]
	s_and_saveexec_b64 s[8:9], s[4:5]
	s_cbranch_execnz .LBB172_37
	s_branch .LBB172_38
.LBB172_72:
	v_bfe_u32 v6, v34, 16, 1
	s_movk_i32 s6, 0x7fff
	v_add3_u32 v6, v34, v6, s6
	v_lshrrev_b32_e32 v6, 16, v6
	v_mov_b32_e32 v7, 0x7fc0
	v_cmp_o_f32_e64 s[6:7], v34, v34
	s_nop 1
	v_cndmask_b32_e64 v8, v7, v6, s[6:7]
	v_add_u32_e32 v6, v5, v0
	v_mov_b32_e32 v7, 0
	s_waitcnt lgkmcnt(0)
	v_lshl_add_u64 v[6:7], v[6:7], 1, s[12:13]
	global_store_short v[6:7], v8, off
	s_or_b64 exec, exec, s[8:9]
	s_and_saveexec_b64 s[8:9], s[0:1]
	s_cbranch_execz .LBB172_41
.LBB172_73:
	v_bfe_u32 v6, v32, 16, 1
	s_movk_i32 s6, 0x7fff
	v_add3_u32 v6, v32, v6, s6
	v_lshrrev_b32_e32 v6, 16, v6
	v_mov_b32_e32 v7, 0x7fc0
	v_cmp_o_f32_e64 s[6:7], v32, v32
	s_nop 1
	v_cndmask_b32_e64 v8, v7, v6, s[6:7]
	v_add_u32_e32 v6, v5, v2
	v_mov_b32_e32 v7, 0
	s_waitcnt lgkmcnt(0)
	v_lshl_add_u64 v[6:7], v[6:7], 1, s[12:13]
	global_store_short v[6:7], v8, off
	s_or_b64 exec, exec, s[8:9]
	s_and_saveexec_b64 s[8:9], s[2:3]
	s_cbranch_execz .LBB172_42
.LBB172_74:
	v_bfe_u32 v6, v30, 16, 1
	s_movk_i32 s6, 0x7fff
	v_add3_u32 v6, v30, v6, s6
	v_lshrrev_b32_e32 v6, 16, v6
	v_mov_b32_e32 v7, 0x7fc0
	v_cmp_o_f32_e64 s[6:7], v30, v30
	s_nop 1
	v_cndmask_b32_e64 v8, v7, v6, s[6:7]
	v_add_u32_e32 v6, v5, v3
	v_mov_b32_e32 v7, 0
	s_waitcnt lgkmcnt(0)
	v_lshl_add_u64 v[6:7], v[6:7], 1, s[12:13]
	global_store_short v[6:7], v8, off
	s_or_b64 exec, exec, s[8:9]
	s_and_saveexec_b64 s[8:9], s[4:5]
	s_cbranch_execnz .LBB172_43
	s_branch .LBB172_44
.LBB172_75:
	v_bfe_u32 v6, v35, 16, 1
	s_movk_i32 s6, 0x7fff
	v_add3_u32 v6, v35, v6, s6
	v_lshrrev_b32_e32 v6, 16, v6
	v_mov_b32_e32 v7, 0x7fc0
	v_cmp_o_f32_e64 s[6:7], v35, v35
	s_nop 1
	v_cndmask_b32_e64 v8, v7, v6, s[6:7]
	v_add_u32_e32 v6, v5, v0
	v_mov_b32_e32 v7, 0
	s_waitcnt lgkmcnt(0)
	v_lshl_add_u64 v[6:7], v[6:7], 1, s[12:13]
	global_store_short v[6:7], v8, off
	s_or_b64 exec, exec, s[8:9]
	s_and_saveexec_b64 s[8:9], s[0:1]
	s_cbranch_execz .LBB172_47
.LBB172_76:
	v_bfe_u32 v6, v33, 16, 1
	s_movk_i32 s6, 0x7fff
	v_add3_u32 v6, v33, v6, s6
	v_lshrrev_b32_e32 v6, 16, v6
	v_mov_b32_e32 v7, 0x7fc0
	v_cmp_o_f32_e64 s[6:7], v33, v33
	s_nop 1
	v_cndmask_b32_e64 v8, v7, v6, s[6:7]
	v_add_u32_e32 v6, v5, v2
	v_mov_b32_e32 v7, 0
	s_waitcnt lgkmcnt(0)
	v_lshl_add_u64 v[6:7], v[6:7], 1, s[12:13]
	global_store_short v[6:7], v8, off
	s_or_b64 exec, exec, s[8:9]
	s_and_saveexec_b64 s[8:9], s[2:3]
	s_cbranch_execz .LBB172_48
.LBB172_77:
	v_bfe_u32 v6, v31, 16, 1
	s_movk_i32 s6, 0x7fff
	v_add3_u32 v6, v31, v6, s6
	v_lshrrev_b32_e32 v6, 16, v6
	v_mov_b32_e32 v7, 0x7fc0
	v_cmp_o_f32_e64 s[6:7], v31, v31
	s_nop 1
	v_cndmask_b32_e64 v8, v7, v6, s[6:7]
	v_add_u32_e32 v6, v5, v3
	v_mov_b32_e32 v7, 0
	s_waitcnt lgkmcnt(0)
	v_lshl_add_u64 v[6:7], v[6:7], 1, s[12:13]
	global_store_short v[6:7], v8, off
	s_or_b64 exec, exec, s[8:9]
	s_and_saveexec_b64 s[8:9], s[4:5]
	s_cbranch_execnz .LBB172_49
	s_branch .LBB172_50
.LBB172_78:
	v_bfe_u32 v6, v26, 16, 1
	s_movk_i32 s6, 0x7fff
	v_add3_u32 v6, v26, v6, s6
	v_lshrrev_b32_e32 v6, 16, v6
	v_mov_b32_e32 v7, 0x7fc0
	v_cmp_o_f32_e64 s[6:7], v26, v26
	s_nop 1
	v_cndmask_b32_e64 v8, v7, v6, s[6:7]
	v_add_u32_e32 v6, v5, v0
	v_mov_b32_e32 v7, 0
	s_waitcnt lgkmcnt(0)
	v_lshl_add_u64 v[6:7], v[6:7], 1, s[12:13]
	global_store_short v[6:7], v8, off
	s_or_b64 exec, exec, s[8:9]
	s_and_saveexec_b64 s[8:9], s[0:1]
	s_cbranch_execz .LBB172_53
.LBB172_79:
	v_bfe_u32 v6, v24, 16, 1
	s_movk_i32 s6, 0x7fff
	v_add3_u32 v6, v24, v6, s6
	v_lshrrev_b32_e32 v6, 16, v6
	v_mov_b32_e32 v7, 0x7fc0
	v_cmp_o_f32_e64 s[6:7], v24, v24
	s_nop 1
	v_cndmask_b32_e64 v8, v7, v6, s[6:7]
	v_add_u32_e32 v6, v5, v2
	v_mov_b32_e32 v7, 0
	s_waitcnt lgkmcnt(0)
	v_lshl_add_u64 v[6:7], v[6:7], 1, s[12:13]
	global_store_short v[6:7], v8, off
	s_or_b64 exec, exec, s[8:9]
	s_and_saveexec_b64 s[8:9], s[2:3]
	s_cbranch_execz .LBB172_54
.LBB172_80:
	v_bfe_u32 v6, v22, 16, 1
	s_movk_i32 s6, 0x7fff
	v_add3_u32 v6, v22, v6, s6
	v_lshrrev_b32_e32 v6, 16, v6
	v_mov_b32_e32 v7, 0x7fc0
	v_cmp_o_f32_e64 s[6:7], v22, v22
	s_nop 1
	v_cndmask_b32_e64 v8, v7, v6, s[6:7]
	v_add_u32_e32 v6, v5, v3
	v_mov_b32_e32 v7, 0
	s_waitcnt lgkmcnt(0)
	v_lshl_add_u64 v[6:7], v[6:7], 1, s[12:13]
	global_store_short v[6:7], v8, off
	s_or_b64 exec, exec, s[8:9]
	s_and_saveexec_b64 s[8:9], s[4:5]
	s_cbranch_execnz .LBB172_55
	s_branch .LBB172_56
.LBB172_81:
	v_bfe_u32 v5, v27, 16, 1
	s_movk_i32 s8, 0x7fff
	v_add3_u32 v5, v27, v5, s8
	v_lshrrev_b32_e32 v5, 16, v5
	v_mov_b32_e32 v6, 0x7fc0
	v_cmp_o_f32_e32 vcc, v27, v27
	v_mov_b32_e32 v7, 0
	s_nop 0
	v_cndmask_b32_e32 v5, v6, v5, vcc
	v_add_u32_e32 v6, v1, v0
	s_waitcnt lgkmcnt(0)
	v_lshl_add_u64 v[6:7], v[6:7], 1, s[12:13]
	global_store_short v[6:7], v5, off
	s_or_b64 exec, exec, s[6:7]
	s_and_saveexec_b64 s[6:7], s[0:1]
	s_cbranch_execz .LBB172_59
.LBB172_82:
	v_bfe_u32 v0, v25, 16, 1
	s_movk_i32 s0, 0x7fff
	v_add3_u32 v0, v25, v0, s0
	v_lshrrev_b32_e32 v0, 16, v0
	v_mov_b32_e32 v5, 0x7fc0
	v_cmp_o_f32_e32 vcc, v25, v25
	v_add_u32_e32 v6, v1, v2
	v_mov_b32_e32 v7, 0
	v_cndmask_b32_e32 v0, v5, v0, vcc
	s_waitcnt lgkmcnt(0)
	v_lshl_add_u64 v[6:7], v[6:7], 1, s[12:13]
	global_store_short v[6:7], v0, off
	s_or_b64 exec, exec, s[6:7]
	s_and_saveexec_b64 s[0:1], s[2:3]
	s_cbranch_execz .LBB172_60
.LBB172_83:
	v_bfe_u32 v0, v23, 16, 1
	s_movk_i32 s2, 0x7fff
	v_add3_u32 v0, v23, v0, s2
	v_lshrrev_b32_e32 v0, 16, v0
	v_mov_b32_e32 v2, 0x7fc0
	v_cmp_o_f32_e32 vcc, v23, v23
	s_nop 1
	v_cndmask_b32_e32 v0, v2, v0, vcc
	v_add_u32_e32 v2, v1, v3
	v_mov_b32_e32 v3, 0
	s_waitcnt lgkmcnt(0)
	v_lshl_add_u64 v[2:3], v[2:3], 1, s[12:13]
	global_store_short v[2:3], v0, off
	s_or_b64 exec, exec, s[0:1]
	s_and_b64 exec, exec, s[4:5]
	s_cbranch_execnz .LBB172_61
	s_branch .LBB172_62
	.section	.rodata,"a",@progbits
	.p2align	6, 0x0
	.amdhsa_kernel _ZL12mul_mat_q4_KIN3c108BFloat16ELb1EEvPKvS3_PT_iiiii
		.amdhsa_group_segment_fixed_size 28752
		.amdhsa_private_segment_fixed_size 100
		.amdhsa_kernarg_size 44
		.amdhsa_user_sgpr_count 2
		.amdhsa_user_sgpr_dispatch_ptr 0
		.amdhsa_user_sgpr_queue_ptr 0
		.amdhsa_user_sgpr_kernarg_segment_ptr 1
		.amdhsa_user_sgpr_dispatch_id 0
		.amdhsa_user_sgpr_kernarg_preload_length 0
		.amdhsa_user_sgpr_kernarg_preload_offset 0
		.amdhsa_user_sgpr_private_segment_size 0
		.amdhsa_uses_dynamic_stack 0
		.amdhsa_enable_private_segment 1
		.amdhsa_system_sgpr_workgroup_id_x 1
		.amdhsa_system_sgpr_workgroup_id_y 1
		.amdhsa_system_sgpr_workgroup_id_z 0
		.amdhsa_system_sgpr_workgroup_info 0
		.amdhsa_system_vgpr_workitem_id 1
		.amdhsa_next_free_vgpr 256
		.amdhsa_next_free_sgpr 20
		.amdhsa_accum_offset 256
		.amdhsa_reserve_vcc 1
		.amdhsa_float_round_mode_32 0
		.amdhsa_float_round_mode_16_64 0
		.amdhsa_float_denorm_mode_32 3
		.amdhsa_float_denorm_mode_16_64 3
		.amdhsa_dx10_clamp 1
		.amdhsa_ieee_mode 1
		.amdhsa_fp16_overflow 0
		.amdhsa_tg_split 0
		.amdhsa_exception_fp_ieee_invalid_op 0
		.amdhsa_exception_fp_denorm_src 0
		.amdhsa_exception_fp_ieee_div_zero 0
		.amdhsa_exception_fp_ieee_overflow 0
		.amdhsa_exception_fp_ieee_underflow 0
		.amdhsa_exception_fp_ieee_inexact 0
		.amdhsa_exception_int_div_zero 0
	.end_amdhsa_kernel
	.section	.text._ZL12mul_mat_q4_KIN3c108BFloat16ELb1EEvPKvS3_PT_iiiii,"axG",@progbits,_ZL12mul_mat_q4_KIN3c108BFloat16ELb1EEvPKvS3_PT_iiiii,comdat
.Lfunc_end172:
	.size	_ZL12mul_mat_q4_KIN3c108BFloat16ELb1EEvPKvS3_PT_iiiii, .Lfunc_end172-_ZL12mul_mat_q4_KIN3c108BFloat16ELb1EEvPKvS3_PT_iiiii
                                        ; -- End function
	.section	.AMDGPU.csdata,"",@progbits
; Kernel info:
; codeLenInByte = 18520
; NumSgprs: 26
; NumVgprs: 256
; NumAgprs: 0
; TotalNumVgprs: 256
; ScratchSize: 100
; MemoryBound: 0
; FloatMode: 240
; IeeeMode: 1
; LDSByteSize: 28752 bytes/workgroup (compile time only)
; SGPRBlocks: 3
; VGPRBlocks: 31
; NumSGPRsForWavesPerEU: 26
; NumVGPRsForWavesPerEU: 256
; AccumOffset: 256
; Occupancy: 2
; WaveLimiterHint : 0
; COMPUTE_PGM_RSRC2:SCRATCH_EN: 1
; COMPUTE_PGM_RSRC2:USER_SGPR: 2
; COMPUTE_PGM_RSRC2:TRAP_HANDLER: 0
; COMPUTE_PGM_RSRC2:TGID_X_EN: 1
; COMPUTE_PGM_RSRC2:TGID_Y_EN: 1
; COMPUTE_PGM_RSRC2:TGID_Z_EN: 0
; COMPUTE_PGM_RSRC2:TIDIG_COMP_CNT: 1
; COMPUTE_PGM_RSRC3_GFX90A:ACCUM_OFFSET: 63
; COMPUTE_PGM_RSRC3_GFX90A:TG_SPLIT: 0
	.section	.text._ZL12mul_mat_q5_KIN3c108BFloat16ELb0EEvPKvS3_PT_iiiii,"axG",@progbits,_ZL12mul_mat_q5_KIN3c108BFloat16ELb0EEvPKvS3_PT_iiiii,comdat
	.globl	_ZL12mul_mat_q5_KIN3c108BFloat16ELb0EEvPKvS3_PT_iiiii ; -- Begin function _ZL12mul_mat_q5_KIN3c108BFloat16ELb0EEvPKvS3_PT_iiiii
	.p2align	8
	.type	_ZL12mul_mat_q5_KIN3c108BFloat16ELb0EEvPKvS3_PT_iiiii,@function
_ZL12mul_mat_q5_KIN3c108BFloat16ELb0EEvPKvS3_PT_iiiii: ; @_ZL12mul_mat_q5_KIN3c108BFloat16ELb0EEvPKvS3_PT_iiiii
; %bb.0:
	s_load_dword s7, s[0:1], 0x18
	s_load_dwordx4 s[8:11], s[0:1], 0x20
	s_waitcnt lgkmcnt(0)
	s_lshl_b32 s11, s3, 6
	v_bfe_u32 v10, v0, 10, 10
	s_cmpk_gt_i32 s7, 0xff
	s_cbranch_scc1 .LBB173_2
; %bb.1:
	v_bfe_u32 v1, v0, 10, 10
	v_and_b32_e32 v49, 0x3ff, v0
	v_add_u32_e32 v2, s11, v1
	s_mov_b64 s[4:5], 0
	s_mov_b32 s3, 0
	s_branch .LBB173_3
.LBB173_2:
	s_mov_b64 s[4:5], -1
                                        ; implicit-def: $sgpr3
                                        ; implicit-def: $vgpr1
                                        ; implicit-def: $vgpr49
                                        ; implicit-def: $vgpr2
.LBB173_3:
	s_load_dwordx2 s[12:13], s[0:1], 0x10
	s_lshl_b32 s6, s2, 7
	s_andn2_b64 vcc, exec, s[4:5]
	v_mov_b32_e32 v17, s3
	v_mov_b32_e32 v16, s3
	;; [unrolled: 1-line block ×32, first 2 shown]
	s_cbranch_vccnz .LBB173_11
; %bb.4:
	s_ashr_i32 s4, s7, 31
	s_lshr_b32 s4, s4, 24
	s_load_dwordx4 s[0:3], s[0:1], 0x0
	s_add_i32 s7, s7, s4
	s_ashr_i32 s4, s9, 31
	s_lshr_b32 s4, s4, 27
	s_ashr_i32 s7, s7, 8
	s_add_i32 s4, s9, s4
	s_ashr_i32 s16, s4, 5
	s_mul_i32 s4, s7, s6
	v_and_b32_e32 v49, 0x3ff, v0
	s_mul_hi_i32 s5, s4, 0xb0
	s_mulk_i32 s4, 0xb0
	v_lshlrev_b32_e32 v0, 1, v49
	v_and_b32_e32 v2, 7, v49
	s_waitcnt lgkmcnt(0)
	s_add_u32 s14, s0, s4
	v_lshlrev_b32_e32 v3, 2, v49
	v_and_or_b32 v0, v0, 48, v2
	v_mul_i32_i24_e32 v2, s7, v10
	s_addc_u32 s15, s1, s5
	scratch_store_dwordx2 off, v[2:3], off  ; 8-byte Folded Spill
	v_mul_u32_u24_e32 v2, 0x41, v10
	s_lshl_b32 s1, s7, 3
	v_add_lshl_u32 v63, v0, v2, 2
	v_mov_b32_e32 v0, s1
	v_mad_i32_i24 v56, s7, v10, v0
	v_add_u32_e32 v58, s1, v56
	v_add_u32_e32 v60, s1, v58
	;; [unrolled: 1-line block ×13, first 2 shown]
	v_lshrrev_b32_e32 v1, 2, v49
	v_add_u32_e32 v0, s1, v82
	v_lshlrev_b32_e32 v119, 5, v10
	scratch_store_dwordx2 off, v[0:1], off offset:8 ; 8-byte Folded Spill
	v_add_u32_e32 v0, v119, v49
	v_and_b32_e32 v2, 0x7f, v0
	v_lshrrev_b32_e32 v0, 3, v0
	v_mul_i32_i24_e32 v4, s7, v2
	v_and_b32_e32 v0, 12, v0
	v_lshlrev_b32_e32 v2, 2, v2
	s_mov_b32 s1, 0xae40
	v_add3_u32 v135, v2, v0, s1
	v_and_b32_e32 v0, 3, v49
	v_add_u32_e32 v2, 0xfe, v0
	v_cmp_gt_u32_e32 vcc, 2, v0
	scratch_store_dwordx2 off, v[4:5], off offset:16 ; 8-byte Folded Spill
	v_lshlrev_b32_e32 v5, 3, v10
	v_cndmask_b32_e32 v2, v2, v0, vcc
	v_and_b32_e32 v59, 6, v1
	v_add_u32_e32 v8, v1, v5
	v_and_b32_e32 v6, 0xff, v2
	v_cmp_ne_u32_e32 vcc, 0, v0
	v_add_u16_e32 v1, v1, v5
	v_lshlrev_b32_e32 v143, 1, v6
	v_addc_co_u32_e32 v2, vcc, 0, v6, vcc
	v_and_b32_e32 v6, 0x7f, v8
	v_lshlrev_b32_e32 v9, 2, v0
	v_lshrrev_b16_e32 v1, 1, v1
	v_lshl_or_b32 v7, v6, 4, v9
	v_and_b32_e32 v1, 60, v1
	s_mov_b32 s4, 0xa200
	v_add3_u32 v165, v7, v1, s4
	v_xor_b32_e32 v1, 64, v6
	v_mul_i32_i24_e32 v90, s7, v1
	v_lshl_or_b32 v5, v1, 4, v9
	v_lshrrev_b32_e32 v1, 1, v1
	v_and_b32_e32 v1, 60, v1
	v_add3_u32 v167, v5, v1, s4
	v_and_b32_e32 v1, 63, v8
	s_add_i32 s4, s8, -1
	v_or_b32_e32 v8, s11, v1
	v_min_i32_e32 v8, s4, v8
	v_cmp_lt_u32_e32 vcc, 1, v0
	v_mul_i32_i24_e32 v88, s7, v6
	v_add_u32_e32 v11, s11, v10
	v_cvt_f64_i32_e32 v[6:7], s4
	v_mad_u64_u32 v[94:95], s[4:5], v8, s16, v[0:1]
	v_lshl_or_b32 v0, v1, 4, v9
	v_add_u32_e32 v95, 0xaa40, v0
	v_cvt_f64_u32_e32 v[0:1], v11
	v_min_f64 v[0:1], v[0:1], v[6:7]
	v_and_b32_e32 v5, 31, v49
	v_cvt_i32_f64_e32 v0, v[0:1]
	v_mul_lo_u32 v206, s16, v0
	v_or_b32_e32 v0, v119, v5
	v_mov_b32_e32 v8, 0x8200
	v_lshl_add_u32 v207, v0, 2, v8
	v_add_u32_e32 v0, 8, v11
	v_cvt_f64_u32_e32 v[0:1], v0
	v_min_f64 v[0:1], v[0:1], v[6:7]
	v_cvt_i32_f64_e32 v0, v[0:1]
	v_add_u32_e32 v209, 0x100, v119
	v_mul_lo_u32 v208, s16, v0
	v_or_b32_e32 v0, v209, v5
	v_lshl_add_u32 v210, v0, 2, v8
	v_add_u32_e32 v0, 16, v11
	v_cvt_f64_u32_e32 v[0:1], v0
	v_min_f64 v[0:1], v[0:1], v[6:7]
	v_cvt_i32_f64_e32 v0, v[0:1]
	v_add_u32_e32 v212, 0x200, v119
	v_mul_lo_u32 v211, s16, v0
	v_or_b32_e32 v0, v212, v5
	;; [unrolled: 8-line block ×6, first 2 shown]
	v_lshl_add_u32 v225, v0, 2, v8
	v_add_u32_e32 v0, 56, v11
	v_cvt_f64_u32_e32 v[0:1], v0
	v_min_f64 v[0:1], v[0:1], v[6:7]
	v_cvt_i32_f64_e32 v0, v[0:1]
	v_add_u32_e32 v227, 0x700, v119
	v_lshrrev_b32_e32 v48, 5, v49
	v_mul_lo_u32 v226, s16, v0
	v_or_b32_e32 v0, v227, v5
	v_lshl_add_u32 v228, v0, 2, v8
	v_lshlrev_b32_e32 v0, 2, v48
	v_add3_u32 v229, v0, v3, s1
	v_add_u32_e32 v0, 32, v49
	v_lshrrev_b32_e32 v230, 3, v0
	v_lshlrev_b32_e32 v1, 2, v0
	v_and_b32_e32 v0, 60, v230
	v_add3_u32 v231, v3, v0, s1
	v_add_u32_e32 v0, 64, v49
	v_lshlrev_b32_e32 v5, 2, v0
	v_lshrrev_b32_e32 v0, 3, v0
	v_and_b32_e32 v6, 60, v0
	v_add3_u32 v232, v3, v6, s1
	v_add_u32_e32 v6, 0x60, v49
	v_lshlrev_b32_e32 v7, 2, v6
	v_lshrrev_b32_e32 v6, 3, v6
	v_and_b32_e32 v8, 60, v6
	v_add3_u32 v233, v3, v8, s1
	s_movk_i32 s1, 0x104
	v_mov_b32_e32 v8, 0x2080
	v_mad_u32_u24 v235, v49, s1, v8
	v_mov_b32_e32 v8, 0x4100
	s_mov_b32 s0, 0
	v_mad_u32_u24 v236, v49, s1, v8
	v_mov_b32_e32 v8, 0x6180
	v_mov_b32_e32 v51, 0
	v_and_b32_e32 v4, 4, v3
	v_mad_u32_u24 v237, v49, s1, v8
	s_mov_b32 s1, s0
	v_and_b32_e32 v52, 28, v3
	v_mov_b32_e32 v53, v51
	v_cndmask_b32_e32 v137, 0, v4, vcc
	v_cndmask_b32_e64 v4, 0, 1, vcc
	v_lshrrev_b32_e32 v189, 3, v49
	v_mov_b64_e32 v[46:47], s[0:1]
	s_movk_i32 s9, 0xb0
	v_and_b32_e32 v50, 0x7c, v3
	v_or_b32_e32 v61, 1, v59
	v_add_u32_e32 v81, 0x4920, v63
	v_add_u32_e32 v83, 0x5140, v63
	;; [unrolled: 1-line block ×7, first 2 shown]
	v_lshl_add_u64 v[92:93], s[2:3], 0, v[52:53]
	v_mul_u32_u24_e32 v234, 0x104, v49
	s_mov_b32 s1, 0x10101010
	v_lshlrev_b32_e32 v96, 2, v2
	v_lshlrev_b32_e32 v98, 2, v4
	s_mov_b32 s16, 0x30303030
	v_mov_b32_e32 v97, v51
	v_mov_b32_e32 v99, v51
	v_lshlrev_b32_e32 v238, 2, v189
	v_lshlrev_b32_e32 v239, 2, v3
	v_lshlrev_b32_e32 v240, 2, v230
	v_lshlrev_b32_e32 v241, 2, v1
	v_lshlrev_b32_e32 v242, 2, v0
	v_lshlrev_b32_e32 v243, 2, v5
	v_lshlrev_b32_e32 v244, 2, v6
	v_lshlrev_b32_e32 v245, 2, v7
	v_mov_b64_e32 v[38:39], v[46:47]
	v_mov_b64_e32 v[30:31], v[46:47]
	;; [unrolled: 1-line block ×15, first 2 shown]
	scratch_store_dword off, v10, off offset:24 ; 4-byte Folded Spill
	scratch_store_dword off, v11, off offset:28 ; 4-byte Folded Spill
.LBB173_5:                              ; =>This Loop Header: Depth=1
                                        ;     Child Loop BB173_6 Depth 2
                                        ;     Child Loop BB173_8 Depth 2
	scratch_load_dwordx2 v[4:5], off, off   ; 8-byte Folded Reload
	s_mul_i32 s4, s0, 0xb0
	s_mul_hi_u32 s5, s0, 0xb0
	s_add_u32 s4, s14, s4
	s_addc_u32 s5, s15, s5
	v_mov_b64_e32 v[0:1], s[4:5]
	v_mad_u64_u32 v[2:3], s[4:5], v48, s9, v[0:1]
	v_mad_u64_u32 v[8:9], s[4:5], v56, s9, v[2:3]
	v_lshl_add_u64 v[10:11], v[8:9], 0, v[50:51]
	s_lshl_b32 s17, s0, 3
	v_add_u32_e32 v246, s17, v94
	s_mov_b32 s19, 0
	s_waitcnt vmcnt(0)
	v_mad_u64_u32 v[4:5], s[4:5], v4, s9, v[2:3]
	v_lshl_add_u64 v[6:7], v[4:5], 0, v[50:51]
	v_lshl_add_u64 v[4:5], v[4:5], 0, v[52:53]
	global_load_dword v12, v[6:7], off offset:48
	v_lshl_add_u64 v[6:7], v[8:9], 0, v[52:53]
	global_load_dword v13, v[4:5], off offset:16
	global_load_dword v14, v[10:11], off offset:48
	;; [unrolled: 1-line block ×3, first 2 shown]
	v_mad_u64_u32 v[4:5], s[4:5], v58, s9, v[2:3]
	v_lshl_add_u64 v[6:7], v[4:5], 0, v[50:51]
	v_lshl_add_u64 v[4:5], v[4:5], 0, v[52:53]
	global_load_dword v54, v[6:7], off offset:48
	global_load_dword v55, v[4:5], off offset:16
	v_mad_u64_u32 v[4:5], s[4:5], v60, s9, v[2:3]
	v_lshl_add_u64 v[6:7], v[4:5], 0, v[50:51]
	v_lshl_add_u64 v[4:5], v[4:5], 0, v[52:53]
	global_load_dword v57, v[6:7], off offset:48
	global_load_dword v84, v[4:5], off offset:16
	;; [unrolled: 5-line block ×6, first 2 shown]
	v_mad_u64_u32 v[4:5], s[4:5], v70, s9, v[2:3]
	v_lshl_add_u64 v[10:11], v[4:5], 0, v[50:51]
	v_lshl_add_u64 v[4:5], v[4:5], 0, v[52:53]
	global_load_dword v111, v[10:11], off offset:48
	v_mad_u64_u32 v[8:9], s[4:5], v72, s9, v[2:3]
	v_lshl_add_u64 v[6:7], v[8:9], 0, v[50:51]
	s_waitcnt vmcnt(16)
	v_and_b32_e32 v105, 0xf0f0f0f, v12
	v_lshrrev_b32_e32 v12, 4, v12
	s_waitcnt vmcnt(15)
	v_ashrrev_i32_e32 v106, v59, v13
	v_ashrrev_i32_e32 v13, v61, v13
	s_waitcnt vmcnt(14)
	v_and_b32_e32 v107, 0xf0f0f0f, v14
	v_lshrrev_b32_e32 v14, 4, v14
	s_waitcnt vmcnt(13)
	v_ashrrev_i32_e32 v108, v59, v15
	v_ashrrev_i32_e32 v15, v61, v15
	v_and_b32_e32 v12, 0xf0f0f0f, v12
	v_lshlrev_b32_e32 v106, 4, v106
	v_lshlrev_b32_e32 v13, 4, v13
	v_and_b32_e32 v14, 0xf0f0f0f, v14
	v_lshlrev_b32_e32 v108, 4, v108
	v_lshlrev_b32_e32 v10, 4, v15
	global_load_dword v15, v[4:5], off offset:16
	v_and_or_b32 v4, v106, s1, v105
	v_and_or_b32 v5, v13, s1, v12
	v_and_or_b32 v12, v108, s1, v107
	v_and_or_b32 v10, v10, s1, v14
	ds_write2_b32 v63, v4, v5 offset1:8
	v_add_u32_e32 v4, 0x820, v63
	s_waitcnt vmcnt(13)
	v_and_b32_e32 v109, 0xf0f0f0f, v54
	v_lshrrev_b32_e32 v54, 4, v54
	s_waitcnt vmcnt(12)
	v_ashrrev_i32_e32 v110, v59, v55
	v_ashrrev_i32_e32 v55, v61, v55
	ds_write2_b32 v4, v12, v10 offset1:8
	v_lshl_add_u64 v[4:5], v[8:9], 0, v[52:53]
	v_and_b32_e32 v11, 0xf0f0f0f, v54
	v_lshlrev_b32_e32 v54, 4, v110
	global_load_dword v13, v[6:7], off offset:48
	global_load_dword v12, v[4:5], off offset:16
	v_lshlrev_b32_e32 v4, 4, v55
	v_and_or_b32 v5, v54, s1, v109
	v_and_or_b32 v4, v4, s1, v11
	v_add_u32_e32 v6, 0x1040, v63
	ds_write2_b32 v6, v5, v4 offset1:8
	s_waitcnt vmcnt(13)
	v_lshrrev_b32_e32 v5, 4, v57
	s_waitcnt vmcnt(12)
	v_ashrrev_i32_e32 v6, v59, v84
	v_ashrrev_i32_e32 v7, v61, v84
	v_and_b32_e32 v4, 0xf0f0f0f, v57
	v_and_b32_e32 v5, 0xf0f0f0f, v5
	v_lshlrev_b32_e32 v6, 4, v6
	v_lshlrev_b32_e32 v7, 4, v7
	v_and_or_b32 v4, v6, s1, v4
	v_and_or_b32 v5, v7, s1, v5
	v_add_u32_e32 v6, 0x1860, v63
	ds_write2_b32 v6, v4, v5 offset1:8
	s_waitcnt vmcnt(11)
	v_lshrrev_b32_e32 v5, 4, v85
	s_waitcnt vmcnt(10)
	v_ashrrev_i32_e32 v6, v59, v86
	v_ashrrev_i32_e32 v7, v61, v86
	v_and_b32_e32 v4, 0xf0f0f0f, v85
	v_and_b32_e32 v5, 0xf0f0f0f, v5
	v_lshlrev_b32_e32 v6, 4, v6
	;; [unrolled: 13-line block ×4, first 2 shown]
	v_lshlrev_b32_e32 v7, 4, v7
	v_and_or_b32 v4, v6, s1, v4
	v_and_or_b32 v5, v7, s1, v5
	v_add_u32_e32 v6, 0x30c0, v63
	ds_write2_b32 v6, v4, v5 offset1:8
	s_waitcnt vmcnt(4)
	v_lshrrev_b32_e32 v5, 4, v103
	v_ashrrev_i32_e32 v6, v59, v104
	v_ashrrev_i32_e32 v7, v61, v104
	v_and_b32_e32 v4, 0xf0f0f0f, v103
	v_and_b32_e32 v5, 0xf0f0f0f, v5
	v_lshlrev_b32_e32 v6, 4, v6
	v_lshlrev_b32_e32 v7, 4, v7
	v_and_or_b32 v4, v6, s1, v4
	v_and_or_b32 v5, v7, s1, v5
	v_add_u32_e32 v6, 0x38e0, v63
	ds_write2_b32 v6, v4, v5 offset1:8
	v_mad_u64_u32 v[4:5], s[4:5], v74, s9, v[2:3]
	v_lshl_add_u64 v[6:7], v[4:5], 0, v[50:51]
	v_mad_u64_u32 v[8:9], s[4:5], v76, s9, v[2:3]
	v_lshl_add_u64 v[4:5], v[4:5], 0, v[52:53]
	v_lshl_add_u64 v[10:11], v[8:9], 0, v[50:51]
	;; [unrolled: 1-line block ×3, first 2 shown]
	global_load_dword v57, v[6:7], off offset:48
	global_load_dword v84, v[4:5], off offset:16
	;; [unrolled: 1-line block ×4, first 2 shown]
	scratch_load_dwordx2 v[54:55], off, off offset:8 ; 8-byte Folded Reload
	s_waitcnt vmcnt(8)
	v_lshrrev_b32_e32 v5, 4, v111
	s_waitcnt vmcnt(7)
	v_ashrrev_i32_e32 v6, v59, v15
	v_ashrrev_i32_e32 v7, v61, v15
	v_and_b32_e32 v4, 0xf0f0f0f, v111
	v_and_b32_e32 v5, 0xf0f0f0f, v5
	v_lshlrev_b32_e32 v6, 4, v6
	v_lshlrev_b32_e32 v7, 4, v7
	v_and_or_b32 v4, v6, s1, v4
	v_and_or_b32 v5, v7, s1, v5
	v_add_u32_e32 v6, 0x4100, v63
	ds_write2_b32 v6, v4, v5 offset1:8
	s_waitcnt vmcnt(6)
	v_lshrrev_b32_e32 v5, 4, v13
	s_waitcnt vmcnt(5)
	v_ashrrev_i32_e32 v6, v59, v12
	v_ashrrev_i32_e32 v7, v61, v12
	v_and_b32_e32 v4, 0xf0f0f0f, v13
	v_and_b32_e32 v5, 0xf0f0f0f, v5
	v_lshlrev_b32_e32 v6, 4, v6
	v_lshlrev_b32_e32 v7, 4, v7
	v_and_or_b32 v4, v6, s1, v4
	v_and_or_b32 v5, v7, s1, v5
	ds_write2_b32 v81, v4, v5 offset1:8
	v_mad_u64_u32 v[4:5], s[4:5], v78, s9, v[2:3]
	v_mad_u64_u32 v[8:9], s[4:5], v80, s9, v[2:3]
	;; [unrolled: 1-line block ×3, first 2 shown]
	v_lshl_add_u64 v[6:7], v[4:5], 0, v[50:51]
	v_lshl_add_u64 v[4:5], v[4:5], 0, v[52:53]
	;; [unrolled: 1-line block ×6, first 2 shown]
	s_waitcnt vmcnt(0)
	v_mad_u64_u32 v[2:3], s[4:5], v54, s9, v[2:3]
	v_lshl_add_u64 v[54:55], v[2:3], 0, v[50:51]
	v_lshl_add_u64 v[2:3], v[2:3], 0, v[52:53]
	global_load_dword v87, v[6:7], off offset:48
	global_load_dword v100, v[4:5], off offset:16
	global_load_dword v101, v[10:11], off offset:48
	global_load_dword v102, v[8:9], off offset:16
	global_load_dword v103, v[14:15], off offset:48
	global_load_dword v104, v[12:13], off offset:16
	s_nop 0
	global_load_dword v54, v[54:55], off offset:48
	s_nop 0
	global_load_dword v55, v[2:3], off offset:16
	s_nop 0
	scratch_load_dwordx2 v[2:3], off, off offset:16 ; 8-byte Folded Reload
	v_mad_u64_u32 v[4:5], s[4:5], v88, s9, v[0:1]
	v_lshl_add_u64 v[4:5], v[4:5], 0, 4
	v_lshl_add_u64 v[6:7], v[4:5], 0, v[96:97]
	v_lshl_add_u64 v[4:5], v[4:5], 0, v[98:99]
	v_add_u32_e32 v14, s17, v189
	v_add_u32_e32 v10, v14, v220
	v_add_u32_e32 v12, v14, v223
	v_mad_i64_i32 v[10:11], s[4:5], v10, 36, v[92:93]
	v_mad_i64_i32 v[12:13], s[4:5], v12, 36, v[92:93]
	s_waitcnt vmcnt(0)
	v_mad_u64_u32 v[2:3], s[4:5], v2, s9, v[0:1]
	v_mad_u64_u32 v[0:1], s[4:5], v90, s9, v[0:1]
	v_lshl_add_u64 v[0:1], v[0:1], 0, 4
	v_lshl_add_u64 v[8:9], v[0:1], 0, v[96:97]
	v_lshl_add_u64 v[0:1], v[0:1], 0, v[98:99]
	global_load_dword v105, v[2:3], off
	global_load_dword v106, v[6:7], off
	;; [unrolled: 1-line block ×5, first 2 shown]
	v_add_u32_e32 v0, v14, v206
	v_add_u32_e32 v2, v14, v208
	v_add_u32_e32 v4, v14, v211
	v_add_u32_e32 v6, v14, v214
	v_add_u32_e32 v8, v14, v217
	v_mad_i64_i32 v[0:1], s[4:5], v0, 36, v[92:93]
	v_mad_i64_i32 v[2:3], s[4:5], v2, 36, v[92:93]
	;; [unrolled: 1-line block ×5, first 2 shown]
	v_add_u32_e32 v14, v14, v226
	v_mad_i64_i32 v[14:15], s[4:5], v14, 36, v[92:93]
	global_load_dword v110, v[0:1], off offset:4
	s_nop 0
	global_load_dword v2, v[2:3], off offset:4
	s_nop 0
	;; [unrolled: 2-line block ×3, first 2 shown]
	global_load_dword v4, v[6:7], off offset:4
	global_load_dword v5, v[8:9], off offset:4
	s_nop 0
	global_load_dword v6, v[10:11], off offset:4
	global_load_dword v7, v[12:13], off offset:4
	;; [unrolled: 1-line block ×3, first 2 shown]
	v_mad_u64_u32 v[0:1], s[4:5], v246, 36, s[2:3]
	global_load_dword v0, v[0:1], off
	v_lshrrev_b32_e32 v9, 4, v57
	v_ashrrev_i32_e32 v10, v59, v84
	v_ashrrev_i32_e32 v11, v61, v84
	v_and_b32_e32 v1, 0xf0f0f0f, v57
	v_and_b32_e32 v9, 0xf0f0f0f, v9
	v_lshlrev_b32_e32 v10, 4, v10
	v_lshlrev_b32_e32 v11, 4, v11
	v_and_or_b32 v1, v10, s1, v1
	v_and_or_b32 v9, v11, s1, v9
	ds_write2_b32 v83, v1, v9 offset1:8
	v_lshrrev_b32_e32 v9, 4, v85
	v_ashrrev_i32_e32 v10, v59, v86
	v_ashrrev_i32_e32 v11, v61, v86
	v_and_b32_e32 v1, 0xf0f0f0f, v85
	v_and_b32_e32 v9, 0xf0f0f0f, v9
	v_lshlrev_b32_e32 v10, 4, v10
	v_lshlrev_b32_e32 v11, 4, v11
	v_and_or_b32 v1, v10, s1, v1
	v_and_or_b32 v9, v11, s1, v9
	ds_write2_b32 v65, v1, v9 offset1:8
	;; [unrolled: 10-line block ×6, first 2 shown]
	s_waitcnt vmcnt(13)
	ds_write_b32 v135, v105
	s_waitcnt vmcnt(12)
	v_ashrrev_i32_e32 v1, v137, v106
	v_and_b32_e32 v1, 0xf0f0f0f, v1
	s_waitcnt vmcnt(11)
	v_ashrrev_i32_e32 v9, v143, v107
	v_and_or_b32 v1, v9, s16, v1
	ds_write_b32 v165, v1
	s_waitcnt vmcnt(10)
	v_ashrrev_i32_e32 v1, v137, v108
	v_and_b32_e32 v1, 0xf0f0f0f, v1
	s_waitcnt vmcnt(9)
	v_ashrrev_i32_e32 v9, v143, v109
	v_and_or_b32 v1, v9, s16, v1
	ds_write_b32 v167, v1
	s_waitcnt vmcnt(8)
	ds_write_b32 v207, v110
	s_waitcnt vmcnt(7)
	;; [unrolled: 2-line block ×9, first 2 shown]
	ds_write_b32 v95, v0
	s_waitcnt lgkmcnt(0)
	s_barrier
	ds_read_b32 v0, v229
	ds_read_b32 v1, v231 offset:128
	ds_read_b32 v2, v232 offset:256
	;; [unrolled: 1-line block ×3, first 2 shown]
	s_mov_b64 s[4:5], -1
	s_waitcnt lgkmcnt(3)
	v_cvt_f32_f16_e32 v100, v0
	v_cvt_f32_f16_sdwa v102, v0 dst_sel:DWORD dst_unused:UNUSED_PAD src0_sel:WORD_1
	s_waitcnt lgkmcnt(2)
	v_cvt_f32_f16_e32 v104, v1
	v_cvt_f32_f16_sdwa v106, v1 dst_sel:DWORD dst_unused:UNUSED_PAD src0_sel:WORD_1
	;; [unrolled: 3-line block ×4, first 2 shown]
	v_mov_b32_e32 v101, v100
	v_mov_b32_e32 v103, v102
	v_mov_b32_e32 v105, v104
	v_mov_b32_e32 v107, v106
	v_mov_b32_e32 v109, v108
	v_mov_b32_e32 v111, v110
	v_mov_b32_e32 v113, v112
	v_mov_b32_e32 v115, v114
.LBB173_6:                              ;   Parent Loop BB173_5 Depth=1
                                        ; =>  This Inner Loop Header: Depth=2
	s_lshr_b32 s20, s19, 2
	s_lshl_b32 s18, s19, 1
	s_add_i32 s20, s20, 0xa200
	v_or_b32_e32 v0, s18, v119
	s_lshl_b32 s19, s19, 3
	v_lshlrev_b32_e32 v1, 2, v0
	v_add3_u32 v55, s20, v238, v239
	v_add_u32_e32 v57, s19, v234
	v_lshrrev_b32_e32 v54, 1, v0
	ds_read_b128 v[12:15], v1 offset:33280
	ds_read_b128 v[8:11], v1 offset:33296
	ds_read_b128 v[4:7], v1 offset:33312
	ds_read_b128 v[0:3], v1 offset:33328
	ds_read_b64 v[196:197], v54 offset:43584
	ds_read2_b32 v[168:169], v57 offset1:1
	ds_read2_b32 v[178:179], v57 offset0:2 offset1:3
	ds_read2_b32 v[182:183], v57 offset0:4 offset1:5
	;; [unrolled: 1-line block ×3, first 2 shown]
	ds_read_u16 v84, v55
	ds_read_u8 v85, v55 offset:8
	ds_read_u8 v55, v55 offset:9
	ds_read2_b32 v[162:163], v57 offset0:8 offset1:9
	ds_read2_b32 v[190:191], v57 offset0:10 offset1:11
	;; [unrolled: 1-line block ×4, first 2 shown]
	s_waitcnt lgkmcnt(4)
	v_cvt_f32_ubyte0_e32 v188, v55
	v_add3_u32 v55, s20, v240, v241
	v_add_u32_e32 v57, s19, v235
	v_and_b32_e32 v251, 0xff, v84
	v_cvt_f32_ubyte0_e32 v142, v85
	v_lshrrev_b16_e32 v254, 8, v84
	ds_read2_b32 v[128:129], v57 offset1:1
	ds_read2_b32 v[144:145], v57 offset0:2 offset1:3
	ds_read2_b32 v[146:147], v57 offset0:4 offset1:5
	;; [unrolled: 1-line block ×3, first 2 shown]
	ds_read_u16 v84, v55
	ds_read_u8 v85, v55 offset:8
	ds_read_u8 v55, v55 offset:9
	ds_read2_b32 v[138:139], v57 offset0:8 offset1:9
	ds_read2_b32 v[170:171], v57 offset0:10 offset1:11
	;; [unrolled: 1-line block ×4, first 2 shown]
	s_waitcnt lgkmcnt(6)
	v_and_b32_e32 v249, 0xff, v84
	v_lshrrev_b16_e32 v252, 8, v84
	v_add3_u32 v57, s20, v242, v243
	v_add_u32_e32 v84, s19, v236
	s_waitcnt lgkmcnt(5)
	v_cvt_f32_ubyte0_e32 v134, v85
	ds_read2_b32 v[130:131], v84 offset1:1
	ds_read2_b32 v[150:151], v84 offset0:2 offset1:3
	ds_read2_b32 v[152:153], v84 offset0:4 offset1:5
	;; [unrolled: 1-line block ×3, first 2 shown]
	ds_read_u16 v85, v57
	ds_read_u8 v87, v57 offset:8
	ds_read_u8 v57, v57 offset:9
	v_mov_b32_e32 v54, 0
	v_mov_b32_e32 v255, 0
	s_waitcnt lgkmcnt(2)
	v_and_b32_e32 v250, 0xff, v85
	v_lshrrev_b16_e32 v253, 8, v85
	v_add_u32_e32 v85, s19, v237
	ds_read2_b32 v[132:133], v85 offset1:1
	ds_read2_b32 v[156:157], v85 offset0:2 offset1:3
	ds_read2_b32 v[158:159], v85 offset0:4 offset1:5
	;; [unrolled: 1-line block ×3, first 2 shown]
	v_cvt_f32_ubyte0_e32 v164, v55
	v_mov_b32_e32 v55, 0
	s_waitcnt lgkmcnt(4)
	v_cvt_f32_ubyte0_e32 v166, v57
	v_mov_b32_e32 v57, 0
	v_dot4c_i32_i8_e32 v54, v168, v12
	v_dot4c_i32_i8_e32 v255, v128, v12
	;; [unrolled: 1-line block ×3, first 2 shown]
	s_waitcnt lgkmcnt(3)
	v_dot4c_i32_i8_e32 v57, v132, v12
	v_dot4c_i32_i8_e32 v54, v169, v13
	;; [unrolled: 1-line block ×8, first 2 shown]
	s_waitcnt lgkmcnt(2)
	v_dot4c_i32_i8_e32 v57, v156, v14
	v_dot4c_i32_i8_e32 v54, v179, v15
	;; [unrolled: 1-line block ×8, first 2 shown]
	s_waitcnt lgkmcnt(1)
	v_dot4c_i32_i8_e32 v57, v158, v8
	v_dot4c_i32_i8_e32 v54, v183, v9
	;; [unrolled: 1-line block ×4, first 2 shown]
	ds_read2_b32 v[140:141], v84 offset0:8 offset1:9
	ds_read2_b32 v[176:177], v84 offset0:10 offset1:11
	;; [unrolled: 1-line block ×4, first 2 shown]
	v_add3_u32 v84, s20, v244, v245
	v_dot4c_i32_i8_e32 v57, v159, v9
	v_dot4c_i32_i8_e32 v54, v186, v10
	;; [unrolled: 1-line block ×4, first 2 shown]
	s_waitcnt lgkmcnt(4)
	v_dot4c_i32_i8_e32 v57, v160, v10
	ds_read_u16 v8, v84
	ds_read_u8 v9, v84 offset:8
	ds_read_u8 v10, v84 offset:9
	ds_read2_b32 v[126:127], v85 offset0:8 offset1:9
	ds_read2_b32 v[120:121], v85 offset0:10 offset1:11
	ds_read2_b32 v[122:123], v85 offset0:12 offset1:13
	ds_read2_b32 v[124:125], v85 offset0:14 offset1:15
	v_mov_b32_e32 v86, 0
	v_mov_b32_e32 v69, 0
	v_mov_b32_e32 v71, 0
	v_mov_b32_e32 v73, 0
	v_dot4c_i32_i8_e32 v86, v162, v4
	v_dot4c_i32_i8_e32 v69, v138, v4
	s_waitcnt lgkmcnt(10)
	v_dot4c_i32_i8_e32 v71, v140, v4
	s_waitcnt lgkmcnt(3)
	v_dot4c_i32_i8_e32 v73, v126, v4
	v_dot4c_i32_i8_e32 v86, v163, v5
	;; [unrolled: 1-line block ×8, first 2 shown]
	s_waitcnt lgkmcnt(2)
	v_dot4c_i32_i8_e32 v73, v120, v6
	v_dot4c_i32_i8_e32 v86, v191, v7
	;; [unrolled: 1-line block ×8, first 2 shown]
	s_waitcnt lgkmcnt(1)
	v_dot4c_i32_i8_e32 v73, v122, v0
	v_dot4c_i32_i8_e32 v86, v193, v1
	;; [unrolled: 1-line block ×5, first 2 shown]
	v_or_b32_e32 v0, s18, v209
	v_dot4c_i32_i8_e32 v86, v194, v2
	v_dot4c_i32_i8_e32 v69, v174, v2
	;; [unrolled: 1-line block ×3, first 2 shown]
	s_waitcnt lgkmcnt(0)
	v_dot4c_i32_i8_e32 v73, v124, v2
	v_lshlrev_b32_e32 v1, 2, v0
	v_dot4c_i32_i8_e32 v54, v187, v11
	v_dot4c_i32_i8_e32 v86, v195, v3
	;; [unrolled: 1-line block ×7, first 2 shown]
	v_and_b32_e32 v248, 0xff, v8
	v_cvt_f32_ubyte0_e32 v118, v9
	v_dot4c_i32_i8_e32 v73, v125, v3
	v_lshrrev_b16_e32 v247, 8, v8
	v_cvt_f32_ubyte0_e32 v116, v10
	v_lshrrev_b32_e32 v84, 1, v0
	ds_read_b128 v[12:15], v1 offset:33280
	ds_read_b128 v[8:11], v1 offset:33296
	;; [unrolled: 1-line block ×4, first 2 shown]
	ds_read_b64 v[200:201], v84 offset:43584
	v_mov_b32_e32 v84, 0
	v_cvt_f32_ubyte0_e32 v136, v87
	s_waitcnt lgkmcnt(4)
	v_dot4c_i32_i8_e32 v84, v168, v12
	v_mov_b32_e32 v87, 0
	v_dot4c_i32_i8_e32 v84, v169, v13
	s_waitcnt lgkmcnt(2)
	v_dot4c_i32_i8_e32 v87, v162, v4
	v_dot4c_i32_i8_e32 v84, v178, v14
	v_dot4c_i32_i8_e32 v87, v163, v5
	v_dot4c_i32_i8_e32 v84, v179, v15
	v_dot4c_i32_i8_e32 v87, v190, v6
	v_dot4c_i32_i8_e32 v84, v182, v8
	v_dot4c_i32_i8_e32 v87, v191, v7
	v_dot4c_i32_i8_e32 v84, v183, v9
	s_waitcnt lgkmcnt(1)
	v_dot4c_i32_i8_e32 v87, v192, v0
	v_dot4c_i32_i8_e32 v84, v186, v10
	;; [unrolled: 1-line block ×6, first 2 shown]
	v_mul_lo_u32 v54, v54, v251
	v_mul_lo_u32 v84, v84, v251
	s_waitcnt lgkmcnt(0)
	v_cvt_f32_f16_e32 v203, v200
	v_cvt_f32_f16_e32 v202, v196
	v_cvt_f32_f16_sdwa v205, v200 dst_sel:DWORD dst_unused:UNUSED_PAD src0_sel:WORD_1
	v_cvt_f32_f16_sdwa v204, v196 dst_sel:DWORD dst_unused:UNUSED_PAD src0_sel:WORD_1
	v_cvt_f32_f16_e32 v198, v197
	v_cvt_f32_f16_sdwa v200, v197 dst_sel:DWORD dst_unused:UNUSED_PAD src0_sel:WORD_1
	v_cvt_f32_i32_e32 v197, v84
	v_cvt_f32_i32_e32 v196, v54
	v_mul_lo_u32 v54, v86, v254
	v_mul_lo_u32 v86, v87, v254
	v_cvt_f32_f16_e32 v199, v201
	v_cvt_f32_i32_e32 v87, v86
	v_cvt_f32_i32_e32 v86, v54
	v_mov_b32_e32 v54, 0
	v_pk_fma_f32 v[196:197], v[202:203], v[196:197], 0 op_sel_hi:[1,1,0]
	v_dot4c_i32_i8_e32 v54, v128, v12
	v_pk_fma_f32 v[86:87], v[198:199], v[86:87], v[196:197]
	v_dot4c_i32_i8_e32 v54, v129, v13
	v_mov_b32_e32 v196, 0
	v_cvt_f32_f16_sdwa v201, v201 dst_sel:DWORD dst_unused:UNUSED_PAD src0_sel:WORD_1
	v_dot4c_i32_i8_e32 v54, v144, v14
	v_dot4c_i32_i8_e32 v196, v138, v4
	;; [unrolled: 1-line block ×6, first 2 shown]
	v_pk_fma_f32 v[84:85], v[142:143], v[204:205], 0 op_sel_hi:[0,1,0]
	v_dot4c_i32_i8_e32 v54, v147, v9
	v_dot4c_i32_i8_e32 v196, v171, v7
	v_pk_fma_f32 v[84:85], v[188:189], v[200:201], v[84:85] op_sel_hi:[0,1,1]
	v_dot4c_i32_i8_e32 v54, v148, v10
	v_dot4c_i32_i8_e32 v196, v172, v0
	v_pk_mul_f32 v[84:85], v[84:85], v[102:103]
	v_dot4c_i32_i8_e32 v54, v149, v11
	v_dot4c_i32_i8_e32 v196, v173, v1
	v_pk_fma_f32 v[84:85], v[86:87], v[100:101], v[84:85] neg_lo:[0,0,1] neg_hi:[0,0,1]
	v_dot4c_i32_i8_e32 v196, v174, v2
	v_mul_lo_u32 v54, v54, v249
	v_pk_add_f32 v[46:47], v[46:47], v[84:85]
	v_dot4c_i32_i8_e32 v196, v175, v3
	v_cvt_f32_i32_e32 v85, v54
	v_mul_lo_u32 v54, v69, v252
	v_mul_lo_u32 v84, v255, v249
	;; [unrolled: 1-line block ×3, first 2 shown]
	v_cvt_f32_i32_e32 v196, v54
	v_mov_b32_e32 v54, 0
	v_cvt_f32_i32_e32 v197, v69
	v_dot4c_i32_i8_e32 v54, v130, v12
	v_mov_b32_e32 v69, 0
	v_cvt_f32_i32_e32 v84, v84
	v_dot4c_i32_i8_e32 v54, v131, v13
	v_dot4c_i32_i8_e32 v69, v140, v4
	;; [unrolled: 1-line block ×6, first 2 shown]
	v_pk_fma_f32 v[86:87], v[134:135], v[204:205], 0 op_sel_hi:[0,1,0]
	v_dot4c_i32_i8_e32 v54, v152, v8
	v_dot4c_i32_i8_e32 v69, v177, v7
	v_pk_fma_f32 v[84:85], v[202:203], v[84:85], 0 op_sel_hi:[1,1,0]
	v_pk_fma_f32 v[86:87], v[164:165], v[200:201], v[86:87] op_sel_hi:[0,1,1]
	v_dot4c_i32_i8_e32 v54, v153, v9
	v_dot4c_i32_i8_e32 v69, v180, v0
	v_pk_fma_f32 v[84:85], v[198:199], v[196:197], v[84:85]
	v_pk_mul_f32 v[86:87], v[86:87], v[106:107]
	v_dot4c_i32_i8_e32 v54, v154, v10
	v_dot4c_i32_i8_e32 v69, v181, v1
	v_pk_fma_f32 v[84:85], v[84:85], v[104:105], v[86:87] neg_lo:[0,0,1] neg_hi:[0,0,1]
	v_dot4c_i32_i8_e32 v54, v155, v11
	v_dot4c_i32_i8_e32 v69, v184, v2
	v_pk_add_f32 v[44:45], v[44:45], v[84:85]
	v_dot4c_i32_i8_e32 v69, v185, v3
	v_mul_lo_u32 v84, v55, v250
	v_mul_lo_u32 v54, v54, v250
	v_cvt_f32_i32_e32 v55, v54
	v_cvt_f32_i32_e32 v54, v84
	v_mul_lo_u32 v71, v71, v253
	v_mul_lo_u32 v69, v69, v253
	v_cvt_f32_i32_e32 v87, v69
	v_cvt_f32_i32_e32 v86, v71
	v_pk_fma_f32 v[84:85], v[136:137], v[204:205], 0 op_sel_hi:[0,1,0]
	v_pk_fma_f32 v[54:55], v[202:203], v[54:55], 0 op_sel_hi:[1,1,0]
	;; [unrolled: 1-line block ×3, first 2 shown]
	v_pk_fma_f32 v[54:55], v[198:199], v[86:87], v[54:55]
	v_pk_mul_f32 v[84:85], v[84:85], v[110:111]
	v_mov_b32_e32 v69, 0
	v_pk_fma_f32 v[54:55], v[54:55], v[108:109], v[84:85] neg_lo:[0,0,1] neg_hi:[0,0,1]
	v_mov_b32_e32 v71, 0
	v_pk_add_f32 v[42:43], v[42:43], v[54:55]
	v_mov_b32_e32 v54, 0
	v_dot4c_i32_i8_e32 v54, v132, v12
	v_dot4c_i32_i8_e32 v54, v133, v13
	;; [unrolled: 1-line block ×5, first 2 shown]
	v_mov_b32_e32 v8, 0
	v_dot4c_i32_i8_e32 v8, v126, v4
	v_dot4c_i32_i8_e32 v8, v127, v5
	;; [unrolled: 1-line block ×11, first 2 shown]
	v_mul_lo_u32 v0, v57, v248
	v_mul_lo_u32 v1, v54, v248
	v_cvt_f32_i32_e32 v1, v1
	v_cvt_f32_i32_e32 v0, v0
	v_mul_lo_u32 v4, v73, v247
	v_mul_lo_u32 v5, v8, v247
	v_cvt_f32_i32_e32 v5, v5
	v_cvt_f32_i32_e32 v4, v4
	v_pk_fma_f32 v[2:3], v[118:119], v[204:205], 0 op_sel_hi:[0,1,0]
	v_pk_fma_f32 v[0:1], v[202:203], v[0:1], 0 op_sel_hi:[1,1,0]
	;; [unrolled: 1-line block ×3, first 2 shown]
	v_pk_fma_f32 v[0:1], v[198:199], v[4:5], v[0:1]
	v_pk_mul_f32 v[2:3], v[2:3], v[114:115]
	v_mov_b32_e32 v57, 0
	v_pk_fma_f32 v[0:1], v[0:1], v[112:113], v[2:3] neg_lo:[0,0,1] neg_hi:[0,0,1]
	v_mov_b32_e32 v73, 0
	v_pk_add_f32 v[40:41], v[40:41], v[0:1]
	v_or_b32_e32 v0, s18, v212
	v_lshlrev_b32_e32 v1, 2, v0
	v_lshrrev_b32_e32 v54, 1, v0
	ds_read_b128 v[12:15], v1 offset:33280
	ds_read_b128 v[8:11], v1 offset:33296
	;; [unrolled: 1-line block ×4, first 2 shown]
	ds_read_b64 v[196:197], v54 offset:43584
	v_mov_b32_e32 v255, 0
	v_mov_b32_e32 v75, 0
	;; [unrolled: 1-line block ×4, first 2 shown]
	s_waitcnt lgkmcnt(4)
	v_dot4c_i32_i8_e32 v57, v168, v12
	s_waitcnt lgkmcnt(2)
	v_dot4c_i32_i8_e32 v69, v162, v4
	v_dot4c_i32_i8_e32 v71, v128, v12
	;; [unrolled: 1-line block ×32, first 2 shown]
	s_waitcnt lgkmcnt(1)
	v_dot4c_i32_i8_e32 v69, v192, v0
	v_dot4c_i32_i8_e32 v71, v146, v8
	v_dot4c_i32_i8_e32 v73, v172, v0
	v_dot4c_i32_i8_e32 v255, v152, v8
	v_dot4c_i32_i8_e32 v75, v180, v0
	v_dot4c_i32_i8_e32 v77, v158, v8
	v_dot4c_i32_i8_e32 v79, v122, v0
	v_dot4c_i32_i8_e32 v57, v183, v9
	v_dot4c_i32_i8_e32 v69, v193, v1
	v_dot4c_i32_i8_e32 v71, v147, v9
	v_dot4c_i32_i8_e32 v73, v173, v1
	v_dot4c_i32_i8_e32 v255, v153, v9
	v_dot4c_i32_i8_e32 v75, v181, v1
	v_dot4c_i32_i8_e32 v77, v159, v9
	v_dot4c_i32_i8_e32 v79, v123, v1
	v_or_b32_e32 v0, s18, v215
	v_dot4c_i32_i8_e32 v57, v186, v10
	v_dot4c_i32_i8_e32 v69, v194, v2
	;; [unrolled: 1-line block ×8, first 2 shown]
	v_lshlrev_b32_e32 v1, 2, v0
	v_lshrrev_b32_e32 v54, 1, v0
	v_dot4c_i32_i8_e32 v57, v187, v11
	v_dot4c_i32_i8_e32 v69, v195, v3
	;; [unrolled: 1-line block ×8, first 2 shown]
	ds_read_b128 v[12:15], v1 offset:33280
	ds_read_b128 v[8:11], v1 offset:33296
	;; [unrolled: 1-line block ×4, first 2 shown]
	ds_read_b64 v[54:55], v54 offset:43584
	v_mov_b32_e32 v84, 0
	s_waitcnt lgkmcnt(4)
	v_dot4c_i32_i8_e32 v84, v168, v12
	v_mov_b32_e32 v86, 0
	v_dot4c_i32_i8_e32 v84, v169, v13
	s_waitcnt lgkmcnt(2)
	v_dot4c_i32_i8_e32 v86, v162, v4
	v_dot4c_i32_i8_e32 v84, v178, v14
	;; [unrolled: 1-line block ×8, first 2 shown]
	s_waitcnt lgkmcnt(1)
	v_dot4c_i32_i8_e32 v86, v192, v0
	v_dot4c_i32_i8_e32 v84, v186, v10
	;; [unrolled: 1-line block ×6, first 2 shown]
	s_waitcnt lgkmcnt(0)
	v_cvt_f32_f16_e32 v203, v54
	v_cvt_f32_f16_sdwa v205, v54 dst_sel:DWORD dst_unused:UNUSED_PAD src0_sel:WORD_1
	v_cvt_f32_f16_sdwa v204, v196 dst_sel:DWORD dst_unused:UNUSED_PAD src0_sel:WORD_1
	v_cvt_f32_f16_e32 v199, v55
	v_cvt_f32_f16_sdwa v201, v55 dst_sel:DWORD dst_unused:UNUSED_PAD src0_sel:WORD_1
	v_mul_lo_u32 v54, v57, v251
	v_mul_lo_u32 v55, v84, v251
	v_cvt_f32_f16_e32 v202, v196
	v_cvt_f32_f16_sdwa v200, v197 dst_sel:DWORD dst_unused:UNUSED_PAD src0_sel:WORD_1
	v_cvt_f32_i32_e32 v55, v55
	v_cvt_f32_i32_e32 v54, v54
	v_mul_lo_u32 v57, v69, v254
	v_mul_lo_u32 v69, v86, v254
	v_cvt_f32_f16_e32 v198, v197
	v_cvt_f32_i32_e32 v87, v69
	v_cvt_f32_i32_e32 v86, v57
	v_pk_fma_f32 v[84:85], v[142:143], v[204:205], 0 op_sel_hi:[0,1,0]
	v_pk_fma_f32 v[54:55], v[54:55], v[202:203], 0 op_sel_hi:[1,1,0]
	;; [unrolled: 1-line block ×3, first 2 shown]
	v_pk_fma_f32 v[54:55], v[86:87], v[198:199], v[54:55]
	v_pk_mul_f32 v[84:85], v[84:85], v[102:103]
	v_mov_b32_e32 v57, 0
	v_pk_fma_f32 v[54:55], v[54:55], v[100:101], v[84:85] neg_lo:[0,0,1] neg_hi:[0,0,1]
	v_dot4c_i32_i8_e32 v57, v138, v4
	v_pk_add_f32 v[38:39], v[38:39], v[54:55]
	v_mov_b32_e32 v54, 0
	v_dot4c_i32_i8_e32 v54, v128, v12
	v_dot4c_i32_i8_e32 v54, v129, v13
	;; [unrolled: 1-line block ×15, first 2 shown]
	v_mul_lo_u32 v69, v71, v249
	v_mul_lo_u32 v54, v54, v249
	v_cvt_f32_i32_e32 v55, v54
	v_cvt_f32_i32_e32 v54, v69
	v_mul_lo_u32 v69, v73, v252
	v_mul_lo_u32 v57, v57, v252
	v_cvt_f32_i32_e32 v87, v57
	v_cvt_f32_i32_e32 v86, v69
	v_pk_fma_f32 v[84:85], v[134:135], v[204:205], 0 op_sel_hi:[0,1,0]
	v_pk_fma_f32 v[54:55], v[54:55], v[202:203], 0 op_sel_hi:[1,1,0]
	;; [unrolled: 1-line block ×3, first 2 shown]
	v_pk_fma_f32 v[54:55], v[86:87], v[198:199], v[54:55]
	v_pk_mul_f32 v[84:85], v[84:85], v[106:107]
	v_mov_b32_e32 v57, 0
	v_pk_fma_f32 v[54:55], v[54:55], v[104:105], v[84:85] neg_lo:[0,0,1] neg_hi:[0,0,1]
	v_dot4c_i32_i8_e32 v57, v140, v4
	v_pk_add_f32 v[36:37], v[36:37], v[54:55]
	v_mov_b32_e32 v54, 0
	v_dot4c_i32_i8_e32 v54, v130, v12
	v_dot4c_i32_i8_e32 v54, v131, v13
	;; [unrolled: 1-line block ×15, first 2 shown]
	v_mul_lo_u32 v69, v255, v250
	v_mul_lo_u32 v54, v54, v250
	v_cvt_f32_i32_e32 v55, v54
	v_cvt_f32_i32_e32 v54, v69
	v_mul_lo_u32 v69, v75, v253
	v_mul_lo_u32 v57, v57, v253
	v_cvt_f32_i32_e32 v87, v57
	v_cvt_f32_i32_e32 v86, v69
	v_pk_fma_f32 v[84:85], v[136:137], v[204:205], 0 op_sel_hi:[0,1,0]
	v_pk_fma_f32 v[54:55], v[54:55], v[202:203], 0 op_sel_hi:[1,1,0]
	;; [unrolled: 1-line block ×3, first 2 shown]
	v_pk_fma_f32 v[54:55], v[86:87], v[198:199], v[54:55]
	v_pk_mul_f32 v[84:85], v[84:85], v[110:111]
	v_mov_b32_e32 v57, 0
	v_pk_fma_f32 v[54:55], v[54:55], v[108:109], v[84:85] neg_lo:[0,0,1] neg_hi:[0,0,1]
	v_mov_b32_e32 v69, 0
	v_pk_add_f32 v[34:35], v[34:35], v[54:55]
	v_mov_b32_e32 v54, 0
	v_dot4c_i32_i8_e32 v54, v132, v12
	v_dot4c_i32_i8_e32 v54, v133, v13
	;; [unrolled: 1-line block ×5, first 2 shown]
	v_mov_b32_e32 v8, 0
	v_dot4c_i32_i8_e32 v8, v126, v4
	v_dot4c_i32_i8_e32 v8, v127, v5
	;; [unrolled: 1-line block ×11, first 2 shown]
	v_mul_lo_u32 v0, v77, v248
	v_mul_lo_u32 v1, v54, v248
	v_cvt_f32_i32_e32 v1, v1
	v_cvt_f32_i32_e32 v0, v0
	v_mul_lo_u32 v4, v79, v247
	v_mul_lo_u32 v5, v8, v247
	v_cvt_f32_i32_e32 v5, v5
	v_cvt_f32_i32_e32 v4, v4
	v_pk_fma_f32 v[2:3], v[118:119], v[204:205], 0 op_sel_hi:[0,1,0]
	v_pk_fma_f32 v[0:1], v[0:1], v[202:203], 0 op_sel_hi:[1,1,0]
	;; [unrolled: 1-line block ×3, first 2 shown]
	v_pk_fma_f32 v[0:1], v[4:5], v[198:199], v[0:1]
	v_pk_mul_f32 v[2:3], v[2:3], v[114:115]
	v_mov_b32_e32 v71, 0
	v_pk_fma_f32 v[0:1], v[0:1], v[112:113], v[2:3] neg_lo:[0,0,1] neg_hi:[0,0,1]
	v_mov_b32_e32 v73, 0
	v_pk_add_f32 v[32:33], v[32:33], v[0:1]
	v_or_b32_e32 v0, s18, v218
	v_lshlrev_b32_e32 v1, 2, v0
	v_lshrrev_b32_e32 v54, 1, v0
	ds_read_b128 v[12:15], v1 offset:33280
	ds_read_b128 v[8:11], v1 offset:33296
	;; [unrolled: 1-line block ×4, first 2 shown]
	ds_read_b64 v[196:197], v54 offset:43584
	v_mov_b32_e32 v75, 0
	v_mov_b32_e32 v77, 0
	;; [unrolled: 1-line block ×4, first 2 shown]
	s_waitcnt lgkmcnt(4)
	v_dot4c_i32_i8_e32 v57, v168, v12
	s_waitcnt lgkmcnt(2)
	v_dot4c_i32_i8_e32 v69, v162, v4
	v_dot4c_i32_i8_e32 v71, v128, v12
	;; [unrolled: 1-line block ×32, first 2 shown]
	s_waitcnt lgkmcnt(1)
	v_dot4c_i32_i8_e32 v69, v192, v0
	v_dot4c_i32_i8_e32 v71, v146, v8
	;; [unrolled: 1-line block ×15, first 2 shown]
	v_or_b32_e32 v0, s18, v221
	v_dot4c_i32_i8_e32 v57, v186, v10
	v_dot4c_i32_i8_e32 v69, v194, v2
	;; [unrolled: 1-line block ×8, first 2 shown]
	v_lshlrev_b32_e32 v1, 2, v0
	v_lshrrev_b32_e32 v54, 1, v0
	v_dot4c_i32_i8_e32 v57, v187, v11
	v_dot4c_i32_i8_e32 v69, v195, v3
	;; [unrolled: 1-line block ×8, first 2 shown]
	ds_read_b128 v[12:15], v1 offset:33280
	ds_read_b128 v[8:11], v1 offset:33296
	;; [unrolled: 1-line block ×4, first 2 shown]
	ds_read_b64 v[54:55], v54 offset:43584
	v_mov_b32_e32 v84, 0
	s_waitcnt lgkmcnt(4)
	v_dot4c_i32_i8_e32 v84, v168, v12
	v_mov_b32_e32 v86, 0
	v_dot4c_i32_i8_e32 v84, v169, v13
	s_waitcnt lgkmcnt(2)
	v_dot4c_i32_i8_e32 v86, v162, v4
	v_dot4c_i32_i8_e32 v84, v178, v14
	;; [unrolled: 1-line block ×8, first 2 shown]
	s_waitcnt lgkmcnt(1)
	v_dot4c_i32_i8_e32 v86, v192, v0
	v_dot4c_i32_i8_e32 v84, v186, v10
	;; [unrolled: 1-line block ×6, first 2 shown]
	s_waitcnt lgkmcnt(0)
	v_cvt_f32_f16_e32 v203, v54
	v_cvt_f32_f16_sdwa v205, v54 dst_sel:DWORD dst_unused:UNUSED_PAD src0_sel:WORD_1
	v_cvt_f32_f16_sdwa v204, v196 dst_sel:DWORD dst_unused:UNUSED_PAD src0_sel:WORD_1
	v_cvt_f32_f16_e32 v199, v55
	v_cvt_f32_f16_sdwa v201, v55 dst_sel:DWORD dst_unused:UNUSED_PAD src0_sel:WORD_1
	v_mul_lo_u32 v54, v57, v251
	v_mul_lo_u32 v55, v84, v251
	v_cvt_f32_f16_e32 v202, v196
	v_cvt_f32_f16_sdwa v200, v197 dst_sel:DWORD dst_unused:UNUSED_PAD src0_sel:WORD_1
	v_cvt_f32_i32_e32 v55, v55
	v_cvt_f32_i32_e32 v54, v54
	v_mul_lo_u32 v57, v69, v254
	v_mul_lo_u32 v69, v86, v254
	v_cvt_f32_f16_e32 v198, v197
	v_cvt_f32_i32_e32 v87, v69
	v_cvt_f32_i32_e32 v86, v57
	v_pk_fma_f32 v[84:85], v[142:143], v[204:205], 0 op_sel_hi:[0,1,0]
	v_pk_fma_f32 v[54:55], v[54:55], v[202:203], 0 op_sel_hi:[1,1,0]
	v_pk_fma_f32 v[84:85], v[188:189], v[200:201], v[84:85] op_sel_hi:[0,1,1]
	v_pk_fma_f32 v[54:55], v[86:87], v[198:199], v[54:55]
	v_pk_mul_f32 v[84:85], v[84:85], v[102:103]
	v_mov_b32_e32 v57, 0
	v_pk_fma_f32 v[54:55], v[54:55], v[100:101], v[84:85] neg_lo:[0,0,1] neg_hi:[0,0,1]
	v_dot4c_i32_i8_e32 v57, v138, v4
	v_pk_add_f32 v[30:31], v[30:31], v[54:55]
	v_mov_b32_e32 v54, 0
	v_dot4c_i32_i8_e32 v54, v128, v12
	v_dot4c_i32_i8_e32 v54, v129, v13
	;; [unrolled: 1-line block ×15, first 2 shown]
	v_mul_lo_u32 v69, v71, v249
	v_mul_lo_u32 v54, v54, v249
	v_cvt_f32_i32_e32 v55, v54
	v_cvt_f32_i32_e32 v54, v69
	v_mul_lo_u32 v69, v73, v252
	v_mul_lo_u32 v57, v57, v252
	v_cvt_f32_i32_e32 v87, v57
	v_cvt_f32_i32_e32 v86, v69
	v_pk_fma_f32 v[84:85], v[134:135], v[204:205], 0 op_sel_hi:[0,1,0]
	v_pk_fma_f32 v[54:55], v[54:55], v[202:203], 0 op_sel_hi:[1,1,0]
	;; [unrolled: 1-line block ×3, first 2 shown]
	v_pk_fma_f32 v[54:55], v[86:87], v[198:199], v[54:55]
	v_pk_mul_f32 v[84:85], v[84:85], v[106:107]
	v_mov_b32_e32 v57, 0
	v_pk_fma_f32 v[54:55], v[54:55], v[104:105], v[84:85] neg_lo:[0,0,1] neg_hi:[0,0,1]
	v_dot4c_i32_i8_e32 v57, v140, v4
	v_pk_add_f32 v[28:29], v[28:29], v[54:55]
	v_mov_b32_e32 v54, 0
	v_dot4c_i32_i8_e32 v54, v130, v12
	v_dot4c_i32_i8_e32 v54, v131, v13
	;; [unrolled: 1-line block ×15, first 2 shown]
	v_mul_lo_u32 v69, v75, v250
	v_mul_lo_u32 v54, v54, v250
	v_cvt_f32_i32_e32 v55, v54
	v_cvt_f32_i32_e32 v54, v69
	v_mul_lo_u32 v69, v77, v253
	v_mul_lo_u32 v57, v57, v253
	v_cvt_f32_i32_e32 v87, v57
	v_cvt_f32_i32_e32 v86, v69
	v_pk_fma_f32 v[84:85], v[136:137], v[204:205], 0 op_sel_hi:[0,1,0]
	v_pk_fma_f32 v[54:55], v[54:55], v[202:203], 0 op_sel_hi:[1,1,0]
	;; [unrolled: 1-line block ×3, first 2 shown]
	v_pk_fma_f32 v[54:55], v[86:87], v[198:199], v[54:55]
	v_pk_mul_f32 v[84:85], v[84:85], v[110:111]
	v_mov_b32_e32 v57, 0
	v_pk_fma_f32 v[54:55], v[54:55], v[108:109], v[84:85] neg_lo:[0,0,1] neg_hi:[0,0,1]
	v_mov_b32_e32 v69, 0
	v_pk_add_f32 v[26:27], v[26:27], v[54:55]
	v_mov_b32_e32 v54, 0
	v_dot4c_i32_i8_e32 v54, v132, v12
	v_dot4c_i32_i8_e32 v54, v133, v13
	;; [unrolled: 1-line block ×5, first 2 shown]
	v_mov_b32_e32 v8, 0
	v_dot4c_i32_i8_e32 v8, v126, v4
	v_dot4c_i32_i8_e32 v8, v127, v5
	;; [unrolled: 1-line block ×11, first 2 shown]
	v_mul_lo_u32 v0, v79, v248
	v_mul_lo_u32 v1, v54, v248
	v_cvt_f32_i32_e32 v1, v1
	v_cvt_f32_i32_e32 v0, v0
	v_mul_lo_u32 v4, v255, v247
	v_mul_lo_u32 v5, v8, v247
	v_cvt_f32_i32_e32 v5, v5
	v_cvt_f32_i32_e32 v4, v4
	v_pk_fma_f32 v[2:3], v[118:119], v[204:205], 0 op_sel_hi:[0,1,0]
	v_pk_fma_f32 v[0:1], v[0:1], v[202:203], 0 op_sel_hi:[1,1,0]
	;; [unrolled: 1-line block ×3, first 2 shown]
	v_pk_fma_f32 v[0:1], v[4:5], v[198:199], v[0:1]
	v_pk_mul_f32 v[2:3], v[2:3], v[114:115]
	v_mov_b32_e32 v71, 0
	v_pk_fma_f32 v[0:1], v[0:1], v[112:113], v[2:3] neg_lo:[0,0,1] neg_hi:[0,0,1]
	v_mov_b32_e32 v73, 0
	v_pk_add_f32 v[24:25], v[24:25], v[0:1]
	v_or_b32_e32 v0, s18, v224
	v_lshlrev_b32_e32 v1, 2, v0
	v_lshrrev_b32_e32 v54, 1, v0
	ds_read_b128 v[12:15], v1 offset:33280
	ds_read_b128 v[8:11], v1 offset:33296
	;; [unrolled: 1-line block ×4, first 2 shown]
	ds_read_b64 v[196:197], v54 offset:43584
	v_mov_b32_e32 v75, 0
	v_mov_b32_e32 v77, 0
	v_mov_b32_e32 v199, 0
	v_mov_b32_e32 v198, 0
	s_waitcnt lgkmcnt(4)
	v_dot4c_i32_i8_e32 v57, v168, v12
	s_waitcnt lgkmcnt(2)
	v_dot4c_i32_i8_e32 v69, v162, v4
	v_dot4c_i32_i8_e32 v71, v128, v12
	;; [unrolled: 1-line block ×32, first 2 shown]
	s_waitcnt lgkmcnt(1)
	v_dot4c_i32_i8_e32 v69, v192, v0
	v_dot4c_i32_i8_e32 v71, v146, v8
	;; [unrolled: 1-line block ×15, first 2 shown]
	v_or_b32_e32 v0, s18, v227
	v_dot4c_i32_i8_e32 v57, v186, v10
	v_dot4c_i32_i8_e32 v69, v194, v2
	;; [unrolled: 1-line block ×8, first 2 shown]
	v_lshlrev_b32_e32 v1, 2, v0
	v_lshrrev_b32_e32 v54, 1, v0
	v_dot4c_i32_i8_e32 v57, v187, v11
	v_dot4c_i32_i8_e32 v69, v195, v3
	v_dot4c_i32_i8_e32 v71, v149, v11
	v_dot4c_i32_i8_e32 v73, v175, v3
	v_dot4c_i32_i8_e32 v75, v155, v11
	v_dot4c_i32_i8_e32 v77, v185, v3
	v_dot4c_i32_i8_e32 v199, v161, v11
	v_dot4c_i32_i8_e32 v198, v125, v3
	ds_read_b128 v[12:15], v1 offset:33280
	ds_read_b128 v[8:11], v1 offset:33296
	;; [unrolled: 1-line block ×4, first 2 shown]
	ds_read_b64 v[54:55], v54 offset:43584
	v_mov_b32_e32 v79, 0
	s_waitcnt lgkmcnt(4)
	v_dot4c_i32_i8_e32 v79, v168, v12
	v_mov_b32_e32 v86, 0
	v_dot4c_i32_i8_e32 v79, v169, v13
	s_waitcnt lgkmcnt(2)
	v_dot4c_i32_i8_e32 v86, v162, v4
	v_dot4c_i32_i8_e32 v79, v178, v14
	;; [unrolled: 1-line block ×8, first 2 shown]
	s_waitcnt lgkmcnt(1)
	v_dot4c_i32_i8_e32 v86, v192, v0
	v_dot4c_i32_i8_e32 v79, v186, v10
	;; [unrolled: 1-line block ×6, first 2 shown]
	s_waitcnt lgkmcnt(0)
	v_cvt_f32_f16_e32 v183, v54
	v_cvt_f32_f16_sdwa v179, v54 dst_sel:DWORD dst_unused:UNUSED_PAD src0_sel:WORD_1
	v_cvt_f32_f16_sdwa v178, v196 dst_sel:DWORD dst_unused:UNUSED_PAD src0_sel:WORD_1
	v_cvt_f32_f16_e32 v169, v55
	v_cvt_f32_f16_sdwa v163, v55 dst_sel:DWORD dst_unused:UNUSED_PAD src0_sel:WORD_1
	v_mul_lo_u32 v54, v57, v251
	v_mul_lo_u32 v55, v79, v251
	v_cvt_f32_f16_e32 v182, v196
	v_cvt_f32_f16_sdwa v162, v197 dst_sel:DWORD dst_unused:UNUSED_PAD src0_sel:WORD_1
	v_cvt_f32_i32_e32 v55, v55
	v_cvt_f32_i32_e32 v54, v54
	v_mul_lo_u32 v57, v69, v254
	v_mul_lo_u32 v69, v86, v254
	v_cvt_f32_f16_e32 v168, v197
	v_cvt_f32_i32_e32 v87, v69
	v_cvt_f32_i32_e32 v86, v57
	v_pk_fma_f32 v[84:85], v[142:143], v[178:179], 0 op_sel_hi:[0,1,0]
	v_pk_fma_f32 v[54:55], v[54:55], v[182:183], 0 op_sel_hi:[1,1,0]
	;; [unrolled: 1-line block ×3, first 2 shown]
	v_pk_fma_f32 v[54:55], v[86:87], v[168:169], v[54:55]
	v_pk_mul_f32 v[84:85], v[84:85], v[102:103]
	v_mov_b32_e32 v57, 0
	v_pk_fma_f32 v[54:55], v[54:55], v[100:101], v[84:85] neg_lo:[0,0,1] neg_hi:[0,0,1]
	v_dot4c_i32_i8_e32 v57, v138, v4
	v_pk_add_f32 v[22:23], v[22:23], v[54:55]
	v_mov_b32_e32 v54, 0
	v_dot4c_i32_i8_e32 v54, v128, v12
	v_dot4c_i32_i8_e32 v54, v129, v13
	;; [unrolled: 1-line block ×15, first 2 shown]
	v_mul_lo_u32 v69, v71, v249
	v_mul_lo_u32 v54, v54, v249
	v_cvt_f32_i32_e32 v55, v54
	v_cvt_f32_i32_e32 v54, v69
	v_mul_lo_u32 v69, v73, v252
	v_mul_lo_u32 v57, v57, v252
	v_cvt_f32_i32_e32 v87, v57
	v_cvt_f32_i32_e32 v86, v69
	v_pk_fma_f32 v[84:85], v[134:135], v[178:179], 0 op_sel_hi:[0,1,0]
	v_pk_fma_f32 v[54:55], v[54:55], v[182:183], 0 op_sel_hi:[1,1,0]
	v_pk_fma_f32 v[84:85], v[164:165], v[162:163], v[84:85] op_sel_hi:[0,1,1]
	v_pk_fma_f32 v[54:55], v[86:87], v[168:169], v[54:55]
	v_pk_mul_f32 v[84:85], v[84:85], v[106:107]
	v_mov_b32_e32 v128, 0
	v_pk_fma_f32 v[54:55], v[54:55], v[104:105], v[84:85] neg_lo:[0,0,1] neg_hi:[0,0,1]
	v_dot4c_i32_i8_e32 v128, v132, v12
	v_pk_add_f32 v[20:21], v[20:21], v[54:55]
	v_mov_b32_e32 v54, 0
	v_dot4c_i32_i8_e32 v54, v130, v12
	v_dot4c_i32_i8_e32 v54, v131, v13
	;; [unrolled: 1-line block ×8, first 2 shown]
	v_mov_b32_e32 v57, 0
	v_dot4c_i32_i8_e32 v128, v158, v8
	v_mov_b32_e32 v8, 0
	v_dot4c_i32_i8_e32 v57, v140, v4
	v_dot4c_i32_i8_e32 v8, v126, v4
	;; [unrolled: 1-line block ×21, first 2 shown]
	v_mul_lo_u32 v69, v75, v250
	v_mul_lo_u32 v54, v54, v250
	v_dot4c_i32_i8_e32 v8, v125, v3
	v_mul_lo_u32 v0, v199, v248
	v_mul_lo_u32 v1, v128, v248
	v_cvt_f32_i32_e32 v55, v54
	v_cvt_f32_i32_e32 v54, v69
	v_mul_lo_u32 v69, v77, v253
	v_mul_lo_u32 v57, v57, v253
	v_cvt_f32_i32_e32 v1, v1
	v_cvt_f32_i32_e32 v0, v0
	;; [unrolled: 4-line block ×3, first 2 shown]
	v_cvt_f32_i32_e32 v5, v5
	v_cvt_f32_i32_e32 v4, v4
	v_pk_fma_f32 v[84:85], v[136:137], v[178:179], 0 op_sel_hi:[0,1,0]
	v_pk_fma_f32 v[2:3], v[118:119], v[178:179], 0 op_sel_hi:[0,1,0]
	;; [unrolled: 1-line block ×6, first 2 shown]
	v_pk_fma_f32 v[54:55], v[86:87], v[168:169], v[54:55]
	v_pk_mul_f32 v[84:85], v[84:85], v[110:111]
	v_pk_fma_f32 v[0:1], v[4:5], v[168:169], v[0:1]
	v_pk_mul_f32 v[2:3], v[2:3], v[114:115]
	v_pk_fma_f32 v[54:55], v[54:55], v[108:109], v[84:85] neg_lo:[0,0,1] neg_hi:[0,0,1]
	v_pk_fma_f32 v[0:1], v[0:1], v[112:113], v[2:3] neg_lo:[0,0,1] neg_hi:[0,0,1]
	v_pk_add_f32 v[18:19], v[18:19], v[54:55]
	v_pk_add_f32 v[16:17], v[16:17], v[0:1]
	s_mov_b32 s19, 8
	s_and_b64 vcc, exec, s[4:5]
	s_mov_b64 s[4:5], 0
	s_cbranch_vccnz .LBB173_6
; %bb.7:                                ;   in Loop: Header=BB173_5 Depth=1
	v_add_u32_e32 v14, s17, v230
	v_add_u32_e32 v0, v14, v206
	;; [unrolled: 1-line block ×6, first 2 shown]
	v_mad_i64_i32 v[0:1], s[4:5], v0, 36, v[92:93]
	v_mad_i64_i32 v[2:3], s[4:5], v2, 36, v[92:93]
	v_mad_i64_i32 v[4:5], s[4:5], v4, 36, v[92:93]
	v_mad_i64_i32 v[6:7], s[4:5], v6, 36, v[92:93]
	v_mad_i64_i32 v[8:9], s[4:5], v8, 36, v[92:93]
	v_add_u32_e32 v10, v14, v220
	v_add_u32_e32 v12, v14, v223
	;; [unrolled: 1-line block ×3, first 2 shown]
	s_barrier
	v_mad_i64_i32 v[10:11], s[4:5], v10, 36, v[92:93]
	v_mad_i64_i32 v[12:13], s[4:5], v12, 36, v[92:93]
	v_mad_i64_i32 v[14:15], s[4:5], v14, 36, v[92:93]
	global_load_dword v54, v[0:1], off offset:4
	s_nop 0
	global_load_dword v2, v[2:3], off offset:4
	s_nop 0
	;; [unrolled: 2-line block ×3, first 2 shown]
	global_load_dword v4, v[6:7], off offset:4
	global_load_dword v5, v[8:9], off offset:4
	s_nop 0
	global_load_dword v6, v[10:11], off offset:4
	global_load_dword v7, v[12:13], off offset:4
	;; [unrolled: 1-line block ×3, first 2 shown]
	v_add_u32_e32 v0, 4, v246
	v_mad_u64_u32 v[0:1], s[4:5], v0, 36, s[2:3]
	global_load_dword v0, v[0:1], off
	s_mov_b32 s4, 16
	s_waitcnt vmcnt(8)
	ds_write_b32 v207, v54
	s_waitcnt vmcnt(7)
	ds_write_b32 v210, v2
	s_waitcnt vmcnt(6)
	ds_write_b32 v213, v3
	s_waitcnt vmcnt(5)
	ds_write_b32 v216, v4
	s_waitcnt vmcnt(4)
	ds_write_b32 v219, v5
	s_waitcnt vmcnt(3)
	ds_write_b32 v222, v6
	s_waitcnt vmcnt(2)
	ds_write_b32 v225, v7
	s_waitcnt vmcnt(1)
	ds_write_b32 v228, v8
	s_waitcnt vmcnt(0)
	ds_write_b32 v95, v0
	s_waitcnt lgkmcnt(0)
	s_barrier
	ds_read_b32 v0, v229
	ds_read_b32 v1, v231 offset:128
	ds_read_b32 v2, v232 offset:256
	;; [unrolled: 1-line block ×3, first 2 shown]
	s_waitcnt lgkmcnt(2)
	v_cvt_f32_f16_e32 v104, v1
	v_cvt_f32_f16_e32 v100, v0
	v_cvt_f32_f16_sdwa v102, v0 dst_sel:DWORD dst_unused:UNUSED_PAD src0_sel:WORD_1
	v_cvt_f32_f16_sdwa v106, v1 dst_sel:DWORD dst_unused:UNUSED_PAD src0_sel:WORD_1
	s_waitcnt lgkmcnt(1)
	v_cvt_f32_f16_e32 v108, v2
	v_cvt_f32_f16_sdwa v110, v2 dst_sel:DWORD dst_unused:UNUSED_PAD src0_sel:WORD_1
	s_waitcnt lgkmcnt(0)
	v_cvt_f32_f16_e32 v112, v3
	v_cvt_f32_f16_sdwa v114, v3 dst_sel:DWORD dst_unused:UNUSED_PAD src0_sel:WORD_1
	v_mov_b32_e32 v101, v100
	v_mov_b32_e32 v103, v102
	;; [unrolled: 1-line block ×8, first 2 shown]
.LBB173_8:                              ;   Parent Loop BB173_5 Depth=1
                                        ; =>  This Inner Loop Header: Depth=2
	s_lshr_b32 s5, s4, 2
	s_and_b32 s17, s5, 0x3ffffffe
	s_lshl_b32 s5, s4, 1
	s_and_b32 s5, s5, 16
	v_or_b32_e32 v0, s5, v119
	v_lshlrev_b32_e32 v1, 2, v0
	v_lshrrev_b32_e32 v54, 1, v0
	s_add_i32 s17, s17, 0xa200
	s_lshl_b32 s18, s4, 3
	ds_read_b128 v[12:15], v1 offset:33280
	ds_read_b128 v[8:11], v1 offset:33296
	;; [unrolled: 1-line block ×4, first 2 shown]
	ds_read_b64 v[196:197], v54 offset:43584
	v_add3_u32 v54, s17, v238, v239
	v_add_u32_e32 v55, s18, v234
	ds_read2_b32 v[180:181], v55 offset1:1
	ds_read2_b32 v[182:183], v55 offset0:2 offset1:3
	ds_read2_b32 v[184:185], v55 offset0:4 offset1:5
	;; [unrolled: 1-line block ×3, first 2 shown]
	ds_read_u16 v57, v54
	ds_read_u16 v54, v54 offset:8
	ds_read2_b32 v[162:163], v55 offset0:8 offset1:9
	ds_read2_b32 v[190:191], v55 offset0:10 offset1:11
	;; [unrolled: 1-line block ×4, first 2 shown]
	s_waitcnt lgkmcnt(4)
	v_cvt_f32_ubyte0_e32 v142, v54
	v_cvt_f32_ubyte1_e32 v188, v54
	v_add3_u32 v54, s17, v240, v241
	v_add_u32_e32 v55, s18, v235
	v_and_b32_e32 v250, 0xff, v57
	v_lshrrev_b16_e32 v253, 8, v57
	ds_read2_b32 v[132:133], v55 offset1:1
	ds_read2_b32 v[150:151], v55 offset0:2 offset1:3
	ds_read2_b32 v[156:157], v55 offset0:4 offset1:5
	;; [unrolled: 1-line block ×3, first 2 shown]
	ds_read_u16 v57, v54
	ds_read_u16 v54, v54 offset:8
	ds_read2_b32 v[140:141], v55 offset0:8 offset1:9
	ds_read2_b32 v[170:171], v55 offset0:10 offset1:11
	;; [unrolled: 1-line block ×4, first 2 shown]
	s_waitcnt lgkmcnt(4)
	v_cvt_f32_ubyte0_e32 v136, v54
	v_cvt_f32_ubyte1_e32 v166, v54
	v_add3_u32 v54, s17, v242, v243
	v_add_u32_e32 v55, s18, v236
	ds_read2_b32 v[130:131], v55 offset1:1
	ds_read2_b32 v[146:147], v55 offset0:2 offset1:3
	ds_read2_b32 v[152:153], v55 offset0:4 offset1:5
	;; [unrolled: 1-line block ×3, first 2 shown]
	ds_read_u16 v75, v54
	ds_read_u16 v54, v54 offset:8
	v_mov_b32_e32 v69, 0
	v_mov_b32_e32 v254, 0
	v_and_b32_e32 v249, 0xff, v57
	s_waitcnt lgkmcnt(1)
	v_and_b32_e32 v248, 0xff, v75
	v_lshrrev_b16_e32 v251, 8, v75
	v_add_u32_e32 v75, s18, v237
	ds_read2_b32 v[128:129], v75 offset1:1
	ds_read2_b32 v[144:145], v75 offset0:2 offset1:3
	ds_read2_b32 v[148:149], v75 offset0:4 offset1:5
	;; [unrolled: 1-line block ×3, first 2 shown]
	v_lshrrev_b16_e32 v252, 8, v57
	v_mov_b32_e32 v57, 0
	ds_read2_b32 v[138:139], v55 offset0:8 offset1:9
	ds_read2_b32 v[168:169], v55 offset0:10 offset1:11
	;; [unrolled: 1-line block ×4, first 2 shown]
	v_mov_b32_e32 v55, 0
	v_dot4c_i32_i8_e32 v69, v180, v12
	v_dot4c_i32_i8_e32 v254, v132, v12
	;; [unrolled: 1-line block ×3, first 2 shown]
	s_waitcnt lgkmcnt(7)
	v_dot4c_i32_i8_e32 v55, v128, v12
	v_dot4c_i32_i8_e32 v69, v181, v13
	;; [unrolled: 1-line block ×8, first 2 shown]
	s_waitcnt lgkmcnt(6)
	v_dot4c_i32_i8_e32 v55, v144, v14
	v_dot4c_i32_i8_e32 v69, v183, v15
	;; [unrolled: 1-line block ×8, first 2 shown]
	v_cvt_f32_ubyte0_e32 v134, v54
	v_cvt_f32_ubyte1_e32 v164, v54
	v_add3_u32 v54, s17, v244, v245
	s_waitcnt lgkmcnt(5)
	v_dot4c_i32_i8_e32 v55, v148, v8
	v_dot4c_i32_i8_e32 v69, v185, v9
	;; [unrolled: 1-line block ×5, first 2 shown]
	ds_read_u16 v8, v54
	ds_read_u16 v9, v54 offset:8
	ds_read2_b32 v[126:127], v75 offset0:8 offset1:9
	ds_read2_b32 v[120:121], v75 offset0:10 offset1:11
	;; [unrolled: 1-line block ×4, first 2 shown]
	v_mov_b32_e32 v71, 0
	v_mov_b32_e32 v73, 0
	;; [unrolled: 1-line block ×4, first 2 shown]
	v_dot4c_i32_i8_e32 v71, v162, v4
	v_dot4c_i32_i8_e32 v73, v140, v4
	s_waitcnt lgkmcnt(9)
	v_dot4c_i32_i8_e32 v77, v138, v4
	s_waitcnt lgkmcnt(3)
	v_dot4c_i32_i8_e32 v54, v126, v4
	v_dot4c_i32_i8_e32 v71, v163, v5
	;; [unrolled: 1-line block ×8, first 2 shown]
	s_waitcnt lgkmcnt(2)
	v_dot4c_i32_i8_e32 v54, v120, v6
	v_dot4c_i32_i8_e32 v71, v191, v7
	;; [unrolled: 1-line block ×8, first 2 shown]
	s_waitcnt lgkmcnt(1)
	v_dot4c_i32_i8_e32 v54, v122, v0
	v_dot4c_i32_i8_e32 v71, v193, v1
	;; [unrolled: 1-line block ×5, first 2 shown]
	v_or_b32_e32 v0, s5, v209
	v_dot4c_i32_i8_e32 v69, v186, v10
	v_dot4c_i32_i8_e32 v71, v194, v2
	;; [unrolled: 1-line block ×7, first 2 shown]
	s_waitcnt lgkmcnt(0)
	v_dot4c_i32_i8_e32 v54, v124, v2
	v_lshlrev_b32_e32 v1, 2, v0
	v_dot4c_i32_i8_e32 v69, v187, v11
	v_dot4c_i32_i8_e32 v71, v195, v3
	;; [unrolled: 1-line block ×7, first 2 shown]
	v_and_b32_e32 v247, 0xff, v8
	v_cvt_f32_ubyte0_e32 v118, v9
	v_dot4c_i32_i8_e32 v54, v125, v3
	v_lshrrev_b16_e32 v246, 8, v8
	v_cvt_f32_ubyte1_e32 v116, v9
	v_lshrrev_b32_e32 v75, 1, v0
	ds_read_b128 v[12:15], v1 offset:33280
	ds_read_b128 v[8:11], v1 offset:33296
	;; [unrolled: 1-line block ×4, first 2 shown]
	ds_read_b64 v[84:85], v75 offset:43584
	v_mov_b32_e32 v79, 0
	v_mov_b32_e32 v75, 0
	s_waitcnt lgkmcnt(2)
	v_dot4c_i32_i8_e32 v79, v162, v4
	v_dot4c_i32_i8_e32 v79, v163, v5
	;; [unrolled: 1-line block ×7, first 2 shown]
	s_waitcnt lgkmcnt(1)
	v_dot4c_i32_i8_e32 v79, v192, v0
	v_dot4c_i32_i8_e32 v75, v183, v15
	;; [unrolled: 1-line block ×5, first 2 shown]
	v_mul_lo_u32 v69, v69, v250
	v_dot4c_i32_i8_e32 v75, v185, v9
	v_dot4c_i32_i8_e32 v79, v195, v3
	s_waitcnt lgkmcnt(0)
	v_cvt_f32_f16_e32 v203, v84
	v_cvt_f32_f16_sdwa v205, v84 dst_sel:DWORD dst_unused:UNUSED_PAD src0_sel:WORD_1
	v_cvt_f32_i32_e32 v84, v69
	v_mul_lo_u32 v69, v71, v253
	v_dot4c_i32_i8_e32 v75, v186, v10
	v_cvt_f32_f16_e32 v202, v196
	v_cvt_f32_f16_sdwa v204, v196 dst_sel:DWORD dst_unused:UNUSED_PAD src0_sel:WORD_1
	v_mul_lo_u32 v71, v79, v253
	v_cvt_f32_i32_e32 v196, v69
	v_mov_b32_e32 v69, 0
	v_dot4c_i32_i8_e32 v75, v187, v11
	v_cvt_f32_f16_e32 v198, v197
	v_cvt_f32_f16_sdwa v200, v197 dst_sel:DWORD dst_unused:UNUSED_PAD src0_sel:WORD_1
	v_cvt_f32_i32_e32 v197, v71
	v_dot4c_i32_i8_e32 v69, v132, v12
	v_mov_b32_e32 v71, 0
	v_mul_lo_u32 v75, v75, v250
	v_dot4c_i32_i8_e32 v69, v133, v13
	v_dot4c_i32_i8_e32 v71, v140, v4
	v_cvt_f32_f16_e32 v199, v85
	v_cvt_f32_f16_sdwa v201, v85 dst_sel:DWORD dst_unused:UNUSED_PAD src0_sel:WORD_1
	v_cvt_f32_i32_e32 v85, v75
	v_dot4c_i32_i8_e32 v69, v150, v14
	v_dot4c_i32_i8_e32 v71, v141, v5
	v_dot4c_i32_i8_e32 v69, v151, v15
	v_dot4c_i32_i8_e32 v71, v170, v6
	v_dot4c_i32_i8_e32 v69, v156, v8
	v_dot4c_i32_i8_e32 v71, v171, v7
	v_pk_fma_f32 v[86:87], v[142:143], v[204:205], 0 op_sel_hi:[0,1,0]
	v_dot4c_i32_i8_e32 v69, v157, v9
	v_dot4c_i32_i8_e32 v71, v174, v0
	v_pk_fma_f32 v[84:85], v[202:203], v[84:85], 0 op_sel_hi:[1,1,0]
	v_pk_fma_f32 v[86:87], v[188:189], v[200:201], v[86:87] op_sel_hi:[0,1,1]
	v_dot4c_i32_i8_e32 v69, v160, v10
	v_dot4c_i32_i8_e32 v71, v175, v1
	v_pk_fma_f32 v[84:85], v[198:199], v[196:197], v[84:85]
	v_pk_mul_f32 v[86:87], v[86:87], v[102:103]
	v_dot4c_i32_i8_e32 v69, v161, v11
	v_dot4c_i32_i8_e32 v71, v178, v2
	v_pk_fma_f32 v[84:85], v[84:85], v[100:101], v[86:87] neg_lo:[0,0,1] neg_hi:[0,0,1]
	v_dot4c_i32_i8_e32 v71, v179, v3
	v_mul_lo_u32 v75, v254, v249
	v_mul_lo_u32 v69, v69, v249
	v_pk_add_f32 v[46:47], v[46:47], v[84:85]
	v_cvt_f32_i32_e32 v85, v69
	v_cvt_f32_i32_e32 v84, v75
	v_mul_lo_u32 v69, v73, v252
	v_mul_lo_u32 v71, v71, v252
	v_cvt_f32_i32_e32 v197, v71
	v_cvt_f32_i32_e32 v196, v69
	v_pk_fma_f32 v[86:87], v[136:137], v[204:205], 0 op_sel_hi:[0,1,0]
	v_pk_fma_f32 v[84:85], v[202:203], v[84:85], 0 op_sel_hi:[1,1,0]
	;; [unrolled: 1-line block ×3, first 2 shown]
	v_pk_fma_f32 v[84:85], v[198:199], v[196:197], v[84:85]
	v_pk_mul_f32 v[86:87], v[86:87], v[106:107]
	v_mul_lo_u32 v57, v57, v248
	v_pk_fma_f32 v[84:85], v[84:85], v[104:105], v[86:87] neg_lo:[0,0,1] neg_hi:[0,0,1]
	v_mov_b32_e32 v69, 0
	v_pk_add_f32 v[44:45], v[44:45], v[84:85]
	v_cvt_f32_i32_e32 v84, v57
	v_mul_lo_u32 v57, v77, v251
	v_cvt_f32_i32_e32 v196, v57
	v_mov_b32_e32 v57, 0
	v_dot4c_i32_i8_e32 v69, v130, v12
	v_dot4c_i32_i8_e32 v57, v128, v12
	v_dot4c_i32_i8_e32 v69, v131, v13
	v_dot4c_i32_i8_e32 v57, v129, v13
	v_dot4c_i32_i8_e32 v69, v146, v14
	v_dot4c_i32_i8_e32 v57, v144, v14
	v_dot4c_i32_i8_e32 v69, v147, v15
	v_dot4c_i32_i8_e32 v57, v145, v15
	v_dot4c_i32_i8_e32 v69, v152, v8
	v_dot4c_i32_i8_e32 v57, v148, v8
	v_mov_b32_e32 v8, 0
	v_dot4c_i32_i8_e32 v8, v126, v4
	v_mov_b32_e32 v71, 0
	v_dot4c_i32_i8_e32 v8, v127, v5
	v_dot4c_i32_i8_e32 v71, v138, v4
	;; [unrolled: 1-line block ×16, first 2 shown]
	v_mul_lo_u32 v0, v55, v247
	v_mul_lo_u32 v1, v57, v247
	v_dot4c_i32_i8_e32 v69, v153, v9
	v_cvt_f32_i32_e32 v1, v1
	v_cvt_f32_i32_e32 v0, v0
	v_mul_lo_u32 v4, v54, v246
	v_mul_lo_u32 v5, v8, v246
	v_dot4c_i32_i8_e32 v69, v158, v10
	v_cvt_f32_i32_e32 v5, v5
	v_cvt_f32_i32_e32 v4, v4
	v_dot4c_i32_i8_e32 v69, v159, v11
	v_dot4c_i32_i8_e32 v71, v176, v2
	;; [unrolled: 1-line block ×3, first 2 shown]
	v_pk_fma_f32 v[2:3], v[118:119], v[204:205], 0 op_sel_hi:[0,1,0]
	v_mul_lo_u32 v69, v69, v248
	v_cvt_f32_i32_e32 v85, v69
	v_mul_lo_u32 v69, v71, v251
	v_pk_fma_f32 v[0:1], v[202:203], v[0:1], 0 op_sel_hi:[1,1,0]
	v_pk_fma_f32 v[2:3], v[116:117], v[200:201], v[2:3] op_sel_hi:[0,1,1]
	v_cvt_f32_i32_e32 v197, v69
	v_pk_fma_f32 v[0:1], v[198:199], v[4:5], v[0:1]
	v_pk_mul_f32 v[2:3], v[2:3], v[114:115]
	v_pk_fma_f32 v[84:85], v[202:203], v[84:85], 0 op_sel_hi:[1,1,0]
	v_pk_fma_f32 v[0:1], v[0:1], v[112:113], v[2:3] neg_lo:[0,0,1] neg_hi:[0,0,1]
	v_pk_fma_f32 v[84:85], v[198:199], v[196:197], v[84:85]
	v_pk_add_f32 v[40:41], v[40:41], v[0:1]
	v_or_b32_e32 v0, s5, v212
	v_lshlrev_b32_e32 v1, 2, v0
	v_lshrrev_b32_e32 v54, 1, v0
	ds_read_b128 v[12:15], v1 offset:33280
	ds_read_b128 v[8:11], v1 offset:33296
	;; [unrolled: 1-line block ×4, first 2 shown]
	ds_read_b64 v[196:197], v54 offset:43584
	v_mov_b32_e32 v57, 0
	v_mov_b32_e32 v69, 0
	;; [unrolled: 1-line block ×8, first 2 shown]
	s_waitcnt lgkmcnt(4)
	v_dot4c_i32_i8_e32 v57, v180, v12
	s_waitcnt lgkmcnt(2)
	v_dot4c_i32_i8_e32 v69, v162, v4
	v_dot4c_i32_i8_e32 v71, v132, v12
	;; [unrolled: 1-line block ×31, first 2 shown]
	v_pk_fma_f32 v[86:87], v[134:135], v[204:205], 0 op_sel_hi:[0,1,0]
	v_dot4c_i32_i8_e32 v57, v184, v8
	s_waitcnt lgkmcnt(1)
	v_dot4c_i32_i8_e32 v69, v192, v0
	v_dot4c_i32_i8_e32 v71, v156, v8
	;; [unrolled: 1-line block ×7, first 2 shown]
	v_pk_fma_f32 v[86:87], v[164:165], v[200:201], v[86:87] op_sel_hi:[0,1,1]
	v_dot4c_i32_i8_e32 v57, v185, v9
	v_dot4c_i32_i8_e32 v69, v193, v1
	;; [unrolled: 1-line block ×8, first 2 shown]
	v_or_b32_e32 v0, s5, v215
	v_pk_mul_f32 v[86:87], v[86:87], v[110:111]
	v_dot4c_i32_i8_e32 v57, v186, v10
	v_dot4c_i32_i8_e32 v69, v194, v2
	;; [unrolled: 1-line block ×8, first 2 shown]
	v_lshlrev_b32_e32 v1, 2, v0
	v_lshrrev_b32_e32 v54, 1, v0
	v_pk_fma_f32 v[84:85], v[84:85], v[108:109], v[86:87] neg_lo:[0,0,1] neg_hi:[0,0,1]
	v_dot4c_i32_i8_e32 v57, v187, v11
	v_dot4c_i32_i8_e32 v69, v195, v3
	;; [unrolled: 1-line block ×8, first 2 shown]
	ds_read_b128 v[12:15], v1 offset:33280
	ds_read_b128 v[8:11], v1 offset:33296
	;; [unrolled: 1-line block ×4, first 2 shown]
	ds_read_b64 v[54:55], v54 offset:43584
	v_pk_add_f32 v[42:43], v[42:43], v[84:85]
	v_mov_b32_e32 v84, 0
	s_waitcnt lgkmcnt(4)
	v_dot4c_i32_i8_e32 v84, v180, v12
	v_mov_b32_e32 v86, 0
	v_dot4c_i32_i8_e32 v84, v181, v13
	s_waitcnt lgkmcnt(2)
	v_dot4c_i32_i8_e32 v86, v162, v4
	v_dot4c_i32_i8_e32 v84, v182, v14
	;; [unrolled: 1-line block ×8, first 2 shown]
	s_waitcnt lgkmcnt(1)
	v_dot4c_i32_i8_e32 v86, v192, v0
	v_dot4c_i32_i8_e32 v84, v186, v10
	v_dot4c_i32_i8_e32 v86, v193, v1
	v_dot4c_i32_i8_e32 v84, v187, v11
	v_dot4c_i32_i8_e32 v86, v194, v2
	v_dot4c_i32_i8_e32 v86, v195, v3
	s_waitcnt lgkmcnt(0)
	v_cvt_f32_f16_e32 v203, v54
	v_cvt_f32_f16_sdwa v205, v54 dst_sel:DWORD dst_unused:UNUSED_PAD src0_sel:WORD_1
	v_cvt_f32_f16_sdwa v204, v196 dst_sel:DWORD dst_unused:UNUSED_PAD src0_sel:WORD_1
	v_cvt_f32_f16_e32 v199, v55
	v_cvt_f32_f16_sdwa v201, v55 dst_sel:DWORD dst_unused:UNUSED_PAD src0_sel:WORD_1
	v_mul_lo_u32 v54, v57, v250
	v_mul_lo_u32 v55, v84, v250
	v_cvt_f32_f16_e32 v202, v196
	v_cvt_f32_f16_sdwa v200, v197 dst_sel:DWORD dst_unused:UNUSED_PAD src0_sel:WORD_1
	v_cvt_f32_i32_e32 v55, v55
	v_cvt_f32_i32_e32 v54, v54
	v_mul_lo_u32 v57, v69, v253
	v_mul_lo_u32 v69, v86, v253
	v_cvt_f32_f16_e32 v198, v197
	v_cvt_f32_i32_e32 v87, v69
	v_cvt_f32_i32_e32 v86, v57
	v_pk_fma_f32 v[84:85], v[142:143], v[204:205], 0 op_sel_hi:[0,1,0]
	v_pk_fma_f32 v[54:55], v[54:55], v[202:203], 0 op_sel_hi:[1,1,0]
	;; [unrolled: 1-line block ×3, first 2 shown]
	v_pk_fma_f32 v[54:55], v[86:87], v[198:199], v[54:55]
	v_pk_mul_f32 v[84:85], v[84:85], v[102:103]
	v_mov_b32_e32 v57, 0
	v_pk_fma_f32 v[54:55], v[54:55], v[100:101], v[84:85] neg_lo:[0,0,1] neg_hi:[0,0,1]
	v_dot4c_i32_i8_e32 v57, v140, v4
	v_pk_add_f32 v[38:39], v[38:39], v[54:55]
	v_mov_b32_e32 v54, 0
	v_dot4c_i32_i8_e32 v54, v132, v12
	v_dot4c_i32_i8_e32 v54, v133, v13
	;; [unrolled: 1-line block ×15, first 2 shown]
	v_mul_lo_u32 v69, v71, v249
	v_mul_lo_u32 v54, v54, v249
	v_cvt_f32_i32_e32 v55, v54
	v_cvt_f32_i32_e32 v54, v69
	v_mul_lo_u32 v69, v73, v252
	v_mul_lo_u32 v57, v57, v252
	v_cvt_f32_i32_e32 v87, v57
	v_cvt_f32_i32_e32 v86, v69
	v_pk_fma_f32 v[84:85], v[136:137], v[204:205], 0 op_sel_hi:[0,1,0]
	v_pk_fma_f32 v[54:55], v[54:55], v[202:203], 0 op_sel_hi:[1,1,0]
	v_pk_fma_f32 v[84:85], v[166:167], v[200:201], v[84:85] op_sel_hi:[0,1,1]
	v_pk_fma_f32 v[54:55], v[86:87], v[198:199], v[54:55]
	v_pk_mul_f32 v[84:85], v[84:85], v[106:107]
	v_mov_b32_e32 v57, 0
	v_pk_fma_f32 v[54:55], v[54:55], v[104:105], v[84:85] neg_lo:[0,0,1] neg_hi:[0,0,1]
	v_dot4c_i32_i8_e32 v57, v138, v4
	v_pk_add_f32 v[36:37], v[36:37], v[54:55]
	v_mov_b32_e32 v54, 0
	v_dot4c_i32_i8_e32 v54, v130, v12
	v_dot4c_i32_i8_e32 v54, v131, v13
	;; [unrolled: 1-line block ×15, first 2 shown]
	v_mul_lo_u32 v69, v75, v248
	v_mul_lo_u32 v54, v54, v248
	v_cvt_f32_i32_e32 v55, v54
	v_cvt_f32_i32_e32 v54, v69
	v_mul_lo_u32 v69, v77, v251
	v_mul_lo_u32 v57, v57, v251
	v_cvt_f32_i32_e32 v87, v57
	v_cvt_f32_i32_e32 v86, v69
	v_pk_fma_f32 v[84:85], v[134:135], v[204:205], 0 op_sel_hi:[0,1,0]
	v_pk_fma_f32 v[54:55], v[54:55], v[202:203], 0 op_sel_hi:[1,1,0]
	;; [unrolled: 1-line block ×3, first 2 shown]
	v_pk_fma_f32 v[54:55], v[86:87], v[198:199], v[54:55]
	v_pk_mul_f32 v[84:85], v[84:85], v[110:111]
	v_mov_b32_e32 v57, 0
	v_pk_fma_f32 v[54:55], v[54:55], v[108:109], v[84:85] neg_lo:[0,0,1] neg_hi:[0,0,1]
	v_mov_b32_e32 v69, 0
	v_pk_add_f32 v[34:35], v[34:35], v[54:55]
	v_mov_b32_e32 v54, 0
	v_dot4c_i32_i8_e32 v54, v128, v12
	v_dot4c_i32_i8_e32 v54, v129, v13
	;; [unrolled: 1-line block ×5, first 2 shown]
	v_mov_b32_e32 v8, 0
	v_dot4c_i32_i8_e32 v8, v126, v4
	v_dot4c_i32_i8_e32 v8, v127, v5
	;; [unrolled: 1-line block ×11, first 2 shown]
	v_mul_lo_u32 v0, v79, v247
	v_mul_lo_u32 v1, v54, v247
	v_cvt_f32_i32_e32 v1, v1
	v_cvt_f32_i32_e32 v0, v0
	v_mul_lo_u32 v4, v254, v246
	v_mul_lo_u32 v5, v8, v246
	v_cvt_f32_i32_e32 v5, v5
	v_cvt_f32_i32_e32 v4, v4
	v_pk_fma_f32 v[2:3], v[118:119], v[204:205], 0 op_sel_hi:[0,1,0]
	v_pk_fma_f32 v[0:1], v[0:1], v[202:203], 0 op_sel_hi:[1,1,0]
	;; [unrolled: 1-line block ×3, first 2 shown]
	v_pk_fma_f32 v[0:1], v[4:5], v[198:199], v[0:1]
	v_pk_mul_f32 v[2:3], v[2:3], v[114:115]
	v_mov_b32_e32 v71, 0
	v_pk_fma_f32 v[0:1], v[0:1], v[112:113], v[2:3] neg_lo:[0,0,1] neg_hi:[0,0,1]
	v_mov_b32_e32 v73, 0
	v_pk_add_f32 v[32:33], v[32:33], v[0:1]
	v_or_b32_e32 v0, s5, v218
	v_lshlrev_b32_e32 v1, 2, v0
	v_lshrrev_b32_e32 v54, 1, v0
	ds_read_b128 v[12:15], v1 offset:33280
	ds_read_b128 v[8:11], v1 offset:33296
	;; [unrolled: 1-line block ×4, first 2 shown]
	ds_read_b64 v[196:197], v54 offset:43584
	v_mov_b32_e32 v75, 0
	v_mov_b32_e32 v77, 0
	;; [unrolled: 1-line block ×4, first 2 shown]
	s_waitcnt lgkmcnt(4)
	v_dot4c_i32_i8_e32 v57, v180, v12
	s_waitcnt lgkmcnt(2)
	v_dot4c_i32_i8_e32 v69, v162, v4
	v_dot4c_i32_i8_e32 v71, v132, v12
	;; [unrolled: 1-line block ×32, first 2 shown]
	s_waitcnt lgkmcnt(1)
	v_dot4c_i32_i8_e32 v69, v192, v0
	v_dot4c_i32_i8_e32 v71, v156, v8
	;; [unrolled: 1-line block ×15, first 2 shown]
	v_or_b32_e32 v0, s5, v221
	v_dot4c_i32_i8_e32 v57, v186, v10
	v_dot4c_i32_i8_e32 v69, v194, v2
	;; [unrolled: 1-line block ×8, first 2 shown]
	v_lshlrev_b32_e32 v1, 2, v0
	v_lshrrev_b32_e32 v54, 1, v0
	v_dot4c_i32_i8_e32 v57, v187, v11
	v_dot4c_i32_i8_e32 v69, v195, v3
	;; [unrolled: 1-line block ×8, first 2 shown]
	ds_read_b128 v[12:15], v1 offset:33280
	ds_read_b128 v[8:11], v1 offset:33296
	ds_read_b128 v[4:7], v1 offset:33312
	ds_read_b128 v[0:3], v1 offset:33328
	ds_read_b64 v[54:55], v54 offset:43584
	v_mov_b32_e32 v84, 0
	s_waitcnt lgkmcnt(4)
	v_dot4c_i32_i8_e32 v84, v180, v12
	v_mov_b32_e32 v86, 0
	v_dot4c_i32_i8_e32 v84, v181, v13
	s_waitcnt lgkmcnt(2)
	v_dot4c_i32_i8_e32 v86, v162, v4
	v_dot4c_i32_i8_e32 v84, v182, v14
	;; [unrolled: 1-line block ×8, first 2 shown]
	s_waitcnt lgkmcnt(1)
	v_dot4c_i32_i8_e32 v86, v192, v0
	v_dot4c_i32_i8_e32 v84, v186, v10
	;; [unrolled: 1-line block ×6, first 2 shown]
	s_waitcnt lgkmcnt(0)
	v_cvt_f32_f16_e32 v203, v54
	v_cvt_f32_f16_sdwa v205, v54 dst_sel:DWORD dst_unused:UNUSED_PAD src0_sel:WORD_1
	v_cvt_f32_f16_sdwa v204, v196 dst_sel:DWORD dst_unused:UNUSED_PAD src0_sel:WORD_1
	v_cvt_f32_f16_e32 v199, v55
	v_cvt_f32_f16_sdwa v201, v55 dst_sel:DWORD dst_unused:UNUSED_PAD src0_sel:WORD_1
	v_mul_lo_u32 v54, v57, v250
	v_mul_lo_u32 v55, v84, v250
	v_cvt_f32_f16_e32 v202, v196
	v_cvt_f32_f16_sdwa v200, v197 dst_sel:DWORD dst_unused:UNUSED_PAD src0_sel:WORD_1
	v_cvt_f32_i32_e32 v55, v55
	v_cvt_f32_i32_e32 v54, v54
	v_mul_lo_u32 v57, v69, v253
	v_mul_lo_u32 v69, v86, v253
	v_cvt_f32_f16_e32 v198, v197
	v_cvt_f32_i32_e32 v87, v69
	v_cvt_f32_i32_e32 v86, v57
	v_pk_fma_f32 v[84:85], v[142:143], v[204:205], 0 op_sel_hi:[0,1,0]
	v_pk_fma_f32 v[54:55], v[54:55], v[202:203], 0 op_sel_hi:[1,1,0]
	;; [unrolled: 1-line block ×3, first 2 shown]
	v_pk_fma_f32 v[54:55], v[86:87], v[198:199], v[54:55]
	v_pk_mul_f32 v[84:85], v[84:85], v[102:103]
	v_mov_b32_e32 v57, 0
	v_pk_fma_f32 v[54:55], v[54:55], v[100:101], v[84:85] neg_lo:[0,0,1] neg_hi:[0,0,1]
	v_dot4c_i32_i8_e32 v57, v140, v4
	v_pk_add_f32 v[30:31], v[30:31], v[54:55]
	v_mov_b32_e32 v54, 0
	v_dot4c_i32_i8_e32 v54, v132, v12
	v_dot4c_i32_i8_e32 v54, v133, v13
	;; [unrolled: 1-line block ×15, first 2 shown]
	v_mul_lo_u32 v69, v71, v249
	v_mul_lo_u32 v54, v54, v249
	v_cvt_f32_i32_e32 v55, v54
	v_cvt_f32_i32_e32 v54, v69
	v_mul_lo_u32 v69, v73, v252
	v_mul_lo_u32 v57, v57, v252
	v_cvt_f32_i32_e32 v87, v57
	v_cvt_f32_i32_e32 v86, v69
	v_pk_fma_f32 v[84:85], v[136:137], v[204:205], 0 op_sel_hi:[0,1,0]
	v_pk_fma_f32 v[54:55], v[54:55], v[202:203], 0 op_sel_hi:[1,1,0]
	;; [unrolled: 1-line block ×3, first 2 shown]
	v_pk_fma_f32 v[54:55], v[86:87], v[198:199], v[54:55]
	v_pk_mul_f32 v[84:85], v[84:85], v[106:107]
	v_mov_b32_e32 v57, 0
	v_pk_fma_f32 v[54:55], v[54:55], v[104:105], v[84:85] neg_lo:[0,0,1] neg_hi:[0,0,1]
	v_dot4c_i32_i8_e32 v57, v138, v4
	v_pk_add_f32 v[28:29], v[28:29], v[54:55]
	v_mov_b32_e32 v54, 0
	v_dot4c_i32_i8_e32 v54, v130, v12
	v_dot4c_i32_i8_e32 v54, v131, v13
	;; [unrolled: 1-line block ×15, first 2 shown]
	v_mul_lo_u32 v69, v75, v248
	v_mul_lo_u32 v54, v54, v248
	v_cvt_f32_i32_e32 v55, v54
	v_cvt_f32_i32_e32 v54, v69
	v_mul_lo_u32 v69, v77, v251
	v_mul_lo_u32 v57, v57, v251
	v_cvt_f32_i32_e32 v87, v57
	v_cvt_f32_i32_e32 v86, v69
	v_pk_fma_f32 v[84:85], v[134:135], v[204:205], 0 op_sel_hi:[0,1,0]
	v_pk_fma_f32 v[54:55], v[54:55], v[202:203], 0 op_sel_hi:[1,1,0]
	;; [unrolled: 1-line block ×3, first 2 shown]
	v_pk_fma_f32 v[54:55], v[86:87], v[198:199], v[54:55]
	v_pk_mul_f32 v[84:85], v[84:85], v[110:111]
	v_mov_b32_e32 v57, 0
	v_pk_fma_f32 v[54:55], v[54:55], v[108:109], v[84:85] neg_lo:[0,0,1] neg_hi:[0,0,1]
	v_mov_b32_e32 v69, 0
	v_pk_add_f32 v[26:27], v[26:27], v[54:55]
	v_mov_b32_e32 v54, 0
	v_dot4c_i32_i8_e32 v54, v128, v12
	v_dot4c_i32_i8_e32 v54, v129, v13
	;; [unrolled: 1-line block ×5, first 2 shown]
	v_mov_b32_e32 v8, 0
	v_dot4c_i32_i8_e32 v8, v126, v4
	v_dot4c_i32_i8_e32 v8, v127, v5
	;; [unrolled: 1-line block ×11, first 2 shown]
	v_mul_lo_u32 v0, v79, v247
	v_mul_lo_u32 v1, v54, v247
	v_cvt_f32_i32_e32 v1, v1
	v_cvt_f32_i32_e32 v0, v0
	v_mul_lo_u32 v4, v254, v246
	v_mul_lo_u32 v5, v8, v246
	v_cvt_f32_i32_e32 v5, v5
	v_cvt_f32_i32_e32 v4, v4
	v_pk_fma_f32 v[2:3], v[118:119], v[204:205], 0 op_sel_hi:[0,1,0]
	v_pk_fma_f32 v[0:1], v[0:1], v[202:203], 0 op_sel_hi:[1,1,0]
	;; [unrolled: 1-line block ×3, first 2 shown]
	v_pk_fma_f32 v[0:1], v[4:5], v[198:199], v[0:1]
	v_pk_mul_f32 v[2:3], v[2:3], v[114:115]
	v_mov_b32_e32 v71, 0
	v_pk_fma_f32 v[0:1], v[0:1], v[112:113], v[2:3] neg_lo:[0,0,1] neg_hi:[0,0,1]
	v_mov_b32_e32 v73, 0
	v_pk_add_f32 v[24:25], v[24:25], v[0:1]
	v_or_b32_e32 v0, s5, v224
	v_lshlrev_b32_e32 v1, 2, v0
	v_lshrrev_b32_e32 v54, 1, v0
	ds_read_b128 v[12:15], v1 offset:33280
	ds_read_b128 v[8:11], v1 offset:33296
	;; [unrolled: 1-line block ×4, first 2 shown]
	ds_read_b64 v[196:197], v54 offset:43584
	v_mov_b32_e32 v75, 0
	v_mov_b32_e32 v77, 0
	;; [unrolled: 1-line block ×4, first 2 shown]
	s_waitcnt lgkmcnt(4)
	v_dot4c_i32_i8_e32 v57, v180, v12
	s_waitcnt lgkmcnt(2)
	v_dot4c_i32_i8_e32 v69, v162, v4
	v_dot4c_i32_i8_e32 v71, v132, v12
	;; [unrolled: 1-line block ×32, first 2 shown]
	s_waitcnt lgkmcnt(1)
	v_dot4c_i32_i8_e32 v69, v192, v0
	v_dot4c_i32_i8_e32 v71, v156, v8
	v_dot4c_i32_i8_e32 v73, v174, v0
	v_dot4c_i32_i8_e32 v75, v152, v8
	v_dot4c_i32_i8_e32 v77, v172, v0
	v_dot4c_i32_i8_e32 v199, v148, v8
	v_dot4c_i32_i8_e32 v198, v122, v0
	v_dot4c_i32_i8_e32 v57, v185, v9
	v_dot4c_i32_i8_e32 v69, v193, v1
	v_dot4c_i32_i8_e32 v71, v157, v9
	v_dot4c_i32_i8_e32 v73, v175, v1
	v_dot4c_i32_i8_e32 v75, v153, v9
	v_dot4c_i32_i8_e32 v77, v173, v1
	v_dot4c_i32_i8_e32 v199, v149, v9
	v_dot4c_i32_i8_e32 v198, v123, v1
	v_or_b32_e32 v0, s5, v227
	v_dot4c_i32_i8_e32 v57, v186, v10
	v_dot4c_i32_i8_e32 v69, v194, v2
	;; [unrolled: 1-line block ×8, first 2 shown]
	v_lshlrev_b32_e32 v1, 2, v0
	v_lshrrev_b32_e32 v54, 1, v0
	v_dot4c_i32_i8_e32 v57, v187, v11
	v_dot4c_i32_i8_e32 v69, v195, v3
	;; [unrolled: 1-line block ×8, first 2 shown]
	ds_read_b128 v[12:15], v1 offset:33280
	ds_read_b128 v[8:11], v1 offset:33296
	;; [unrolled: 1-line block ×4, first 2 shown]
	ds_read_b64 v[54:55], v54 offset:43584
	v_mov_b32_e32 v79, 0
	s_waitcnt lgkmcnt(4)
	v_dot4c_i32_i8_e32 v79, v180, v12
	v_mov_b32_e32 v86, 0
	v_dot4c_i32_i8_e32 v79, v181, v13
	s_waitcnt lgkmcnt(2)
	v_dot4c_i32_i8_e32 v86, v162, v4
	v_dot4c_i32_i8_e32 v79, v182, v14
	;; [unrolled: 1-line block ×8, first 2 shown]
	s_waitcnt lgkmcnt(1)
	v_dot4c_i32_i8_e32 v86, v192, v0
	v_dot4c_i32_i8_e32 v79, v186, v10
	v_dot4c_i32_i8_e32 v86, v193, v1
	v_dot4c_i32_i8_e32 v79, v187, v11
	v_dot4c_i32_i8_e32 v86, v194, v2
	v_dot4c_i32_i8_e32 v86, v195, v3
	s_waitcnt lgkmcnt(0)
	v_cvt_f32_f16_e32 v185, v54
	v_cvt_f32_f16_sdwa v183, v54 dst_sel:DWORD dst_unused:UNUSED_PAD src0_sel:WORD_1
	v_cvt_f32_f16_sdwa v182, v196 dst_sel:DWORD dst_unused:UNUSED_PAD src0_sel:WORD_1
	v_cvt_f32_f16_e32 v181, v55
	v_cvt_f32_f16_sdwa v163, v55 dst_sel:DWORD dst_unused:UNUSED_PAD src0_sel:WORD_1
	v_mul_lo_u32 v54, v57, v250
	v_mul_lo_u32 v55, v79, v250
	v_cvt_f32_f16_e32 v184, v196
	v_cvt_f32_f16_sdwa v162, v197 dst_sel:DWORD dst_unused:UNUSED_PAD src0_sel:WORD_1
	v_cvt_f32_i32_e32 v55, v55
	v_cvt_f32_i32_e32 v54, v54
	v_mul_lo_u32 v57, v69, v253
	v_mul_lo_u32 v69, v86, v253
	v_cvt_f32_f16_e32 v180, v197
	v_cvt_f32_i32_e32 v87, v69
	v_cvt_f32_i32_e32 v86, v57
	v_pk_fma_f32 v[84:85], v[142:143], v[182:183], 0 op_sel_hi:[0,1,0]
	v_pk_fma_f32 v[54:55], v[54:55], v[184:185], 0 op_sel_hi:[1,1,0]
	;; [unrolled: 1-line block ×3, first 2 shown]
	v_pk_fma_f32 v[54:55], v[86:87], v[180:181], v[54:55]
	v_pk_mul_f32 v[84:85], v[84:85], v[102:103]
	v_mov_b32_e32 v57, 0
	v_pk_fma_f32 v[54:55], v[54:55], v[100:101], v[84:85] neg_lo:[0,0,1] neg_hi:[0,0,1]
	v_dot4c_i32_i8_e32 v57, v140, v4
	v_pk_add_f32 v[22:23], v[22:23], v[54:55]
	v_mov_b32_e32 v54, 0
	v_dot4c_i32_i8_e32 v54, v132, v12
	v_dot4c_i32_i8_e32 v54, v133, v13
	;; [unrolled: 1-line block ×15, first 2 shown]
	v_mul_lo_u32 v69, v71, v249
	v_mul_lo_u32 v54, v54, v249
	v_cvt_f32_i32_e32 v55, v54
	v_cvt_f32_i32_e32 v54, v69
	v_mul_lo_u32 v69, v73, v252
	v_mul_lo_u32 v57, v57, v252
	v_cvt_f32_i32_e32 v87, v57
	v_cvt_f32_i32_e32 v86, v69
	v_pk_fma_f32 v[84:85], v[136:137], v[182:183], 0 op_sel_hi:[0,1,0]
	v_pk_fma_f32 v[54:55], v[54:55], v[184:185], 0 op_sel_hi:[1,1,0]
	;; [unrolled: 1-line block ×3, first 2 shown]
	v_pk_fma_f32 v[54:55], v[86:87], v[180:181], v[54:55]
	v_pk_mul_f32 v[84:85], v[84:85], v[106:107]
	v_mov_b32_e32 v57, 0
	v_pk_fma_f32 v[54:55], v[54:55], v[104:105], v[84:85] neg_lo:[0,0,1] neg_hi:[0,0,1]
	v_dot4c_i32_i8_e32 v57, v138, v4
	v_pk_add_f32 v[20:21], v[20:21], v[54:55]
	v_mov_b32_e32 v54, 0
	v_dot4c_i32_i8_e32 v54, v130, v12
	v_mov_b32_e32 v130, 0
	v_dot4c_i32_i8_e32 v130, v128, v12
	v_dot4c_i32_i8_e32 v54, v131, v13
	;; [unrolled: 1-line block ×9, first 2 shown]
	v_mov_b32_e32 v8, 0
	v_dot4c_i32_i8_e32 v8, v126, v4
	v_dot4c_i32_i8_e32 v57, v139, v5
	;; [unrolled: 1-line block ×20, first 2 shown]
	v_mul_lo_u32 v69, v75, v248
	v_mul_lo_u32 v54, v54, v248
	v_dot4c_i32_i8_e32 v8, v125, v3
	v_mul_lo_u32 v0, v199, v247
	v_mul_lo_u32 v1, v130, v247
	v_cvt_f32_i32_e32 v55, v54
	v_cvt_f32_i32_e32 v54, v69
	v_mul_lo_u32 v69, v77, v251
	v_mul_lo_u32 v57, v57, v251
	v_cvt_f32_i32_e32 v1, v1
	v_cvt_f32_i32_e32 v0, v0
	;; [unrolled: 4-line block ×3, first 2 shown]
	v_cvt_f32_i32_e32 v5, v5
	v_cvt_f32_i32_e32 v4, v4
	v_pk_fma_f32 v[84:85], v[134:135], v[182:183], 0 op_sel_hi:[0,1,0]
	v_pk_fma_f32 v[2:3], v[118:119], v[182:183], 0 op_sel_hi:[0,1,0]
	v_pk_fma_f32 v[54:55], v[54:55], v[184:185], 0 op_sel_hi:[1,1,0]
	v_pk_fma_f32 v[84:85], v[164:165], v[162:163], v[84:85] op_sel_hi:[0,1,1]
	v_pk_fma_f32 v[0:1], v[0:1], v[184:185], 0 op_sel_hi:[1,1,0]
	v_pk_fma_f32 v[2:3], v[116:117], v[162:163], v[2:3] op_sel_hi:[0,1,1]
	v_pk_fma_f32 v[54:55], v[86:87], v[180:181], v[54:55]
	v_pk_mul_f32 v[84:85], v[84:85], v[110:111]
	v_pk_fma_f32 v[0:1], v[4:5], v[180:181], v[0:1]
	v_pk_mul_f32 v[2:3], v[2:3], v[114:115]
	v_pk_fma_f32 v[54:55], v[54:55], v[108:109], v[84:85] neg_lo:[0,0,1] neg_hi:[0,0,1]
	v_pk_fma_f32 v[0:1], v[0:1], v[112:113], v[2:3] neg_lo:[0,0,1] neg_hi:[0,0,1]
	s_add_i32 s5, s4, 8
	v_pk_add_f32 v[18:19], v[18:19], v[54:55]
	v_pk_add_f32 v[16:17], v[16:17], v[0:1]
	s_cmp_lt_u32 s4, 24
	s_mov_b32 s4, s5
	s_cbranch_scc1 .LBB173_8
; %bb.9:                                ;   in Loop: Header=BB173_5 Depth=1
	s_add_i32 s0, s0, 1
	s_cmp_eq_u32 s0, s7
	s_barrier
	s_cbranch_scc0 .LBB173_5
; %bb.10:
	scratch_load_dword v1, off, off offset:24 ; 4-byte Folded Reload
	scratch_load_dword v2, off, off offset:28 ; 4-byte Folded Reload
.LBB173_11:
	s_waitcnt vmcnt(0)
	v_cmp_gt_u32_e32 vcc, s8, v2
	s_and_saveexec_b64 s[0:1], vcc
	s_cbranch_execz .LBB173_62
; %bb.12:
	v_add_u32_e32 v0, s6, v49
	v_mul_lo_u32 v5, v2, s10
	v_cmp_gt_u32_e32 vcc, s10, v0
	s_and_saveexec_b64 s[2:3], vcc
	s_cbranch_execz .LBB173_14
; %bb.13:
	v_bfe_u32 v2, v46, 16, 1
	s_movk_i32 s0, 0x7fff
	v_add3_u32 v2, v46, v2, s0
	v_lshrrev_b32_e32 v2, 16, v2
	v_mov_b32_e32 v3, 0x7fc0
	v_cmp_o_f32_e64 s[0:1], v46, v46
	s_nop 1
	v_cndmask_b32_e64 v4, v3, v2, s[0:1]
	v_add_u32_e32 v2, v0, v5
	v_mov_b32_e32 v3, 0
	s_waitcnt lgkmcnt(0)
	v_lshl_add_u64 v[2:3], v[2:3], 1, s[12:13]
	global_store_short v[2:3], v4, off
.LBB173_14:
	s_or_b64 exec, exec, s[2:3]
	v_add_u32_e32 v2, 32, v0
	v_cmp_gt_u32_e64 s[0:1], s10, v2
	s_and_saveexec_b64 s[4:5], s[0:1]
	s_cbranch_execz .LBB173_16
; %bb.15:
	v_bfe_u32 v3, v44, 16, 1
	s_movk_i32 s2, 0x7fff
	v_add3_u32 v3, v44, v3, s2
	v_lshrrev_b32_e32 v3, 16, v3
	v_mov_b32_e32 v4, 0x7fc0
	v_cmp_o_f32_e64 s[2:3], v44, v44
	v_add_u32_e32 v6, v2, v5
	v_mov_b32_e32 v7, 0
	v_cndmask_b32_e64 v3, v4, v3, s[2:3]
	s_waitcnt lgkmcnt(0)
	v_lshl_add_u64 v[6:7], v[6:7], 1, s[12:13]
	global_store_short v[6:7], v3, off
.LBB173_16:
	s_or_b64 exec, exec, s[4:5]
	v_add_u32_e32 v3, 64, v0
	v_cmp_gt_u32_e64 s[2:3], s10, v3
	s_and_saveexec_b64 s[6:7], s[2:3]
	s_cbranch_execz .LBB173_18
; %bb.17:
	v_bfe_u32 v4, v42, 16, 1
	s_movk_i32 s4, 0x7fff
	v_add3_u32 v4, v42, v4, s4
	v_lshrrev_b32_e32 v4, 16, v4
	v_mov_b32_e32 v6, 0x7fc0
	v_cmp_o_f32_e64 s[4:5], v42, v42
	v_mov_b32_e32 v7, 0
	s_nop 0
	v_cndmask_b32_e64 v4, v6, v4, s[4:5]
	v_add_u32_e32 v6, v3, v5
	s_waitcnt lgkmcnt(0)
	v_lshl_add_u64 v[6:7], v[6:7], 1, s[12:13]
	global_store_short v[6:7], v4, off
.LBB173_18:
	s_or_b64 exec, exec, s[6:7]
	v_add_u32_e32 v4, 0x60, v0
	v_cmp_gt_u32_e64 s[4:5], s10, v4
	s_and_saveexec_b64 s[14:15], s[4:5]
	s_cbranch_execz .LBB173_20
; %bb.19:
	v_bfe_u32 v6, v40, 16, 1
	s_movk_i32 s6, 0x7fff
	v_add3_u32 v6, v40, v6, s6
	v_lshrrev_b32_e32 v6, 16, v6
	v_mov_b32_e32 v7, 0x7fc0
	v_cmp_o_f32_e64 s[6:7], v40, v40
	s_nop 1
	v_cndmask_b32_e64 v8, v7, v6, s[6:7]
	v_add_u32_e32 v6, v4, v5
	v_mov_b32_e32 v7, 0
	s_waitcnt lgkmcnt(0)
	v_lshl_add_u64 v[6:7], v[6:7], 1, s[12:13]
	global_store_short v[6:7], v8, off
.LBB173_20:
	s_or_b64 exec, exec, s[14:15]
	v_add3_u32 v5, v1, s11, 8
	v_cmp_gt_u32_e64 s[6:7], s8, v5
	s_and_b64 exec, exec, s[6:7]
	s_cbranch_execz .LBB173_62
; %bb.21:
	v_mul_lo_u32 v5, v5, s10
	s_and_saveexec_b64 s[14:15], vcc
	s_cbranch_execnz .LBB173_63
; %bb.22:
	s_or_b64 exec, exec, s[14:15]
	s_and_saveexec_b64 s[14:15], s[0:1]
	s_cbranch_execnz .LBB173_64
.LBB173_23:
	s_or_b64 exec, exec, s[14:15]
	s_and_saveexec_b64 s[14:15], s[2:3]
	s_cbranch_execnz .LBB173_65
.LBB173_24:
	s_or_b64 exec, exec, s[14:15]
	s_and_saveexec_b64 s[14:15], s[4:5]
	s_cbranch_execz .LBB173_26
.LBB173_25:
	v_bfe_u32 v6, v41, 16, 1
	s_movk_i32 s6, 0x7fff
	v_add3_u32 v6, v41, v6, s6
	v_lshrrev_b32_e32 v6, 16, v6
	v_mov_b32_e32 v7, 0x7fc0
	v_cmp_o_f32_e64 s[6:7], v41, v41
	s_nop 1
	v_cndmask_b32_e64 v8, v7, v6, s[6:7]
	v_add_u32_e32 v6, v5, v4
	v_mov_b32_e32 v7, 0
	s_waitcnt lgkmcnt(0)
	v_lshl_add_u64 v[6:7], v[6:7], 1, s[12:13]
	global_store_short v[6:7], v8, off
.LBB173_26:
	s_or_b64 exec, exec, s[14:15]
	v_add3_u32 v5, v1, s11, 16
	v_cmp_gt_u32_e64 s[6:7], s8, v5
	s_and_b64 exec, exec, s[6:7]
	s_cbranch_execz .LBB173_62
; %bb.27:
	v_mul_lo_u32 v5, v5, s10
	s_and_saveexec_b64 s[14:15], vcc
	s_cbranch_execnz .LBB173_66
; %bb.28:
	s_or_b64 exec, exec, s[14:15]
	s_and_saveexec_b64 s[14:15], s[0:1]
	s_cbranch_execnz .LBB173_67
.LBB173_29:
	s_or_b64 exec, exec, s[14:15]
	s_and_saveexec_b64 s[14:15], s[2:3]
	s_cbranch_execnz .LBB173_68
.LBB173_30:
	s_or_b64 exec, exec, s[14:15]
	s_and_saveexec_b64 s[14:15], s[4:5]
	s_cbranch_execz .LBB173_32
.LBB173_31:
	v_bfe_u32 v6, v32, 16, 1
	s_movk_i32 s6, 0x7fff
	v_add3_u32 v6, v32, v6, s6
	v_lshrrev_b32_e32 v6, 16, v6
	v_mov_b32_e32 v7, 0x7fc0
	v_cmp_o_f32_e64 s[6:7], v32, v32
	s_nop 1
	v_cndmask_b32_e64 v8, v7, v6, s[6:7]
	v_add_u32_e32 v6, v5, v4
	v_mov_b32_e32 v7, 0
	s_waitcnt lgkmcnt(0)
	v_lshl_add_u64 v[6:7], v[6:7], 1, s[12:13]
	global_store_short v[6:7], v8, off
.LBB173_32:
	s_or_b64 exec, exec, s[14:15]
	v_add3_u32 v5, v1, s11, 24
	v_cmp_gt_u32_e64 s[6:7], s8, v5
	s_and_b64 exec, exec, s[6:7]
	s_cbranch_execz .LBB173_62
; %bb.33:
	v_mul_lo_u32 v5, v5, s10
	s_and_saveexec_b64 s[14:15], vcc
	s_cbranch_execnz .LBB173_69
; %bb.34:
	s_or_b64 exec, exec, s[14:15]
	s_and_saveexec_b64 s[14:15], s[0:1]
	s_cbranch_execnz .LBB173_70
.LBB173_35:
	s_or_b64 exec, exec, s[14:15]
	s_and_saveexec_b64 s[14:15], s[2:3]
	s_cbranch_execnz .LBB173_71
.LBB173_36:
	s_or_b64 exec, exec, s[14:15]
	s_and_saveexec_b64 s[14:15], s[4:5]
	s_cbranch_execz .LBB173_38
.LBB173_37:
	v_bfe_u32 v6, v33, 16, 1
	s_movk_i32 s6, 0x7fff
	v_add3_u32 v6, v33, v6, s6
	v_lshrrev_b32_e32 v6, 16, v6
	v_mov_b32_e32 v7, 0x7fc0
	v_cmp_o_f32_e64 s[6:7], v33, v33
	s_nop 1
	v_cndmask_b32_e64 v8, v7, v6, s[6:7]
	v_add_u32_e32 v6, v5, v4
	v_mov_b32_e32 v7, 0
	s_waitcnt lgkmcnt(0)
	v_lshl_add_u64 v[6:7], v[6:7], 1, s[12:13]
	global_store_short v[6:7], v8, off
.LBB173_38:
	s_or_b64 exec, exec, s[14:15]
	v_add3_u32 v5, v1, s11, 32
	v_cmp_gt_u32_e64 s[6:7], s8, v5
	s_and_b64 exec, exec, s[6:7]
	s_cbranch_execz .LBB173_62
; %bb.39:
	v_mul_lo_u32 v5, v5, s10
	s_and_saveexec_b64 s[14:15], vcc
	s_cbranch_execnz .LBB173_72
; %bb.40:
	s_or_b64 exec, exec, s[14:15]
	s_and_saveexec_b64 s[14:15], s[0:1]
	s_cbranch_execnz .LBB173_73
.LBB173_41:
	s_or_b64 exec, exec, s[14:15]
	s_and_saveexec_b64 s[14:15], s[2:3]
	s_cbranch_execnz .LBB173_74
.LBB173_42:
	s_or_b64 exec, exec, s[14:15]
	s_and_saveexec_b64 s[14:15], s[4:5]
	s_cbranch_execz .LBB173_44
.LBB173_43:
	v_bfe_u32 v6, v24, 16, 1
	s_movk_i32 s6, 0x7fff
	v_add3_u32 v6, v24, v6, s6
	v_lshrrev_b32_e32 v6, 16, v6
	v_mov_b32_e32 v7, 0x7fc0
	v_cmp_o_f32_e64 s[6:7], v24, v24
	s_nop 1
	v_cndmask_b32_e64 v8, v7, v6, s[6:7]
	v_add_u32_e32 v6, v5, v4
	v_mov_b32_e32 v7, 0
	s_waitcnt lgkmcnt(0)
	v_lshl_add_u64 v[6:7], v[6:7], 1, s[12:13]
	global_store_short v[6:7], v8, off
.LBB173_44:
	s_or_b64 exec, exec, s[14:15]
	v_add3_u32 v5, v1, s11, 40
	v_cmp_gt_u32_e64 s[6:7], s8, v5
	s_and_b64 exec, exec, s[6:7]
	s_cbranch_execz .LBB173_62
; %bb.45:
	v_mul_lo_u32 v5, v5, s10
	s_and_saveexec_b64 s[14:15], vcc
	s_cbranch_execnz .LBB173_75
; %bb.46:
	s_or_b64 exec, exec, s[14:15]
	s_and_saveexec_b64 s[14:15], s[0:1]
	s_cbranch_execnz .LBB173_76
.LBB173_47:
	s_or_b64 exec, exec, s[14:15]
	s_and_saveexec_b64 s[14:15], s[2:3]
	s_cbranch_execnz .LBB173_77
.LBB173_48:
	s_or_b64 exec, exec, s[14:15]
	s_and_saveexec_b64 s[14:15], s[4:5]
	s_cbranch_execz .LBB173_50
.LBB173_49:
	v_bfe_u32 v6, v25, 16, 1
	s_movk_i32 s6, 0x7fff
	v_add3_u32 v6, v25, v6, s6
	v_lshrrev_b32_e32 v6, 16, v6
	v_mov_b32_e32 v7, 0x7fc0
	v_cmp_o_f32_e64 s[6:7], v25, v25
	s_nop 1
	v_cndmask_b32_e64 v8, v7, v6, s[6:7]
	v_add_u32_e32 v6, v5, v4
	v_mov_b32_e32 v7, 0
	s_waitcnt lgkmcnt(0)
	v_lshl_add_u64 v[6:7], v[6:7], 1, s[12:13]
	global_store_short v[6:7], v8, off
.LBB173_50:
	s_or_b64 exec, exec, s[14:15]
	v_add3_u32 v5, v1, s11, 48
	v_cmp_gt_u32_e64 s[6:7], s8, v5
	s_and_b64 exec, exec, s[6:7]
	s_cbranch_execz .LBB173_62
; %bb.51:
	v_mul_lo_u32 v5, v5, s10
	s_and_saveexec_b64 s[14:15], vcc
	s_cbranch_execnz .LBB173_78
; %bb.52:
	s_or_b64 exec, exec, s[14:15]
	s_and_saveexec_b64 s[14:15], s[0:1]
	s_cbranch_execnz .LBB173_79
.LBB173_53:
	s_or_b64 exec, exec, s[14:15]
	s_and_saveexec_b64 s[14:15], s[2:3]
	s_cbranch_execnz .LBB173_80
.LBB173_54:
	s_or_b64 exec, exec, s[14:15]
	s_and_saveexec_b64 s[14:15], s[4:5]
	s_cbranch_execz .LBB173_56
.LBB173_55:
	v_bfe_u32 v6, v16, 16, 1
	s_movk_i32 s6, 0x7fff
	v_add3_u32 v6, v16, v6, s6
	v_lshrrev_b32_e32 v6, 16, v6
	v_mov_b32_e32 v7, 0x7fc0
	v_cmp_o_f32_e64 s[6:7], v16, v16
	s_nop 1
	v_cndmask_b32_e64 v8, v7, v6, s[6:7]
	v_add_u32_e32 v6, v5, v4
	v_mov_b32_e32 v7, 0
	s_waitcnt lgkmcnt(0)
	v_lshl_add_u64 v[6:7], v[6:7], 1, s[12:13]
	global_store_short v[6:7], v8, off
.LBB173_56:
	s_or_b64 exec, exec, s[14:15]
	v_add3_u32 v1, v1, s11, 56
	v_cmp_gt_u32_e64 s[6:7], s8, v1
	s_and_b64 exec, exec, s[6:7]
	s_cbranch_execz .LBB173_62
; %bb.57:
	v_mul_lo_u32 v1, v1, s10
	s_and_saveexec_b64 s[6:7], vcc
	s_cbranch_execnz .LBB173_81
; %bb.58:
	s_or_b64 exec, exec, s[6:7]
	s_and_saveexec_b64 s[6:7], s[0:1]
	s_cbranch_execnz .LBB173_82
.LBB173_59:
	s_or_b64 exec, exec, s[6:7]
	s_and_saveexec_b64 s[0:1], s[2:3]
	s_cbranch_execnz .LBB173_83
.LBB173_60:
	s_or_b64 exec, exec, s[0:1]
	s_and_b64 exec, exec, s[4:5]
	s_cbranch_execz .LBB173_62
.LBB173_61:
	v_bfe_u32 v0, v17, 16, 1
	s_movk_i32 s0, 0x7fff
	v_add3_u32 v0, v17, v0, s0
	v_lshrrev_b32_e32 v0, 16, v0
	v_mov_b32_e32 v2, 0x7fc0
	v_cmp_o_f32_e32 vcc, v17, v17
	s_nop 1
	v_cndmask_b32_e32 v2, v2, v0, vcc
	v_add_u32_e32 v0, v1, v4
	v_mov_b32_e32 v1, 0
	s_waitcnt lgkmcnt(0)
	v_lshl_add_u64 v[0:1], v[0:1], 1, s[12:13]
	global_store_short v[0:1], v2, off
.LBB173_62:
	s_endpgm
.LBB173_63:
	v_bfe_u32 v6, v47, 16, 1
	s_movk_i32 s6, 0x7fff
	v_add3_u32 v6, v47, v6, s6
	v_lshrrev_b32_e32 v6, 16, v6
	v_mov_b32_e32 v7, 0x7fc0
	v_cmp_o_f32_e64 s[6:7], v47, v47
	s_nop 1
	v_cndmask_b32_e64 v8, v7, v6, s[6:7]
	v_add_u32_e32 v6, v5, v0
	v_mov_b32_e32 v7, 0
	s_waitcnt lgkmcnt(0)
	v_lshl_add_u64 v[6:7], v[6:7], 1, s[12:13]
	global_store_short v[6:7], v8, off
	s_or_b64 exec, exec, s[14:15]
	s_and_saveexec_b64 s[14:15], s[0:1]
	s_cbranch_execz .LBB173_23
.LBB173_64:
	v_bfe_u32 v6, v45, 16, 1
	s_movk_i32 s6, 0x7fff
	v_add3_u32 v6, v45, v6, s6
	v_lshrrev_b32_e32 v6, 16, v6
	v_mov_b32_e32 v7, 0x7fc0
	v_cmp_o_f32_e64 s[6:7], v45, v45
	s_nop 1
	v_cndmask_b32_e64 v8, v7, v6, s[6:7]
	v_add_u32_e32 v6, v5, v2
	v_mov_b32_e32 v7, 0
	s_waitcnt lgkmcnt(0)
	v_lshl_add_u64 v[6:7], v[6:7], 1, s[12:13]
	global_store_short v[6:7], v8, off
	s_or_b64 exec, exec, s[14:15]
	s_and_saveexec_b64 s[14:15], s[2:3]
	s_cbranch_execz .LBB173_24
.LBB173_65:
	v_bfe_u32 v6, v43, 16, 1
	s_movk_i32 s6, 0x7fff
	v_add3_u32 v6, v43, v6, s6
	v_lshrrev_b32_e32 v6, 16, v6
	v_mov_b32_e32 v7, 0x7fc0
	v_cmp_o_f32_e64 s[6:7], v43, v43
	s_nop 1
	v_cndmask_b32_e64 v8, v7, v6, s[6:7]
	v_add_u32_e32 v6, v5, v3
	v_mov_b32_e32 v7, 0
	s_waitcnt lgkmcnt(0)
	v_lshl_add_u64 v[6:7], v[6:7], 1, s[12:13]
	global_store_short v[6:7], v8, off
	s_or_b64 exec, exec, s[14:15]
	s_and_saveexec_b64 s[14:15], s[4:5]
	s_cbranch_execnz .LBB173_25
	s_branch .LBB173_26
.LBB173_66:
	v_bfe_u32 v6, v38, 16, 1
	s_movk_i32 s6, 0x7fff
	v_add3_u32 v6, v38, v6, s6
	v_lshrrev_b32_e32 v6, 16, v6
	v_mov_b32_e32 v7, 0x7fc0
	v_cmp_o_f32_e64 s[6:7], v38, v38
	s_nop 1
	v_cndmask_b32_e64 v8, v7, v6, s[6:7]
	v_add_u32_e32 v6, v5, v0
	v_mov_b32_e32 v7, 0
	s_waitcnt lgkmcnt(0)
	v_lshl_add_u64 v[6:7], v[6:7], 1, s[12:13]
	global_store_short v[6:7], v8, off
	s_or_b64 exec, exec, s[14:15]
	s_and_saveexec_b64 s[14:15], s[0:1]
	s_cbranch_execz .LBB173_29
.LBB173_67:
	v_bfe_u32 v6, v36, 16, 1
	s_movk_i32 s6, 0x7fff
	v_add3_u32 v6, v36, v6, s6
	v_lshrrev_b32_e32 v6, 16, v6
	v_mov_b32_e32 v7, 0x7fc0
	v_cmp_o_f32_e64 s[6:7], v36, v36
	s_nop 1
	v_cndmask_b32_e64 v8, v7, v6, s[6:7]
	v_add_u32_e32 v6, v5, v2
	v_mov_b32_e32 v7, 0
	s_waitcnt lgkmcnt(0)
	v_lshl_add_u64 v[6:7], v[6:7], 1, s[12:13]
	global_store_short v[6:7], v8, off
	s_or_b64 exec, exec, s[14:15]
	s_and_saveexec_b64 s[14:15], s[2:3]
	s_cbranch_execz .LBB173_30
.LBB173_68:
	v_bfe_u32 v6, v34, 16, 1
	s_movk_i32 s6, 0x7fff
	v_add3_u32 v6, v34, v6, s6
	v_lshrrev_b32_e32 v6, 16, v6
	v_mov_b32_e32 v7, 0x7fc0
	v_cmp_o_f32_e64 s[6:7], v34, v34
	s_nop 1
	v_cndmask_b32_e64 v8, v7, v6, s[6:7]
	v_add_u32_e32 v6, v5, v3
	v_mov_b32_e32 v7, 0
	s_waitcnt lgkmcnt(0)
	v_lshl_add_u64 v[6:7], v[6:7], 1, s[12:13]
	global_store_short v[6:7], v8, off
	s_or_b64 exec, exec, s[14:15]
	s_and_saveexec_b64 s[14:15], s[4:5]
	s_cbranch_execnz .LBB173_31
	s_branch .LBB173_32
.LBB173_69:
	v_bfe_u32 v6, v39, 16, 1
	s_movk_i32 s6, 0x7fff
	v_add3_u32 v6, v39, v6, s6
	v_lshrrev_b32_e32 v6, 16, v6
	v_mov_b32_e32 v7, 0x7fc0
	v_cmp_o_f32_e64 s[6:7], v39, v39
	s_nop 1
	v_cndmask_b32_e64 v8, v7, v6, s[6:7]
	v_add_u32_e32 v6, v5, v0
	v_mov_b32_e32 v7, 0
	s_waitcnt lgkmcnt(0)
	v_lshl_add_u64 v[6:7], v[6:7], 1, s[12:13]
	global_store_short v[6:7], v8, off
	s_or_b64 exec, exec, s[14:15]
	s_and_saveexec_b64 s[14:15], s[0:1]
	s_cbranch_execz .LBB173_35
.LBB173_70:
	v_bfe_u32 v6, v37, 16, 1
	s_movk_i32 s6, 0x7fff
	v_add3_u32 v6, v37, v6, s6
	v_lshrrev_b32_e32 v6, 16, v6
	v_mov_b32_e32 v7, 0x7fc0
	v_cmp_o_f32_e64 s[6:7], v37, v37
	s_nop 1
	v_cndmask_b32_e64 v8, v7, v6, s[6:7]
	v_add_u32_e32 v6, v5, v2
	v_mov_b32_e32 v7, 0
	s_waitcnt lgkmcnt(0)
	v_lshl_add_u64 v[6:7], v[6:7], 1, s[12:13]
	global_store_short v[6:7], v8, off
	s_or_b64 exec, exec, s[14:15]
	s_and_saveexec_b64 s[14:15], s[2:3]
	s_cbranch_execz .LBB173_36
.LBB173_71:
	v_bfe_u32 v6, v35, 16, 1
	s_movk_i32 s6, 0x7fff
	v_add3_u32 v6, v35, v6, s6
	v_lshrrev_b32_e32 v6, 16, v6
	v_mov_b32_e32 v7, 0x7fc0
	v_cmp_o_f32_e64 s[6:7], v35, v35
	s_nop 1
	v_cndmask_b32_e64 v8, v7, v6, s[6:7]
	v_add_u32_e32 v6, v5, v3
	v_mov_b32_e32 v7, 0
	s_waitcnt lgkmcnt(0)
	v_lshl_add_u64 v[6:7], v[6:7], 1, s[12:13]
	global_store_short v[6:7], v8, off
	s_or_b64 exec, exec, s[14:15]
	s_and_saveexec_b64 s[14:15], s[4:5]
	s_cbranch_execnz .LBB173_37
	s_branch .LBB173_38
.LBB173_72:
	v_bfe_u32 v6, v30, 16, 1
	s_movk_i32 s6, 0x7fff
	v_add3_u32 v6, v30, v6, s6
	v_lshrrev_b32_e32 v6, 16, v6
	v_mov_b32_e32 v7, 0x7fc0
	v_cmp_o_f32_e64 s[6:7], v30, v30
	s_nop 1
	v_cndmask_b32_e64 v8, v7, v6, s[6:7]
	v_add_u32_e32 v6, v5, v0
	v_mov_b32_e32 v7, 0
	s_waitcnt lgkmcnt(0)
	v_lshl_add_u64 v[6:7], v[6:7], 1, s[12:13]
	global_store_short v[6:7], v8, off
	s_or_b64 exec, exec, s[14:15]
	s_and_saveexec_b64 s[14:15], s[0:1]
	s_cbranch_execz .LBB173_41
.LBB173_73:
	v_bfe_u32 v6, v28, 16, 1
	s_movk_i32 s6, 0x7fff
	v_add3_u32 v6, v28, v6, s6
	v_lshrrev_b32_e32 v6, 16, v6
	v_mov_b32_e32 v7, 0x7fc0
	v_cmp_o_f32_e64 s[6:7], v28, v28
	s_nop 1
	v_cndmask_b32_e64 v8, v7, v6, s[6:7]
	v_add_u32_e32 v6, v5, v2
	v_mov_b32_e32 v7, 0
	s_waitcnt lgkmcnt(0)
	v_lshl_add_u64 v[6:7], v[6:7], 1, s[12:13]
	global_store_short v[6:7], v8, off
	s_or_b64 exec, exec, s[14:15]
	s_and_saveexec_b64 s[14:15], s[2:3]
	s_cbranch_execz .LBB173_42
.LBB173_74:
	v_bfe_u32 v6, v26, 16, 1
	s_movk_i32 s6, 0x7fff
	v_add3_u32 v6, v26, v6, s6
	v_lshrrev_b32_e32 v6, 16, v6
	v_mov_b32_e32 v7, 0x7fc0
	v_cmp_o_f32_e64 s[6:7], v26, v26
	s_nop 1
	v_cndmask_b32_e64 v8, v7, v6, s[6:7]
	v_add_u32_e32 v6, v5, v3
	v_mov_b32_e32 v7, 0
	s_waitcnt lgkmcnt(0)
	v_lshl_add_u64 v[6:7], v[6:7], 1, s[12:13]
	global_store_short v[6:7], v8, off
	s_or_b64 exec, exec, s[14:15]
	s_and_saveexec_b64 s[14:15], s[4:5]
	s_cbranch_execnz .LBB173_43
	s_branch .LBB173_44
.LBB173_75:
	v_bfe_u32 v6, v31, 16, 1
	s_movk_i32 s6, 0x7fff
	v_add3_u32 v6, v31, v6, s6
	v_lshrrev_b32_e32 v6, 16, v6
	v_mov_b32_e32 v7, 0x7fc0
	v_cmp_o_f32_e64 s[6:7], v31, v31
	s_nop 1
	v_cndmask_b32_e64 v8, v7, v6, s[6:7]
	v_add_u32_e32 v6, v5, v0
	v_mov_b32_e32 v7, 0
	s_waitcnt lgkmcnt(0)
	v_lshl_add_u64 v[6:7], v[6:7], 1, s[12:13]
	global_store_short v[6:7], v8, off
	s_or_b64 exec, exec, s[14:15]
	s_and_saveexec_b64 s[14:15], s[0:1]
	s_cbranch_execz .LBB173_47
.LBB173_76:
	v_bfe_u32 v6, v29, 16, 1
	s_movk_i32 s6, 0x7fff
	v_add3_u32 v6, v29, v6, s6
	v_lshrrev_b32_e32 v6, 16, v6
	v_mov_b32_e32 v7, 0x7fc0
	v_cmp_o_f32_e64 s[6:7], v29, v29
	s_nop 1
	v_cndmask_b32_e64 v8, v7, v6, s[6:7]
	v_add_u32_e32 v6, v5, v2
	v_mov_b32_e32 v7, 0
	s_waitcnt lgkmcnt(0)
	v_lshl_add_u64 v[6:7], v[6:7], 1, s[12:13]
	global_store_short v[6:7], v8, off
	s_or_b64 exec, exec, s[14:15]
	s_and_saveexec_b64 s[14:15], s[2:3]
	s_cbranch_execz .LBB173_48
.LBB173_77:
	v_bfe_u32 v6, v27, 16, 1
	s_movk_i32 s6, 0x7fff
	v_add3_u32 v6, v27, v6, s6
	v_lshrrev_b32_e32 v6, 16, v6
	v_mov_b32_e32 v7, 0x7fc0
	v_cmp_o_f32_e64 s[6:7], v27, v27
	s_nop 1
	v_cndmask_b32_e64 v8, v7, v6, s[6:7]
	v_add_u32_e32 v6, v5, v3
	v_mov_b32_e32 v7, 0
	s_waitcnt lgkmcnt(0)
	v_lshl_add_u64 v[6:7], v[6:7], 1, s[12:13]
	global_store_short v[6:7], v8, off
	s_or_b64 exec, exec, s[14:15]
	s_and_saveexec_b64 s[14:15], s[4:5]
	s_cbranch_execnz .LBB173_49
	s_branch .LBB173_50
.LBB173_78:
	v_bfe_u32 v6, v22, 16, 1
	s_movk_i32 s6, 0x7fff
	v_add3_u32 v6, v22, v6, s6
	v_lshrrev_b32_e32 v6, 16, v6
	v_mov_b32_e32 v7, 0x7fc0
	v_cmp_o_f32_e64 s[6:7], v22, v22
	s_nop 1
	v_cndmask_b32_e64 v8, v7, v6, s[6:7]
	v_add_u32_e32 v6, v5, v0
	v_mov_b32_e32 v7, 0
	s_waitcnt lgkmcnt(0)
	v_lshl_add_u64 v[6:7], v[6:7], 1, s[12:13]
	global_store_short v[6:7], v8, off
	s_or_b64 exec, exec, s[14:15]
	s_and_saveexec_b64 s[14:15], s[0:1]
	s_cbranch_execz .LBB173_53
.LBB173_79:
	v_bfe_u32 v6, v20, 16, 1
	s_movk_i32 s6, 0x7fff
	v_add3_u32 v6, v20, v6, s6
	v_lshrrev_b32_e32 v6, 16, v6
	v_mov_b32_e32 v7, 0x7fc0
	v_cmp_o_f32_e64 s[6:7], v20, v20
	s_nop 1
	v_cndmask_b32_e64 v8, v7, v6, s[6:7]
	v_add_u32_e32 v6, v5, v2
	v_mov_b32_e32 v7, 0
	s_waitcnt lgkmcnt(0)
	v_lshl_add_u64 v[6:7], v[6:7], 1, s[12:13]
	global_store_short v[6:7], v8, off
	s_or_b64 exec, exec, s[14:15]
	s_and_saveexec_b64 s[14:15], s[2:3]
	s_cbranch_execz .LBB173_54
.LBB173_80:
	v_bfe_u32 v6, v18, 16, 1
	s_movk_i32 s6, 0x7fff
	v_add3_u32 v6, v18, v6, s6
	v_lshrrev_b32_e32 v6, 16, v6
	v_mov_b32_e32 v7, 0x7fc0
	v_cmp_o_f32_e64 s[6:7], v18, v18
	s_nop 1
	v_cndmask_b32_e64 v8, v7, v6, s[6:7]
	v_add_u32_e32 v6, v5, v3
	v_mov_b32_e32 v7, 0
	s_waitcnt lgkmcnt(0)
	v_lshl_add_u64 v[6:7], v[6:7], 1, s[12:13]
	global_store_short v[6:7], v8, off
	s_or_b64 exec, exec, s[14:15]
	s_and_saveexec_b64 s[14:15], s[4:5]
	s_cbranch_execnz .LBB173_55
	s_branch .LBB173_56
.LBB173_81:
	v_bfe_u32 v5, v23, 16, 1
	s_movk_i32 s8, 0x7fff
	v_add3_u32 v5, v23, v5, s8
	v_lshrrev_b32_e32 v5, 16, v5
	v_mov_b32_e32 v6, 0x7fc0
	v_cmp_o_f32_e32 vcc, v23, v23
	v_mov_b32_e32 v7, 0
	s_nop 0
	v_cndmask_b32_e32 v5, v6, v5, vcc
	v_add_u32_e32 v6, v1, v0
	s_waitcnt lgkmcnt(0)
	v_lshl_add_u64 v[6:7], v[6:7], 1, s[12:13]
	global_store_short v[6:7], v5, off
	s_or_b64 exec, exec, s[6:7]
	s_and_saveexec_b64 s[6:7], s[0:1]
	s_cbranch_execz .LBB173_59
.LBB173_82:
	v_bfe_u32 v0, v21, 16, 1
	s_movk_i32 s0, 0x7fff
	v_add3_u32 v0, v21, v0, s0
	v_lshrrev_b32_e32 v0, 16, v0
	v_mov_b32_e32 v5, 0x7fc0
	v_cmp_o_f32_e32 vcc, v21, v21
	v_add_u32_e32 v6, v1, v2
	v_mov_b32_e32 v7, 0
	v_cndmask_b32_e32 v0, v5, v0, vcc
	s_waitcnt lgkmcnt(0)
	v_lshl_add_u64 v[6:7], v[6:7], 1, s[12:13]
	global_store_short v[6:7], v0, off
	s_or_b64 exec, exec, s[6:7]
	s_and_saveexec_b64 s[0:1], s[2:3]
	s_cbranch_execz .LBB173_60
.LBB173_83:
	v_bfe_u32 v0, v19, 16, 1
	s_movk_i32 s2, 0x7fff
	v_add3_u32 v0, v19, v0, s2
	v_lshrrev_b32_e32 v0, 16, v0
	v_mov_b32_e32 v2, 0x7fc0
	v_cmp_o_f32_e32 vcc, v19, v19
	s_nop 1
	v_cndmask_b32_e32 v0, v2, v0, vcc
	v_add_u32_e32 v2, v1, v3
	v_mov_b32_e32 v3, 0
	s_waitcnt lgkmcnt(0)
	v_lshl_add_u64 v[2:3], v[2:3], 1, s[12:13]
	global_store_short v[2:3], v0, off
	s_or_b64 exec, exec, s[0:1]
	s_and_b64 exec, exec, s[4:5]
	s_cbranch_execnz .LBB173_61
	s_branch .LBB173_62
	.section	.rodata,"a",@progbits
	.p2align	6, 0x0
	.amdhsa_kernel _ZL12mul_mat_q5_KIN3c108BFloat16ELb0EEvPKvS3_PT_iiiii
		.amdhsa_group_segment_fixed_size 45136
		.amdhsa_private_segment_fixed_size 36
		.amdhsa_kernarg_size 44
		.amdhsa_user_sgpr_count 2
		.amdhsa_user_sgpr_dispatch_ptr 0
		.amdhsa_user_sgpr_queue_ptr 0
		.amdhsa_user_sgpr_kernarg_segment_ptr 1
		.amdhsa_user_sgpr_dispatch_id 0
		.amdhsa_user_sgpr_kernarg_preload_length 0
		.amdhsa_user_sgpr_kernarg_preload_offset 0
		.amdhsa_user_sgpr_private_segment_size 0
		.amdhsa_uses_dynamic_stack 0
		.amdhsa_enable_private_segment 1
		.amdhsa_system_sgpr_workgroup_id_x 1
		.amdhsa_system_sgpr_workgroup_id_y 1
		.amdhsa_system_sgpr_workgroup_id_z 0
		.amdhsa_system_sgpr_workgroup_info 0
		.amdhsa_system_vgpr_workitem_id 1
		.amdhsa_next_free_vgpr 256
		.amdhsa_next_free_sgpr 21
		.amdhsa_accum_offset 256
		.amdhsa_reserve_vcc 1
		.amdhsa_float_round_mode_32 0
		.amdhsa_float_round_mode_16_64 0
		.amdhsa_float_denorm_mode_32 3
		.amdhsa_float_denorm_mode_16_64 3
		.amdhsa_dx10_clamp 1
		.amdhsa_ieee_mode 1
		.amdhsa_fp16_overflow 0
		.amdhsa_tg_split 0
		.amdhsa_exception_fp_ieee_invalid_op 0
		.amdhsa_exception_fp_denorm_src 0
		.amdhsa_exception_fp_ieee_div_zero 0
		.amdhsa_exception_fp_ieee_overflow 0
		.amdhsa_exception_fp_ieee_underflow 0
		.amdhsa_exception_fp_ieee_inexact 0
		.amdhsa_exception_int_div_zero 0
	.end_amdhsa_kernel
	.section	.text._ZL12mul_mat_q5_KIN3c108BFloat16ELb0EEvPKvS3_PT_iiiii,"axG",@progbits,_ZL12mul_mat_q5_KIN3c108BFloat16ELb0EEvPKvS3_PT_iiiii,comdat
.Lfunc_end173:
	.size	_ZL12mul_mat_q5_KIN3c108BFloat16ELb0EEvPKvS3_PT_iiiii, .Lfunc_end173-_ZL12mul_mat_q5_KIN3c108BFloat16ELb0EEvPKvS3_PT_iiiii
                                        ; -- End function
	.section	.AMDGPU.csdata,"",@progbits
; Kernel info:
; codeLenInByte = 18380
; NumSgprs: 27
; NumVgprs: 256
; NumAgprs: 0
; TotalNumVgprs: 256
; ScratchSize: 36
; MemoryBound: 0
; FloatMode: 240
; IeeeMode: 1
; LDSByteSize: 45136 bytes/workgroup (compile time only)
; SGPRBlocks: 3
; VGPRBlocks: 31
; NumSGPRsForWavesPerEU: 27
; NumVGPRsForWavesPerEU: 256
; AccumOffset: 256
; Occupancy: 1
; WaveLimiterHint : 0
; COMPUTE_PGM_RSRC2:SCRATCH_EN: 1
; COMPUTE_PGM_RSRC2:USER_SGPR: 2
; COMPUTE_PGM_RSRC2:TRAP_HANDLER: 0
; COMPUTE_PGM_RSRC2:TGID_X_EN: 1
; COMPUTE_PGM_RSRC2:TGID_Y_EN: 1
; COMPUTE_PGM_RSRC2:TGID_Z_EN: 0
; COMPUTE_PGM_RSRC2:TIDIG_COMP_CNT: 1
; COMPUTE_PGM_RSRC3_GFX90A:ACCUM_OFFSET: 63
; COMPUTE_PGM_RSRC3_GFX90A:TG_SPLIT: 0
	.section	.text._ZL12mul_mat_q5_KIN3c108BFloat16ELb1EEvPKvS3_PT_iiiii,"axG",@progbits,_ZL12mul_mat_q5_KIN3c108BFloat16ELb1EEvPKvS3_PT_iiiii,comdat
	.globl	_ZL12mul_mat_q5_KIN3c108BFloat16ELb1EEvPKvS3_PT_iiiii ; -- Begin function _ZL12mul_mat_q5_KIN3c108BFloat16ELb1EEvPKvS3_PT_iiiii
	.p2align	8
	.type	_ZL12mul_mat_q5_KIN3c108BFloat16ELb1EEvPKvS3_PT_iiiii,@function
_ZL12mul_mat_q5_KIN3c108BFloat16ELb1EEvPKvS3_PT_iiiii: ; @_ZL12mul_mat_q5_KIN3c108BFloat16ELb1EEvPKvS3_PT_iiiii
; %bb.0:
	s_load_dwordx4 s[8:11], s[0:1], 0x18
	s_load_dword s14, s[0:1], 0x28
	s_lshl_b32 s15, s3, 6
	v_bfe_u32 v44, v0, 10, 10
	s_waitcnt lgkmcnt(0)
	s_cmpk_gt_i32 s8, 0xff
	s_cbranch_scc1 .LBB174_2
; %bb.1:
	v_bfe_u32 v1, v0, 10, 10
	v_and_b32_e32 v74, 0x3ff, v0
	v_add_u32_e32 v2, s15, v1
	s_mov_b64 s[4:5], 0
	s_mov_b32 s3, 0
	s_branch .LBB174_3
.LBB174_2:
	s_mov_b64 s[4:5], -1
                                        ; implicit-def: $sgpr3
                                        ; implicit-def: $vgpr1
                                        ; implicit-def: $vgpr74
                                        ; implicit-def: $vgpr2
.LBB174_3:
	s_load_dwordx2 s[12:13], s[0:1], 0x10
	s_lshl_b32 s6, s2, 7
	s_andn2_b64 vcc, exec, s[4:5]
	v_mov_b32_e32 v17, s3
	v_mov_b32_e32 v16, s3
	;; [unrolled: 1-line block ×32, first 2 shown]
	s_cbranch_vccnz .LBB174_11
; %bb.4:
	s_ashr_i32 s4, s8, 31
	s_lshr_b32 s4, s4, 24
	s_load_dwordx4 s[0:3], s[0:1], 0x0
	s_add_i32 s4, s8, s4
	s_ashr_i32 s7, s4, 8
	s_ashr_i32 s4, s11, 31
	s_lshr_b32 s4, s4, 27
	s_add_i32 s4, s11, s4
	s_mul_i32 s5, s7, s6
	s_ashr_i32 s4, s4, 5
	s_mul_hi_i32 s16, s5, 0xb0
	s_mulk_i32 s5, 0xb0
	s_waitcnt lgkmcnt(0)
	s_add_u32 s11, s0, s5
	v_and_b32_e32 v74, 0x3ff, v0
	s_addc_u32 s16, s1, s16
	s_not_b32 s0, s6
	v_lshlrev_b32_e32 v0, 1, v74
	v_and_b32_e32 v2, 7, v74
	s_add_i32 s5, s0, s9
	v_and_or_b32 v0, v0, 48, v2
	v_lshrrev_b32_e32 v1, 2, v74
	v_min_i32_e32 v2, s5, v44
	v_lshlrev_b32_e32 v0, 2, v0
	s_movk_i32 s1, 0x104
	v_add_u32_e32 v3, 8, v44
	v_mul_lo_u32 v4, v2, s7
	v_mad_u64_u32 v[56:57], s[18:19], v2, s1, v[0:1]
	v_min_i32_e32 v2, s5, v3
	scratch_store_dwordx2 off, v[4:5], off  ; 8-byte Folded Spill
	v_mul_lo_u32 v4, v2, s7
	scratch_store_dwordx2 off, v[4:5], off offset:8 ; 8-byte Folded Spill
	v_add_u32_e32 v5, 16, v44
	v_mad_u64_u32 v[60:61], s[18:19], v2, s1, v[0:1]
	v_min_i32_e32 v2, s5, v5
	v_add_u32_e32 v8, 24, v44
	v_mul_lo_u32 v4, v2, s7
	v_mad_u64_u32 v[64:65], s[18:19], v2, s1, v[0:1]
	v_min_i32_e32 v2, s5, v8
	v_add_u32_e32 v9, 32, v44
	scratch_store_dwordx2 off, v[4:5], off offset:16 ; 8-byte Folded Spill
	v_mul_lo_u32 v4, v2, s7
	v_mad_u64_u32 v[68:69], s[18:19], v2, s1, v[0:1]
	v_min_i32_e32 v2, s5, v9
	v_add_u32_e32 v10, 40, v44
	scratch_store_dwordx2 off, v[4:5], off offset:24 ; 8-byte Folded Spill
	;; [unrolled: 5-line block ×4, first 2 shown]
	v_mul_lo_u32 v4, v2, s7
	v_mad_u64_u32 v[80:81], s[18:19], v2, s1, v[0:1]
	v_min_i32_e32 v2, s5, v12
	scratch_store_dwordx2 off, v[4:5], off offset:48 ; 8-byte Folded Spill
	v_mul_lo_u32 v4, v2, s7
	v_mad_u64_u32 v[84:85], s[18:19], v2, s1, v[0:1]
	v_add_u32_e32 v2, 64, v44
	v_min_i32_e32 v2, s5, v2
	scratch_store_dwordx2 off, v[4:5], off offset:56 ; 8-byte Folded Spill
	v_mul_lo_u32 v4, v2, s7
	v_mad_u64_u32 v[88:89], s[18:19], v2, s1, v[0:1]
	v_add_u32_e32 v2, 0x48, v44
	;; [unrolled: 5-line block ×6, first 2 shown]
	v_min_i32_e32 v2, s5, v2
	v_mul_lo_u32 v106, v2, s7
	v_mad_u64_u32 v[108:109], s[18:19], v2, s1, v[0:1]
	v_add_u32_e32 v2, 0x70, v44
	v_min_i32_e32 v2, s5, v2
	v_mul_lo_u32 v110, v2, s7
	v_mad_u64_u32 v[112:113], s[18:19], v2, s1, v[0:1]
	v_add_u32_e32 v2, 0x78, v44
	v_min_i32_e32 v2, s5, v2
	v_lshlrev_b32_e32 v61, 5, v44
	v_mad_u64_u32 v[116:117], s[18:19], v2, s1, v[0:1]
	v_add_u32_e32 v0, v61, v74
	v_and_b32_e32 v0, 0x7f, v0
	v_min_i32_e32 v0, s5, v0
	v_mul_lo_u32 v114, v2, s7
	v_ashrrev_i32_e32 v2, 31, v0
	v_lshrrev_b32_e32 v2, 27, v2
	v_add_u32_e32 v2, v0, v2
	v_ashrrev_i32_e32 v2, 5, v2
	v_mul_lo_u32 v118, v0, s7
	v_lshlrev_b32_e32 v2, 2, v2
	v_lshlrev_b32_e32 v0, 2, v0
	s_mov_b32 s9, 0xae40
	v_add3_u32 v65, v2, v0, s9
	v_and_b32_e32 v0, 3, v74
	v_add_u32_e32 v2, 0xfe, v0
	v_cmp_gt_u32_e32 vcc, 2, v0
	v_and_b32_e32 v63, 6, v1
	v_lshl_add_u32 v1, v44, 3, v1
	v_cndmask_b32_e32 v2, v2, v0, vcc
	v_and_b32_e32 v6, 0xff, v2
	v_cmp_ne_u32_e32 vcc, 0, v0
	v_lshlrev_b32_e32 v79, 1, v6
	v_lshlrev_b32_e32 v14, 2, v0
	v_addc_co_u32_e32 v2, vcc, 0, v6, vcc
	v_and_b32_e32 v6, 0x7f, v1
	v_min_i32_e32 v7, s5, v6
	v_ashrrev_i32_e32 v13, 31, v7
	v_xor_b32_e32 v6, 64, v6
	v_lshrrev_b32_e32 v13, 29, v13
	v_min_i32_e32 v6, s5, v6
	v_mul_lo_u32 v120, v7, s7
	v_add_u32_e32 v13, v7, v13
	v_lshlrev_b32_e32 v15, 4, v7
	v_ashrrev_i32_e32 v7, 31, v6
	v_lshrrev_b32_e32 v7, 29, v7
	v_and_b32_e32 v1, 63, v1
	v_add_u32_e32 v7, v6, v7
	s_add_i32 s5, s10, -1
	v_or_b32_e32 v19, s15, v1
	v_ashrrev_i32_e32 v7, 3, v7
	v_min_i32_e32 v19, s5, v19
	v_cmp_lt_u32_e32 vcc, 1, v0
	s_mov_b32 s17, 0xa200
	v_lshlrev_b32_e32 v7, 2, v7
	v_add_u32_e32 v21, s15, v44
	v_mad_u64_u32 v[126:127], s[18:19], v19, s4, v[0:1]
	v_lshl_or_b32 v0, v1, 4, v14
	v_mul_lo_u32 v122, v6, s7
	v_add3_u32 v16, v7, v14, s17
	v_lshlrev_b32_e32 v17, 4, v6
	v_cvt_f64_i32_e32 v[6:7], s5
	v_add_u32_e32 v73, 0xaa40, v0
	v_cvt_f64_u32_e32 v[0:1], v21
	v_ashrrev_i32_e32 v13, 3, v13
	v_min_f64 v[0:1], v[0:1], v[6:7]
	v_lshlrev_b32_e32 v13, 2, v13
	v_and_b32_e32 v18, 31, v74
	v_cvt_i32_f64_e32 v0, v[0:1]
	v_add3_u32 v13, v13, v14, s17
	v_mul_lo_u32 v77, s4, v0
	v_or_b32_e32 v0, v61, v18
	v_mov_b32_e32 v14, 0x8200
	v_lshl_add_u32 v102, v0, 2, v14
	v_add_u32_e32 v0, 8, v21
	v_cvt_f64_u32_e32 v[0:1], v0
	v_min_f64 v[0:1], v[0:1], v[6:7]
	v_cvt_i32_f64_e32 v0, v[0:1]
	v_lshlrev_b32_e32 v83, 5, v3
	v_mul_lo_u32 v81, s4, v0
	v_or_b32_e32 v0, v83, v18
	v_lshl_add_u32 v85, v0, 2, v14
	v_add_u32_e32 v0, 16, v21
	v_cvt_f64_u32_e32 v[0:1], v0
	v_min_f64 v[0:1], v[0:1], v[6:7]
	v_cvt_i32_f64_e32 v0, v[0:1]
	v_lshlrev_b32_e32 v89, 5, v5
	v_mul_lo_u32 v87, s4, v0
	v_or_b32_e32 v0, v89, v18
	;; [unrolled: 8-line block ×6, first 2 shown]
	v_lshl_add_u32 v115, v0, 2, v14
	v_add_u32_e32 v0, 56, v21
	v_cvt_f64_u32_e32 v[0:1], v0
	v_min_f64 v[0:1], v[0:1], v[6:7]
	v_cvt_i32_f64_e32 v0, v[0:1]
	v_lshlrev_b32_e32 v119, 5, v12
	v_lshrrev_b32_e32 v22, 5, v74
	v_mul_lo_u32 v117, s4, v0
	v_or_b32_e32 v0, v119, v18
	v_lshlrev_b32_e32 v59, 2, v74
	v_lshl_add_u32 v121, v0, 2, v14
	v_lshlrev_b32_e32 v0, 2, v22
	v_add3_u32 v123, v0, v59, s9
	v_add_u32_e32 v0, 32, v74
	v_lshrrev_b32_e32 v127, 3, v0
	v_lshlrev_b32_e32 v1, 2, v0
	v_and_b32_e32 v0, 60, v127
	v_add3_u32 v149, v59, v0, s9
	v_add_u32_e32 v0, 64, v74
	v_lshrrev_b32_e32 v151, 3, v0
	v_lshlrev_b32_e32 v3, 2, v0
	v_and_b32_e32 v0, 60, v151
	v_add3_u32 v197, v59, v0, s9
	v_add_u32_e32 v0, 0x60, v74
	v_lshrrev_b32_e32 v221, 3, v0
	scratch_store_dwordx2 off, v[4:5], off offset:96 ; 8-byte Folded Spill
	v_lshlrev_b32_e32 v5, 2, v0
	v_and_b32_e32 v0, 60, v221
	v_add3_u32 v238, v59, v0, s9
	v_mov_b32_e32 v0, 0x2080
	v_mad_u32_u24 v240, v74, s1, v0
	v_mov_b32_e32 v0, 0x4100
	s_mov_b32 s0, 0
	v_mad_u32_u24 v241, v74, s1, v0
	v_mov_b32_e32 v0, 0x6180
	v_mov_b32_e32 v47, 0
	v_and_b32_e32 v4, 4, v59
	v_mad_u32_u24 v242, v74, s1, v0
	s_mov_b32 s1, s0
	v_and_b32_e32 v50, 28, v59
	v_mov_b32_e32 v51, v47
	v_cndmask_b32_e32 v69, 0, v4, vcc
	v_cndmask_b32_e64 v4, 0, 1, vcc
	v_mov_b64_e32 v[52:53], s[0:1]
	s_movk_i32 s8, 0xb0
	v_and_b32_e32 v46, 0x7c, v59
	v_or_b32_e32 v67, 1, v63
	v_lshl_add_u64 v[124:125], s[2:3], 0, v[50:51]
	v_lshrrev_b32_e32 v75, 3, v74
	scratch_store_dword off, v21, off offset:108 ; 4-byte Folded Spill
	v_mov_b32_e32 v78, v22
	v_mul_u32_u24_e32 v239, 0x104, v74
	s_mov_b32 s1, 0x10101010
	v_lshlrev_b32_e32 v128, 2, v2
	v_lshlrev_b32_e32 v130, 2, v4
	s_mov_b32 s9, 0x30303030
	v_add_u32_e32 v243, v13, v15
	v_add_u32_e32 v244, v16, v17
	v_mov_b32_e32 v129, v47
	v_mov_b32_e32 v131, v47
	v_lshlrev_b32_e32 v245, 2, v1
	v_lshlrev_b32_e32 v246, 2, v3
	;; [unrolled: 1-line block ×3, first 2 shown]
	v_mov_b64_e32 v[38:39], v[52:53]
	v_mov_b64_e32 v[30:31], v[52:53]
	;; [unrolled: 1-line block ×15, first 2 shown]
	scratch_store_dword off, v44, off offset:104 ; 4-byte Folded Spill
.LBB174_5:                              ; =>This Loop Header: Depth=1
                                        ;     Child Loop BB174_6 Depth 2
                                        ;     Child Loop BB174_8 Depth 2
	scratch_load_dwordx2 v[4:5], off, off   ; 8-byte Folded Reload
	scratch_load_dwordx2 v[8:9], off, off offset:8 ; 8-byte Folded Reload
	s_mul_i32 s4, s0, 0xb0
	s_mul_hi_u32 s5, s0, 0xb0
	s_add_u32 s4, s11, s4
	s_addc_u32 s5, s16, s5
	v_mov_b64_e32 v[0:1], s[4:5]
	v_mad_u64_u32 v[2:3], s[4:5], v78, s8, v[0:1]
	s_lshl_b32 s17, s0, 3
	v_add_u32_e32 v161, s17, v126
	s_mov_b32 s19, 0
	s_waitcnt vmcnt(1)
	v_mad_i64_i32 v[4:5], s[4:5], v4, s8, v[2:3]
	v_lshl_add_u64 v[6:7], v[4:5], 0, v[46:47]
	v_lshl_add_u64 v[4:5], v[4:5], 0, v[50:51]
	s_waitcnt vmcnt(0)
	v_mad_i64_i32 v[8:9], s[4:5], v8, s8, v[2:3]
	v_lshl_add_u64 v[10:11], v[8:9], 0, v[46:47]
	global_load_dword v12, v[6:7], off offset:48
	global_load_dword v13, v[4:5], off offset:16
	;; [unrolled: 1-line block ×3, first 2 shown]
	s_nop 0
	scratch_load_dwordx2 v[4:5], off, off offset:16 ; 8-byte Folded Reload
	v_lshl_add_u64 v[6:7], v[8:9], 0, v[50:51]
	global_load_dword v15, v[6:7], off offset:16
	s_waitcnt vmcnt(3)
	v_ashrrev_i32_e32 v135, v63, v13
	v_and_b32_e32 v134, 0xf0f0f0f, v12
	s_waitcnt vmcnt(1)
	v_mad_i64_i32 v[4:5], s[4:5], v4, s8, v[2:3]
	v_lshl_add_u64 v[6:7], v[4:5], 0, v[46:47]
	v_lshl_add_u64 v[4:5], v[4:5], 0, v[50:51]
	global_load_dword v44, v[6:7], off offset:48
	global_load_dword v45, v[4:5], off offset:16
	s_nop 0
	scratch_load_dwordx2 v[4:5], off, off offset:24 ; 8-byte Folded Reload
	v_lshrrev_b32_e32 v12, 4, v12
	v_ashrrev_i32_e32 v13, v67, v13
	v_and_b32_e32 v136, 0xf0f0f0f, v14
	v_lshrrev_b32_e32 v14, 4, v14
	s_waitcnt vmcnt(3)
	v_ashrrev_i32_e32 v137, v63, v15
	v_ashrrev_i32_e32 v15, v67, v15
	v_and_b32_e32 v12, 0xf0f0f0f, v12
	v_lshlrev_b32_e32 v135, 4, v135
	v_lshlrev_b32_e32 v13, 4, v13
	v_and_b32_e32 v14, 0xf0f0f0f, v14
	v_lshlrev_b32_e32 v137, 4, v137
	s_waitcnt vmcnt(1)
	v_ashrrev_i32_e32 v139, v63, v45
	s_waitcnt vmcnt(0)
	v_mad_i64_i32 v[4:5], s[4:5], v4, s8, v[2:3]
	v_lshl_add_u64 v[6:7], v[4:5], 0, v[46:47]
	v_lshl_add_u64 v[4:5], v[4:5], 0, v[50:51]
	global_load_dword v54, v[6:7], off offset:48
	global_load_dword v55, v[4:5], off offset:16
	s_nop 0
	scratch_load_dwordx2 v[4:5], off, off offset:32 ; 8-byte Folded Reload
	v_and_b32_e32 v138, 0xf0f0f0f, v44
	v_lshrrev_b32_e32 v44, 4, v44
	v_ashrrev_i32_e32 v45, v67, v45
	s_waitcnt vmcnt(0)
	v_mad_i64_i32 v[4:5], s[4:5], v4, s8, v[2:3]
	v_lshl_add_u64 v[6:7], v[4:5], 0, v[46:47]
	v_lshl_add_u64 v[4:5], v[4:5], 0, v[50:51]
	global_load_dword v57, v[6:7], off offset:48
	global_load_dword v58, v[4:5], off offset:16
	s_nop 0
	scratch_load_dwordx2 v[4:5], off, off offset:40 ; 8-byte Folded Reload
	s_waitcnt vmcnt(0)
	v_mad_i64_i32 v[4:5], s[4:5], v4, s8, v[2:3]
	v_lshl_add_u64 v[6:7], v[4:5], 0, v[46:47]
	v_lshl_add_u64 v[4:5], v[4:5], 0, v[50:51]
	global_load_dword v62, v[6:7], off offset:48
	global_load_dword v66, v[4:5], off offset:16
	s_nop 0
	scratch_load_dwordx2 v[4:5], off, off offset:48 ; 8-byte Folded Reload
	s_waitcnt vmcnt(0)
	v_mad_i64_i32 v[4:5], s[4:5], v4, s8, v[2:3]
	v_lshl_add_u64 v[6:7], v[4:5], 0, v[46:47]
	global_load_dword v70, v[6:7], off offset:48
	s_nop 0
	scratch_load_dwordx2 v[6:7], off, off offset:56 ; 8-byte Folded Reload
	v_lshl_add_u64 v[4:5], v[4:5], 0, v[50:51]
	global_load_dword v71, v[4:5], off offset:16
	s_nop 0
	scratch_load_dwordx2 v[4:5], off, off offset:64 ; 8-byte Folded Reload
	scratch_load_dwordx2 v[8:9], off, off offset:72 ; 8-byte Folded Reload
	s_waitcnt vmcnt(3)
	v_mad_i64_i32 v[6:7], s[4:5], v6, s8, v[2:3]
	v_lshl_add_u64 v[10:11], v[6:7], 0, v[46:47]
	v_lshl_add_u64 v[6:7], v[6:7], 0, v[50:51]
	global_load_dword v132, v[10:11], off offset:48
	global_load_dword v133, v[6:7], off offset:16
	s_waitcnt vmcnt(3)
	v_mad_i64_i32 v[4:5], s[4:5], v4, s8, v[2:3]
	v_lshl_add_u64 v[10:11], v[4:5], 0, v[46:47]
	v_lshl_add_u64 v[4:5], v[4:5], 0, v[50:51]
	s_waitcnt vmcnt(2)
	v_mad_i64_i32 v[8:9], s[4:5], v8, s8, v[2:3]
	global_load_dword v140, v[10:11], off offset:48
	v_lshlrev_b32_e32 v10, 4, v15
	global_load_dword v15, v[4:5], off offset:16
	v_and_or_b32 v4, v135, s1, v134
	v_and_or_b32 v5, v13, s1, v12
	v_lshl_add_u64 v[6:7], v[8:9], 0, v[46:47]
	v_and_or_b32 v12, v137, s1, v136
	v_and_or_b32 v10, v10, s1, v14
	ds_write2_b32 v56, v4, v5 offset1:8
	v_lshl_add_u64 v[4:5], v[8:9], 0, v[50:51]
	v_and_b32_e32 v11, 0xf0f0f0f, v44
	v_lshlrev_b32_e32 v44, 4, v139
	global_load_dword v13, v[6:7], off offset:48
	ds_write2_b32 v60, v12, v10 offset1:8
	global_load_dword v12, v[4:5], off offset:16
	v_lshlrev_b32_e32 v4, 4, v45
	v_and_or_b32 v5, v44, s1, v138
	v_and_or_b32 v4, v4, s1, v11
	ds_write2_b32 v64, v5, v4 offset1:8
	v_lshrrev_b32_e32 v5, 4, v54
	v_ashrrev_i32_e32 v6, v63, v55
	v_ashrrev_i32_e32 v7, v67, v55
	v_and_b32_e32 v4, 0xf0f0f0f, v54
	v_and_b32_e32 v5, 0xf0f0f0f, v5
	v_lshlrev_b32_e32 v6, 4, v6
	v_lshlrev_b32_e32 v7, 4, v7
	v_and_or_b32 v4, v6, s1, v4
	v_and_or_b32 v5, v7, s1, v5
	ds_write2_b32 v68, v4, v5 offset1:8
	v_lshrrev_b32_e32 v5, 4, v57
	v_ashrrev_i32_e32 v6, v63, v58
	v_ashrrev_i32_e32 v7, v67, v58
	v_and_b32_e32 v4, 0xf0f0f0f, v57
	v_and_b32_e32 v5, 0xf0f0f0f, v5
	v_lshlrev_b32_e32 v6, 4, v6
	;; [unrolled: 10-line block ×4, first 2 shown]
	v_lshlrev_b32_e32 v7, 4, v7
	v_and_or_b32 v4, v6, s1, v4
	v_and_or_b32 v5, v7, s1, v5
	ds_write2_b32 v80, v4, v5 offset1:8
	scratch_load_dwordx2 v[8:9], off, off offset:88 ; 8-byte Folded Reload
	s_waitcnt vmcnt(6)
	v_lshrrev_b32_e32 v5, 4, v132
	s_waitcnt vmcnt(5)
	v_ashrrev_i32_e32 v6, v63, v133
	v_ashrrev_i32_e32 v7, v67, v133
	v_and_b32_e32 v4, 0xf0f0f0f, v132
	v_and_b32_e32 v5, 0xf0f0f0f, v5
	v_lshlrev_b32_e32 v6, 4, v6
	v_lshlrev_b32_e32 v7, 4, v7
	v_and_or_b32 v4, v6, s1, v4
	v_and_or_b32 v5, v7, s1, v5
	ds_write2_b32 v84, v4, v5 offset1:8
	scratch_load_dwordx2 v[4:5], off, off offset:80 ; 8-byte Folded Reload
	s_waitcnt vmcnt(1)
	v_mad_i64_i32 v[8:9], s[4:5], v8, s8, v[2:3]
	v_lshl_add_u64 v[10:11], v[8:9], 0, v[46:47]
	v_lshl_add_u64 v[8:9], v[8:9], 0, v[50:51]
	s_waitcnt vmcnt(0)
	v_mad_i64_i32 v[4:5], s[4:5], v4, s8, v[2:3]
	v_lshl_add_u64 v[6:7], v[4:5], 0, v[46:47]
	v_lshl_add_u64 v[4:5], v[4:5], 0, v[50:51]
	global_load_dword v44, v[6:7], off offset:48
	global_load_dword v45, v[4:5], off offset:16
	;; [unrolled: 1-line block ×4, first 2 shown]
	v_lshrrev_b32_e32 v5, 4, v140
	v_ashrrev_i32_e32 v6, v63, v15
	v_ashrrev_i32_e32 v7, v67, v15
	v_and_b32_e32 v4, 0xf0f0f0f, v140
	v_and_b32_e32 v5, 0xf0f0f0f, v5
	v_lshlrev_b32_e32 v6, 4, v6
	v_lshlrev_b32_e32 v7, 4, v7
	v_and_or_b32 v4, v6, s1, v4
	v_and_or_b32 v5, v7, s1, v5
	ds_write2_b32 v88, v4, v5 offset1:8
	v_lshrrev_b32_e32 v5, 4, v13
	v_ashrrev_i32_e32 v6, v63, v12
	v_ashrrev_i32_e32 v7, v67, v12
	v_and_b32_e32 v4, 0xf0f0f0f, v13
	v_and_b32_e32 v5, 0xf0f0f0f, v5
	v_lshlrev_b32_e32 v6, 4, v6
	v_lshlrev_b32_e32 v7, 4, v7
	v_and_or_b32 v4, v6, s1, v4
	v_and_or_b32 v5, v7, s1, v5
	ds_write2_b32 v92, v4, v5 offset1:8
	scratch_load_dwordx2 v[4:5], off, off offset:96 ; 8-byte Folded Reload
	v_mad_i64_i32 v[8:9], s[4:5], v106, s8, v[2:3]
	v_mad_i64_i32 v[12:13], s[4:5], v110, s8, v[2:3]
	v_lshl_add_u64 v[10:11], v[8:9], 0, v[46:47]
	v_lshl_add_u64 v[8:9], v[8:9], 0, v[50:51]
	;; [unrolled: 1-line block ×4, first 2 shown]
	s_waitcnt vmcnt(0)
	v_mad_i64_i32 v[4:5], s[4:5], v4, s8, v[2:3]
	v_mad_i64_i32 v[2:3], s[4:5], v114, s8, v[2:3]
	v_lshl_add_u64 v[6:7], v[4:5], 0, v[46:47]
	v_lshl_add_u64 v[54:55], v[2:3], 0, v[46:47]
	v_lshl_add_u64 v[4:5], v[4:5], 0, v[50:51]
	v_lshl_add_u64 v[2:3], v[2:3], 0, v[50:51]
	global_load_dword v62, v[6:7], off offset:48
	global_load_dword v66, v[4:5], off offset:16
	;; [unrolled: 1-line block ×6, first 2 shown]
	s_nop 0
	global_load_dword v54, v[54:55], off offset:48
	s_nop 0
	global_load_dword v55, v[2:3], off offset:16
	v_mad_i64_i32 v[2:3], s[4:5], v118, s8, v[0:1]
	v_mad_i64_i32 v[4:5], s[4:5], v120, s8, v[0:1]
	;; [unrolled: 1-line block ×3, first 2 shown]
	v_lshl_add_u64 v[4:5], v[4:5], 0, 4
	v_lshl_add_u64 v[0:1], v[0:1], 0, 4
	;; [unrolled: 1-line block ×6, first 2 shown]
	global_load_dword v134, v[2:3], off
	global_load_dword v135, v[6:7], off
	;; [unrolled: 1-line block ×5, first 2 shown]
	v_add_u32_e32 v14, s17, v75
	v_add_u32_e32 v0, v14, v77
	;; [unrolled: 1-line block ×6, first 2 shown]
	v_mad_i64_i32 v[0:1], s[4:5], v0, 36, v[124:125]
	v_mad_i64_i32 v[2:3], s[4:5], v2, 36, v[124:125]
	;; [unrolled: 1-line block ×5, first 2 shown]
	v_add_u32_e32 v10, v14, v105
	v_add_u32_e32 v12, v14, v111
	;; [unrolled: 1-line block ×3, first 2 shown]
	v_mad_i64_i32 v[10:11], s[4:5], v10, 36, v[124:125]
	v_mad_i64_i32 v[12:13], s[4:5], v12, 36, v[124:125]
	;; [unrolled: 1-line block ×3, first 2 shown]
	global_load_dword v139, v[0:1], off offset:4
	s_nop 0
	global_load_dword v2, v[2:3], off offset:4
	s_nop 0
	;; [unrolled: 2-line block ×3, first 2 shown]
	global_load_dword v4, v[6:7], off offset:4
	global_load_dword v5, v[8:9], off offset:4
	s_nop 0
	global_load_dword v6, v[10:11], off offset:4
	global_load_dword v7, v[12:13], off offset:4
	;; [unrolled: 1-line block ×3, first 2 shown]
	v_mad_u64_u32 v[0:1], s[4:5], v161, 36, s[2:3]
	global_load_dword v0, v[0:1], off
	v_lshrrev_b32_e32 v9, 4, v44
	v_ashrrev_i32_e32 v10, v63, v45
	v_ashrrev_i32_e32 v11, v67, v45
	v_and_b32_e32 v1, 0xf0f0f0f, v44
	v_and_b32_e32 v9, 0xf0f0f0f, v9
	v_lshlrev_b32_e32 v10, 4, v10
	v_lshlrev_b32_e32 v11, 4, v11
	v_and_or_b32 v1, v10, s1, v1
	v_and_or_b32 v9, v11, s1, v9
	ds_write2_b32 v96, v1, v9 offset1:8
	v_lshrrev_b32_e32 v9, 4, v57
	v_ashrrev_i32_e32 v10, v63, v58
	v_ashrrev_i32_e32 v11, v67, v58
	v_and_b32_e32 v1, 0xf0f0f0f, v57
	v_and_b32_e32 v9, 0xf0f0f0f, v9
	v_lshlrev_b32_e32 v10, 4, v10
	v_lshlrev_b32_e32 v11, 4, v11
	v_and_or_b32 v1, v10, s1, v1
	v_and_or_b32 v9, v11, s1, v9
	ds_write2_b32 v100, v1, v9 offset1:8
	s_mov_b64 s[4:5], -1
	s_waitcnt vmcnt(21)
	v_lshrrev_b32_e32 v9, 4, v62
	s_waitcnt vmcnt(20)
	v_ashrrev_i32_e32 v10, v63, v66
	v_ashrrev_i32_e32 v11, v67, v66
	v_and_b32_e32 v1, 0xf0f0f0f, v62
	v_and_b32_e32 v9, 0xf0f0f0f, v9
	v_lshlrev_b32_e32 v10, 4, v10
	v_lshlrev_b32_e32 v11, 4, v11
	v_and_or_b32 v1, v10, s1, v1
	v_and_or_b32 v9, v11, s1, v9
	ds_write2_b32 v104, v1, v9 offset1:8
	s_waitcnt vmcnt(19)
	v_lshrrev_b32_e32 v9, 4, v70
	s_waitcnt vmcnt(18)
	v_ashrrev_i32_e32 v10, v63, v71
	v_ashrrev_i32_e32 v11, v67, v71
	v_and_b32_e32 v1, 0xf0f0f0f, v70
	v_and_b32_e32 v9, 0xf0f0f0f, v9
	v_lshlrev_b32_e32 v10, 4, v10
	v_lshlrev_b32_e32 v11, 4, v11
	v_and_or_b32 v1, v10, s1, v1
	v_and_or_b32 v9, v11, s1, v9
	ds_write2_b32 v108, v1, v9 offset1:8
	;; [unrolled: 12-line block ×4, first 2 shown]
	s_waitcnt vmcnt(13)
	ds_write_b32 v65, v134
	s_waitcnt vmcnt(12)
	v_ashrrev_i32_e32 v1, v69, v135
	v_and_b32_e32 v1, 0xf0f0f0f, v1
	s_waitcnt vmcnt(11)
	v_ashrrev_i32_e32 v9, v79, v136
	v_and_or_b32 v1, v9, s9, v1
	ds_write_b32 v243, v1
	s_waitcnt vmcnt(10)
	v_ashrrev_i32_e32 v1, v69, v137
	v_and_b32_e32 v1, 0xf0f0f0f, v1
	s_waitcnt vmcnt(9)
	v_ashrrev_i32_e32 v9, v79, v138
	v_and_or_b32 v1, v9, s9, v1
	ds_write_b32 v244, v1
	s_waitcnt vmcnt(8)
	ds_write_b32 v102, v139
	s_waitcnt vmcnt(7)
	;; [unrolled: 2-line block ×9, first 2 shown]
	ds_write_b32 v73, v0
	s_waitcnt lgkmcnt(0)
	s_barrier
	ds_read_b32 v0, v123
	ds_read_b32 v1, v149 offset:128
	ds_read_b32 v2, v197 offset:256
	;; [unrolled: 1-line block ×3, first 2 shown]
	s_waitcnt lgkmcnt(3)
	v_cvt_f32_f16_e32 v132, v0
	v_cvt_f32_f16_sdwa v134, v0 dst_sel:DWORD dst_unused:UNUSED_PAD src0_sel:WORD_1
	s_waitcnt lgkmcnt(2)
	v_cvt_f32_f16_e32 v136, v1
	v_cvt_f32_f16_sdwa v138, v1 dst_sel:DWORD dst_unused:UNUSED_PAD src0_sel:WORD_1
	;; [unrolled: 3-line block ×4, first 2 shown]
	v_mov_b32_e32 v133, v132
	v_mov_b32_e32 v135, v134
	v_mov_b32_e32 v137, v136
	v_mov_b32_e32 v139, v138
	v_mov_b32_e32 v141, v140
	v_mov_b32_e32 v143, v142
	v_mov_b32_e32 v145, v144
	v_mov_b32_e32 v147, v146
.LBB174_6:                              ;   Parent Loop BB174_5 Depth=1
                                        ; =>  This Inner Loop Header: Depth=2
	s_lshl_b32 s18, s19, 1
	s_lshr_b32 s20, s19, 2
	v_or_b32_e32 v0, s18, v61
	s_add_i32 s20, s20, 0xa200
	v_lshlrev_b32_e32 v1, 2, v0
	v_lshrrev_b32_e32 v44, 1, v0
	v_lshlrev_b32_e32 v248, 2, v75
	v_lshlrev_b32_e32 v249, 2, v59
	s_lshl_b32 s19, s19, 3
	ds_read_b128 v[12:15], v1 offset:33280
	ds_read_b128 v[8:11], v1 offset:33296
	;; [unrolled: 1-line block ×4, first 2 shown]
	ds_read_b64 v[228:229], v44 offset:43584
	v_add3_u32 v44, s20, v248, v249
	v_add_u32_e32 v45, s19, v239
	ds_read2_b32 v[198:199], v45 offset1:1
	ds_read2_b32 v[206:207], v45 offset0:2 offset1:3
	ds_read2_b32 v[210:211], v45 offset0:4 offset1:5
	ds_read2_b32 v[214:215], v45 offset0:6 offset1:7
	ds_read_u16 v54, v44
	ds_read_u8 v55, v44 offset:8
	ds_read_u8 v44, v44 offset:9
	v_lshlrev_b32_e32 v250, 2, v127
	ds_read2_b32 v[194:195], v45 offset0:8 offset1:9
	ds_read2_b32 v[222:223], v45 offset0:10 offset1:11
	;; [unrolled: 1-line block ×4, first 2 shown]
	s_waitcnt lgkmcnt(4)
	v_cvt_f32_ubyte0_e32 v220, v44
	v_add3_u32 v44, s20, v250, v245
	v_add_u32_e32 v45, s19, v240
	v_cvt_f32_ubyte0_e32 v170, v55
	ds_read2_b32 v[168:169], v45 offset1:1
	ds_read2_b32 v[176:177], v45 offset0:2 offset1:3
	ds_read2_b32 v[178:179], v45 offset0:4 offset1:5
	;; [unrolled: 1-line block ×3, first 2 shown]
	ds_read_u16 v55, v44
	ds_read_u8 v58, v44 offset:8
	ds_read_u8 v44, v44 offset:9
	v_lshlrev_b32_e32 v251, 2, v151
	ds_read2_b32 v[164:165], v45 offset0:8 offset1:9
	ds_read2_b32 v[202:203], v45 offset0:10 offset1:11
	;; [unrolled: 1-line block ×4, first 2 shown]
	s_waitcnt lgkmcnt(4)
	v_cvt_f32_ubyte0_e32 v196, v44
	v_add3_u32 v44, s20, v251, v246
	v_add_u32_e32 v45, s19, v241
	v_and_b32_e32 v201, 0xff, v55
	v_lshrrev_b16_e32 v255, 8, v55
	ds_read2_b32 v[172:173], v45 offset1:1
	ds_read2_b32 v[182:183], v45 offset0:2 offset1:3
	ds_read2_b32 v[184:185], v45 offset0:4 offset1:5
	ds_read2_b32 v[186:187], v45 offset0:6 offset1:7
	ds_read_u16 v55, v44
	ds_read_u8 v62, v44 offset:8
	ds_read_u8 v44, v44 offset:9
	ds_read2_b32 v[166:167], v45 offset0:8 offset1:9
	ds_read2_b32 v[212:213], v45 offset0:10 offset1:11
	;; [unrolled: 1-line block ×4, first 2 shown]
	v_add_u32_e32 v45, s19, v242
	ds_read2_b32 v[174:175], v45 offset1:1
	ds_read2_b32 v[188:189], v45 offset0:2 offset1:3
	ds_read2_b32 v[190:191], v45 offset0:4 offset1:5
	;; [unrolled: 1-line block ×3, first 2 shown]
	v_mov_b32_e32 v66, 0
	v_and_b32_e32 v254, 0xff, v54
	v_lshrrev_b16_e32 v57, 8, v54
	v_mov_b32_e32 v54, 0
	v_cvt_f32_ubyte0_e32 v160, v58
	v_mov_b32_e32 v58, 0
	s_waitcnt lgkmcnt(9)
	v_cvt_f32_ubyte0_e32 v162, v62
	v_mov_b32_e32 v62, 0
	v_dot4c_i32_i8_e32 v66, v198, v12
	v_dot4c_i32_i8_e32 v54, v168, v12
	;; [unrolled: 1-line block ×3, first 2 shown]
	s_waitcnt lgkmcnt(3)
	v_dot4c_i32_i8_e32 v62, v174, v12
	v_dot4c_i32_i8_e32 v66, v199, v13
	;; [unrolled: 1-line block ×8, first 2 shown]
	s_waitcnt lgkmcnt(2)
	v_dot4c_i32_i8_e32 v62, v188, v14
	v_dot4c_i32_i8_e32 v66, v207, v15
	;; [unrolled: 1-line block ×8, first 2 shown]
	v_lshlrev_b32_e32 v252, 2, v221
	s_waitcnt lgkmcnt(1)
	v_dot4c_i32_i8_e32 v62, v190, v8
	v_dot4c_i32_i8_e32 v66, v211, v9
	;; [unrolled: 1-line block ×4, first 2 shown]
	v_cvt_f32_ubyte0_e32 v200, v44
	v_add3_u32 v44, s20, v252, v247
	v_dot4c_i32_i8_e32 v62, v191, v9
	v_dot4c_i32_i8_e32 v66, v214, v10
	;; [unrolled: 1-line block ×4, first 2 shown]
	s_waitcnt lgkmcnt(0)
	v_dot4c_i32_i8_e32 v62, v192, v10
	ds_read_u16 v8, v44
	ds_read_u8 v9, v44 offset:8
	ds_read_u8 v10, v44 offset:9
	ds_read2_b32 v[158:159], v45 offset0:8 offset1:9
	ds_read2_b32 v[152:153], v45 offset0:10 offset1:11
	;; [unrolled: 1-line block ×4, first 2 shown]
	v_mov_b32_e32 v70, 0
	v_mov_b32_e32 v82, 0
	v_mov_b32_e32 v86, 0
	v_mov_b32_e32 v90, 0
	v_dot4c_i32_i8_e32 v70, v194, v4
	v_dot4c_i32_i8_e32 v82, v164, v4
	v_dot4c_i32_i8_e32 v86, v166, v4
	s_waitcnt lgkmcnt(3)
	v_dot4c_i32_i8_e32 v90, v158, v4
	v_dot4c_i32_i8_e32 v70, v195, v5
	v_dot4c_i32_i8_e32 v82, v165, v5
	v_dot4c_i32_i8_e32 v86, v167, v5
	v_dot4c_i32_i8_e32 v90, v159, v5
	v_dot4c_i32_i8_e32 v70, v222, v6
	v_dot4c_i32_i8_e32 v82, v202, v6
	v_dot4c_i32_i8_e32 v86, v212, v6
	s_waitcnt lgkmcnt(2)
	v_dot4c_i32_i8_e32 v90, v152, v6
	v_dot4c_i32_i8_e32 v70, v223, v7
	v_dot4c_i32_i8_e32 v82, v203, v7
	v_dot4c_i32_i8_e32 v86, v213, v7
	v_dot4c_i32_i8_e32 v90, v153, v7
	;; [unrolled: 9-line block ×3, first 2 shown]
	v_or_b32_e32 v0, s18, v83
	v_dot4c_i32_i8_e32 v70, v226, v2
	v_dot4c_i32_i8_e32 v82, v208, v2
	;; [unrolled: 1-line block ×3, first 2 shown]
	s_waitcnt lgkmcnt(0)
	v_dot4c_i32_i8_e32 v90, v156, v2
	v_lshlrev_b32_e32 v1, 2, v0
	v_dot4c_i32_i8_e32 v66, v215, v11
	v_dot4c_i32_i8_e32 v70, v227, v3
	;; [unrolled: 1-line block ×7, first 2 shown]
	v_and_b32_e32 v171, 0xff, v8
	v_cvt_f32_ubyte0_e32 v150, v9
	v_dot4c_i32_i8_e32 v90, v157, v3
	v_lshrrev_b16_e32 v163, 8, v8
	v_cvt_f32_ubyte0_e32 v148, v10
	v_lshrrev_b32_e32 v44, 1, v0
	ds_read_b128 v[12:15], v1 offset:33280
	ds_read_b128 v[8:11], v1 offset:33296
	;; [unrolled: 1-line block ×4, first 2 shown]
	ds_read_b64 v[232:233], v44 offset:43584
	v_mov_b32_e32 v44, 0
	s_waitcnt lgkmcnt(4)
	v_dot4c_i32_i8_e32 v44, v198, v12
	v_mov_b32_e32 v71, 0
	v_dot4c_i32_i8_e32 v44, v199, v13
	s_waitcnt lgkmcnt(2)
	v_dot4c_i32_i8_e32 v71, v194, v4
	v_dot4c_i32_i8_e32 v44, v206, v14
	;; [unrolled: 1-line block ×8, first 2 shown]
	s_waitcnt lgkmcnt(1)
	v_dot4c_i32_i8_e32 v71, v224, v0
	v_dot4c_i32_i8_e32 v44, v214, v10
	;; [unrolled: 1-line block ×6, first 2 shown]
	s_waitcnt lgkmcnt(0)
	v_cvt_f32_f16_sdwa v237, v232 dst_sel:DWORD dst_unused:UNUSED_PAD src0_sel:WORD_1
	v_cvt_f32_f16_sdwa v236, v228 dst_sel:DWORD dst_unused:UNUSED_PAD src0_sel:WORD_1
	v_mul_lo_u32 v45, v66, v254
	v_mul_lo_u32 v44, v44, v254
	v_cvt_f32_f16_e32 v235, v232
	v_cvt_f32_f16_e32 v234, v228
	;; [unrolled: 1-line block ×4, first 2 shown]
	v_cvt_f32_f16_sdwa v233, v233 dst_sel:DWORD dst_unused:UNUSED_PAD src0_sel:WORD_1
	v_cvt_f32_f16_sdwa v232, v229 dst_sel:DWORD dst_unused:UNUSED_PAD src0_sel:WORD_1
	v_cvt_f32_i32_e32 v229, v44
	v_cvt_f32_i32_e32 v228, v45
	v_mul_lo_u32 v66, v70, v57
	v_mul_lo_u32 v70, v71, v57
	v_cvt_f32_i32_e32 v71, v70
	v_cvt_f32_i32_e32 v70, v66
	v_pk_fma_f32 v[44:45], v[170:171], v[236:237], 0 op_sel_hi:[0,1,0]
	v_pk_fma_f32 v[228:229], v[234:235], v[228:229], 0 op_sel_hi:[1,1,0]
	;; [unrolled: 1-line block ×3, first 2 shown]
	v_pk_fma_f32 v[70:71], v[230:231], v[70:71], v[228:229]
	v_pk_mul_f32 v[44:45], v[44:45], v[134:135]
	v_mov_b32_e32 v66, 0
	v_pk_fma_f32 v[44:45], v[70:71], v[132:133], v[44:45] neg_lo:[0,0,1] neg_hi:[0,0,1]
	v_dot4c_i32_i8_e32 v66, v164, v4
	v_pk_add_f32 v[52:53], v[52:53], v[44:45]
	v_mov_b32_e32 v44, 0
	v_dot4c_i32_i8_e32 v44, v168, v12
	v_dot4c_i32_i8_e32 v44, v169, v13
	v_dot4c_i32_i8_e32 v44, v176, v14
	v_dot4c_i32_i8_e32 v66, v165, v5
	v_dot4c_i32_i8_e32 v44, v177, v15
	v_dot4c_i32_i8_e32 v66, v202, v6
	v_dot4c_i32_i8_e32 v44, v178, v8
	v_dot4c_i32_i8_e32 v66, v203, v7
	v_dot4c_i32_i8_e32 v44, v179, v9
	v_dot4c_i32_i8_e32 v66, v204, v0
	v_dot4c_i32_i8_e32 v44, v180, v10
	v_dot4c_i32_i8_e32 v66, v205, v1
	v_dot4c_i32_i8_e32 v44, v181, v11
	v_dot4c_i32_i8_e32 v66, v208, v2
	v_dot4c_i32_i8_e32 v66, v209, v3
	v_mul_lo_u32 v54, v54, v201
	v_mul_lo_u32 v44, v44, v201
	v_cvt_f32_i32_e32 v45, v44
	v_cvt_f32_i32_e32 v44, v54
	v_mul_lo_u32 v54, v82, v255
	v_mul_lo_u32 v66, v66, v255
	v_cvt_f32_i32_e32 v229, v66
	v_cvt_f32_i32_e32 v228, v54
	v_pk_fma_f32 v[70:71], v[160:161], v[236:237], 0 op_sel_hi:[0,1,0]
	v_pk_fma_f32 v[44:45], v[234:235], v[44:45], 0 op_sel_hi:[1,1,0]
	;; [unrolled: 1-line block ×3, first 2 shown]
	v_pk_fma_f32 v[44:45], v[230:231], v[228:229], v[44:45]
	v_pk_mul_f32 v[70:71], v[70:71], v[138:139]
	v_mov_b32_e32 v54, 0
	v_pk_fma_f32 v[44:45], v[44:45], v[136:137], v[70:71] neg_lo:[0,0,1] neg_hi:[0,0,1]
	v_dot4c_i32_i8_e32 v54, v166, v4
	v_pk_add_f32 v[48:49], v[48:49], v[44:45]
	v_mov_b32_e32 v44, 0
	v_dot4c_i32_i8_e32 v44, v172, v12
	v_dot4c_i32_i8_e32 v44, v173, v13
	;; [unrolled: 1-line block ×12, first 2 shown]
	v_and_b32_e32 v253, 0xff, v55
	v_dot4c_i32_i8_e32 v44, v187, v11
	v_dot4c_i32_i8_e32 v54, v218, v2
	v_lshrrev_b16_e32 v55, 8, v55
	v_dot4c_i32_i8_e32 v54, v219, v3
	v_mul_lo_u32 v58, v58, v253
	v_mul_lo_u32 v44, v44, v253
	v_cvt_f32_i32_e32 v45, v44
	v_cvt_f32_i32_e32 v44, v58
	v_mul_lo_u32 v58, v86, v55
	v_mul_lo_u32 v54, v54, v55
	v_cvt_f32_i32_e32 v229, v54
	v_cvt_f32_i32_e32 v228, v58
	v_pk_fma_f32 v[70:71], v[162:163], v[236:237], 0 op_sel_hi:[0,1,0]
	v_pk_fma_f32 v[44:45], v[234:235], v[44:45], 0 op_sel_hi:[1,1,0]
	;; [unrolled: 1-line block ×3, first 2 shown]
	v_pk_fma_f32 v[44:45], v[230:231], v[228:229], v[44:45]
	v_pk_mul_f32 v[70:71], v[70:71], v[142:143]
	v_mov_b32_e32 v54, 0
	v_pk_fma_f32 v[44:45], v[44:45], v[140:141], v[70:71] neg_lo:[0,0,1] neg_hi:[0,0,1]
	v_mov_b32_e32 v58, 0
	v_pk_add_f32 v[42:43], v[42:43], v[44:45]
	v_mov_b32_e32 v44, 0
	v_dot4c_i32_i8_e32 v44, v174, v12
	v_dot4c_i32_i8_e32 v44, v175, v13
	;; [unrolled: 1-line block ×5, first 2 shown]
	v_mov_b32_e32 v8, 0
	v_dot4c_i32_i8_e32 v8, v158, v4
	v_dot4c_i32_i8_e32 v8, v159, v5
	;; [unrolled: 1-line block ×11, first 2 shown]
	v_mul_lo_u32 v0, v62, v171
	v_mul_lo_u32 v1, v44, v171
	v_cvt_f32_i32_e32 v1, v1
	v_cvt_f32_i32_e32 v0, v0
	v_mul_lo_u32 v4, v90, v163
	v_mul_lo_u32 v5, v8, v163
	v_cvt_f32_i32_e32 v5, v5
	v_cvt_f32_i32_e32 v4, v4
	v_pk_fma_f32 v[2:3], v[150:151], v[236:237], 0 op_sel_hi:[0,1,0]
	v_pk_fma_f32 v[0:1], v[234:235], v[0:1], 0 op_sel_hi:[1,1,0]
	;; [unrolled: 1-line block ×3, first 2 shown]
	v_pk_fma_f32 v[0:1], v[230:231], v[4:5], v[0:1]
	v_pk_mul_f32 v[2:3], v[2:3], v[146:147]
	v_mov_b32_e32 v62, 0
	v_pk_fma_f32 v[0:1], v[0:1], v[144:145], v[2:3] neg_lo:[0,0,1] neg_hi:[0,0,1]
	v_mov_b32_e32 v66, 0
	v_pk_add_f32 v[40:41], v[40:41], v[0:1]
	v_or_b32_e32 v0, s18, v89
	v_lshlrev_b32_e32 v1, 2, v0
	v_lshrrev_b32_e32 v44, 1, v0
	ds_read_b128 v[12:15], v1 offset:33280
	ds_read_b128 v[8:11], v1 offset:33296
	;; [unrolled: 1-line block ×4, first 2 shown]
	ds_read_b64 v[228:229], v44 offset:43584
	v_mov_b32_e32 v82, 0
	v_mov_b32_e32 v86, 0
	;; [unrolled: 1-line block ×4, first 2 shown]
	s_waitcnt lgkmcnt(4)
	v_dot4c_i32_i8_e32 v54, v198, v12
	s_waitcnt lgkmcnt(2)
	v_dot4c_i32_i8_e32 v58, v194, v4
	v_dot4c_i32_i8_e32 v62, v168, v12
	;; [unrolled: 1-line block ×32, first 2 shown]
	s_waitcnt lgkmcnt(1)
	v_dot4c_i32_i8_e32 v58, v224, v0
	v_dot4c_i32_i8_e32 v62, v178, v8
	v_dot4c_i32_i8_e32 v66, v204, v0
	v_dot4c_i32_i8_e32 v82, v184, v8
	v_dot4c_i32_i8_e32 v86, v216, v0
	v_dot4c_i32_i8_e32 v90, v190, v8
	v_dot4c_i32_i8_e32 v94, v154, v0
	v_dot4c_i32_i8_e32 v54, v211, v9
	v_dot4c_i32_i8_e32 v58, v225, v1
	v_dot4c_i32_i8_e32 v62, v179, v9
	v_dot4c_i32_i8_e32 v66, v205, v1
	v_dot4c_i32_i8_e32 v82, v185, v9
	v_dot4c_i32_i8_e32 v86, v217, v1
	v_dot4c_i32_i8_e32 v90, v191, v9
	v_dot4c_i32_i8_e32 v94, v155, v1
	v_or_b32_e32 v0, s18, v95
	v_dot4c_i32_i8_e32 v54, v214, v10
	v_dot4c_i32_i8_e32 v58, v226, v2
	v_dot4c_i32_i8_e32 v62, v180, v10
	v_dot4c_i32_i8_e32 v66, v208, v2
	v_dot4c_i32_i8_e32 v82, v186, v10
	v_dot4c_i32_i8_e32 v86, v218, v2
	v_dot4c_i32_i8_e32 v90, v192, v10
	v_dot4c_i32_i8_e32 v94, v156, v2
	v_lshlrev_b32_e32 v1, 2, v0
	v_lshrrev_b32_e32 v44, 1, v0
	v_dot4c_i32_i8_e32 v54, v215, v11
	v_dot4c_i32_i8_e32 v58, v227, v3
	;; [unrolled: 1-line block ×8, first 2 shown]
	ds_read_b128 v[12:15], v1 offset:33280
	ds_read_b128 v[8:11], v1 offset:33296
	;; [unrolled: 1-line block ×4, first 2 shown]
	ds_read_b64 v[44:45], v44 offset:43584
	v_mov_b32_e32 v70, 0
	s_waitcnt lgkmcnt(4)
	v_dot4c_i32_i8_e32 v70, v198, v12
	v_mov_b32_e32 v98, 0
	v_dot4c_i32_i8_e32 v70, v199, v13
	s_waitcnt lgkmcnt(2)
	v_dot4c_i32_i8_e32 v98, v194, v4
	v_dot4c_i32_i8_e32 v70, v206, v14
	;; [unrolled: 1-line block ×8, first 2 shown]
	s_waitcnt lgkmcnt(1)
	v_dot4c_i32_i8_e32 v98, v224, v0
	v_dot4c_i32_i8_e32 v70, v214, v10
	;; [unrolled: 1-line block ×6, first 2 shown]
	s_waitcnt lgkmcnt(0)
	v_cvt_f32_f16_e32 v235, v44
	v_cvt_f32_f16_sdwa v237, v44 dst_sel:DWORD dst_unused:UNUSED_PAD src0_sel:WORD_1
	v_cvt_f32_f16_sdwa v236, v228 dst_sel:DWORD dst_unused:UNUSED_PAD src0_sel:WORD_1
	v_cvt_f32_f16_e32 v231, v45
	v_cvt_f32_f16_sdwa v233, v45 dst_sel:DWORD dst_unused:UNUSED_PAD src0_sel:WORD_1
	v_mul_lo_u32 v44, v54, v254
	v_mul_lo_u32 v45, v70, v254
	v_cvt_f32_f16_e32 v234, v228
	v_cvt_f32_f16_sdwa v232, v229 dst_sel:DWORD dst_unused:UNUSED_PAD src0_sel:WORD_1
	v_cvt_f32_i32_e32 v45, v45
	v_cvt_f32_i32_e32 v44, v44
	v_mul_lo_u32 v54, v58, v57
	v_mul_lo_u32 v58, v98, v57
	v_cvt_f32_f16_e32 v230, v229
	v_cvt_f32_i32_e32 v229, v58
	v_cvt_f32_i32_e32 v228, v54
	v_pk_fma_f32 v[70:71], v[170:171], v[236:237], 0 op_sel_hi:[0,1,0]
	v_pk_fma_f32 v[44:45], v[44:45], v[234:235], 0 op_sel_hi:[1,1,0]
	;; [unrolled: 1-line block ×3, first 2 shown]
	v_pk_fma_f32 v[44:45], v[228:229], v[230:231], v[44:45]
	v_pk_mul_f32 v[70:71], v[70:71], v[134:135]
	v_mov_b32_e32 v54, 0
	v_pk_fma_f32 v[44:45], v[44:45], v[132:133], v[70:71] neg_lo:[0,0,1] neg_hi:[0,0,1]
	v_dot4c_i32_i8_e32 v54, v164, v4
	v_pk_add_f32 v[38:39], v[38:39], v[44:45]
	v_mov_b32_e32 v44, 0
	v_dot4c_i32_i8_e32 v44, v168, v12
	v_dot4c_i32_i8_e32 v44, v169, v13
	;; [unrolled: 1-line block ×15, first 2 shown]
	v_mul_lo_u32 v58, v62, v201
	v_mul_lo_u32 v44, v44, v201
	v_cvt_f32_i32_e32 v45, v44
	v_cvt_f32_i32_e32 v44, v58
	v_mul_lo_u32 v58, v66, v255
	v_mul_lo_u32 v54, v54, v255
	v_cvt_f32_i32_e32 v229, v54
	v_cvt_f32_i32_e32 v228, v58
	v_pk_fma_f32 v[70:71], v[160:161], v[236:237], 0 op_sel_hi:[0,1,0]
	v_pk_fma_f32 v[44:45], v[44:45], v[234:235], 0 op_sel_hi:[1,1,0]
	;; [unrolled: 1-line block ×3, first 2 shown]
	v_pk_fma_f32 v[44:45], v[228:229], v[230:231], v[44:45]
	v_pk_mul_f32 v[70:71], v[70:71], v[138:139]
	v_mov_b32_e32 v54, 0
	v_pk_fma_f32 v[44:45], v[44:45], v[136:137], v[70:71] neg_lo:[0,0,1] neg_hi:[0,0,1]
	v_dot4c_i32_i8_e32 v54, v166, v4
	v_pk_add_f32 v[36:37], v[36:37], v[44:45]
	v_mov_b32_e32 v44, 0
	v_dot4c_i32_i8_e32 v44, v172, v12
	v_dot4c_i32_i8_e32 v44, v173, v13
	;; [unrolled: 1-line block ×15, first 2 shown]
	v_mul_lo_u32 v58, v82, v253
	v_mul_lo_u32 v44, v44, v253
	v_cvt_f32_i32_e32 v45, v44
	v_cvt_f32_i32_e32 v44, v58
	v_mul_lo_u32 v58, v86, v55
	v_mul_lo_u32 v54, v54, v55
	v_cvt_f32_i32_e32 v229, v54
	v_cvt_f32_i32_e32 v228, v58
	v_pk_fma_f32 v[70:71], v[162:163], v[236:237], 0 op_sel_hi:[0,1,0]
	v_pk_fma_f32 v[44:45], v[44:45], v[234:235], 0 op_sel_hi:[1,1,0]
	v_pk_fma_f32 v[70:71], v[200:201], v[232:233], v[70:71] op_sel_hi:[0,1,1]
	v_pk_fma_f32 v[44:45], v[228:229], v[230:231], v[44:45]
	v_pk_mul_f32 v[70:71], v[70:71], v[142:143]
	v_mov_b32_e32 v54, 0
	v_pk_fma_f32 v[44:45], v[44:45], v[140:141], v[70:71] neg_lo:[0,0,1] neg_hi:[0,0,1]
	v_mov_b32_e32 v58, 0
	v_pk_add_f32 v[34:35], v[34:35], v[44:45]
	v_mov_b32_e32 v44, 0
	v_dot4c_i32_i8_e32 v44, v174, v12
	v_dot4c_i32_i8_e32 v44, v175, v13
	;; [unrolled: 1-line block ×5, first 2 shown]
	v_mov_b32_e32 v8, 0
	v_dot4c_i32_i8_e32 v8, v158, v4
	v_dot4c_i32_i8_e32 v8, v159, v5
	;; [unrolled: 1-line block ×11, first 2 shown]
	v_mul_lo_u32 v0, v90, v171
	v_mul_lo_u32 v1, v44, v171
	v_cvt_f32_i32_e32 v1, v1
	v_cvt_f32_i32_e32 v0, v0
	v_mul_lo_u32 v4, v94, v163
	v_mul_lo_u32 v5, v8, v163
	v_cvt_f32_i32_e32 v5, v5
	v_cvt_f32_i32_e32 v4, v4
	v_pk_fma_f32 v[2:3], v[150:151], v[236:237], 0 op_sel_hi:[0,1,0]
	v_pk_fma_f32 v[0:1], v[0:1], v[234:235], 0 op_sel_hi:[1,1,0]
	;; [unrolled: 1-line block ×3, first 2 shown]
	v_pk_fma_f32 v[0:1], v[4:5], v[230:231], v[0:1]
	v_pk_mul_f32 v[2:3], v[2:3], v[146:147]
	v_mov_b32_e32 v62, 0
	v_pk_fma_f32 v[0:1], v[0:1], v[144:145], v[2:3] neg_lo:[0,0,1] neg_hi:[0,0,1]
	v_mov_b32_e32 v66, 0
	v_pk_add_f32 v[32:33], v[32:33], v[0:1]
	v_or_b32_e32 v0, s18, v101
	v_lshlrev_b32_e32 v1, 2, v0
	v_lshrrev_b32_e32 v44, 1, v0
	ds_read_b128 v[12:15], v1 offset:33280
	ds_read_b128 v[8:11], v1 offset:33296
	;; [unrolled: 1-line block ×4, first 2 shown]
	ds_read_b64 v[228:229], v44 offset:43584
	v_mov_b32_e32 v82, 0
	v_mov_b32_e32 v86, 0
	;; [unrolled: 1-line block ×4, first 2 shown]
	s_waitcnt lgkmcnt(4)
	v_dot4c_i32_i8_e32 v54, v198, v12
	s_waitcnt lgkmcnt(2)
	v_dot4c_i32_i8_e32 v58, v194, v4
	v_dot4c_i32_i8_e32 v62, v168, v12
	;; [unrolled: 1-line block ×32, first 2 shown]
	s_waitcnt lgkmcnt(1)
	v_dot4c_i32_i8_e32 v58, v224, v0
	v_dot4c_i32_i8_e32 v62, v178, v8
	;; [unrolled: 1-line block ×15, first 2 shown]
	v_or_b32_e32 v0, s18, v107
	v_dot4c_i32_i8_e32 v54, v214, v10
	v_dot4c_i32_i8_e32 v58, v226, v2
	;; [unrolled: 1-line block ×8, first 2 shown]
	v_lshlrev_b32_e32 v1, 2, v0
	v_lshrrev_b32_e32 v44, 1, v0
	v_dot4c_i32_i8_e32 v54, v215, v11
	v_dot4c_i32_i8_e32 v58, v227, v3
	;; [unrolled: 1-line block ×8, first 2 shown]
	ds_read_b128 v[12:15], v1 offset:33280
	ds_read_b128 v[8:11], v1 offset:33296
	;; [unrolled: 1-line block ×4, first 2 shown]
	ds_read_b64 v[44:45], v44 offset:43584
	v_mov_b32_e32 v70, 0
	s_waitcnt lgkmcnt(4)
	v_dot4c_i32_i8_e32 v70, v198, v12
	v_mov_b32_e32 v98, 0
	v_dot4c_i32_i8_e32 v70, v199, v13
	s_waitcnt lgkmcnt(2)
	v_dot4c_i32_i8_e32 v98, v194, v4
	v_dot4c_i32_i8_e32 v70, v206, v14
	;; [unrolled: 1-line block ×8, first 2 shown]
	s_waitcnt lgkmcnt(1)
	v_dot4c_i32_i8_e32 v98, v224, v0
	v_dot4c_i32_i8_e32 v70, v214, v10
	;; [unrolled: 1-line block ×6, first 2 shown]
	s_waitcnt lgkmcnt(0)
	v_cvt_f32_f16_e32 v235, v44
	v_cvt_f32_f16_sdwa v237, v44 dst_sel:DWORD dst_unused:UNUSED_PAD src0_sel:WORD_1
	v_cvt_f32_f16_sdwa v236, v228 dst_sel:DWORD dst_unused:UNUSED_PAD src0_sel:WORD_1
	v_cvt_f32_f16_e32 v231, v45
	v_cvt_f32_f16_sdwa v233, v45 dst_sel:DWORD dst_unused:UNUSED_PAD src0_sel:WORD_1
	v_mul_lo_u32 v44, v54, v254
	v_mul_lo_u32 v45, v70, v254
	v_cvt_f32_f16_e32 v234, v228
	v_cvt_f32_f16_sdwa v232, v229 dst_sel:DWORD dst_unused:UNUSED_PAD src0_sel:WORD_1
	v_cvt_f32_i32_e32 v45, v45
	v_cvt_f32_i32_e32 v44, v44
	v_mul_lo_u32 v54, v58, v57
	v_mul_lo_u32 v58, v98, v57
	v_cvt_f32_f16_e32 v230, v229
	v_cvt_f32_i32_e32 v229, v58
	v_cvt_f32_i32_e32 v228, v54
	v_pk_fma_f32 v[70:71], v[170:171], v[236:237], 0 op_sel_hi:[0,1,0]
	v_pk_fma_f32 v[44:45], v[44:45], v[234:235], 0 op_sel_hi:[1,1,0]
	;; [unrolled: 1-line block ×3, first 2 shown]
	v_pk_fma_f32 v[44:45], v[228:229], v[230:231], v[44:45]
	v_pk_mul_f32 v[70:71], v[70:71], v[134:135]
	v_mov_b32_e32 v54, 0
	v_pk_fma_f32 v[44:45], v[44:45], v[132:133], v[70:71] neg_lo:[0,0,1] neg_hi:[0,0,1]
	v_dot4c_i32_i8_e32 v54, v164, v4
	v_pk_add_f32 v[30:31], v[30:31], v[44:45]
	v_mov_b32_e32 v44, 0
	v_dot4c_i32_i8_e32 v44, v168, v12
	v_dot4c_i32_i8_e32 v44, v169, v13
	;; [unrolled: 1-line block ×15, first 2 shown]
	v_mul_lo_u32 v58, v62, v201
	v_mul_lo_u32 v44, v44, v201
	v_cvt_f32_i32_e32 v45, v44
	v_cvt_f32_i32_e32 v44, v58
	v_mul_lo_u32 v58, v66, v255
	v_mul_lo_u32 v54, v54, v255
	v_cvt_f32_i32_e32 v229, v54
	v_cvt_f32_i32_e32 v228, v58
	v_pk_fma_f32 v[70:71], v[160:161], v[236:237], 0 op_sel_hi:[0,1,0]
	v_pk_fma_f32 v[44:45], v[44:45], v[234:235], 0 op_sel_hi:[1,1,0]
	;; [unrolled: 1-line block ×3, first 2 shown]
	v_pk_fma_f32 v[44:45], v[228:229], v[230:231], v[44:45]
	v_pk_mul_f32 v[70:71], v[70:71], v[138:139]
	v_mov_b32_e32 v54, 0
	v_pk_fma_f32 v[44:45], v[44:45], v[136:137], v[70:71] neg_lo:[0,0,1] neg_hi:[0,0,1]
	v_dot4c_i32_i8_e32 v54, v166, v4
	v_pk_add_f32 v[28:29], v[28:29], v[44:45]
	v_mov_b32_e32 v44, 0
	v_dot4c_i32_i8_e32 v44, v172, v12
	v_dot4c_i32_i8_e32 v44, v173, v13
	;; [unrolled: 1-line block ×15, first 2 shown]
	v_mul_lo_u32 v58, v82, v253
	v_mul_lo_u32 v44, v44, v253
	v_cvt_f32_i32_e32 v45, v44
	v_cvt_f32_i32_e32 v44, v58
	v_mul_lo_u32 v58, v86, v55
	v_mul_lo_u32 v54, v54, v55
	v_cvt_f32_i32_e32 v229, v54
	v_cvt_f32_i32_e32 v228, v58
	v_pk_fma_f32 v[70:71], v[162:163], v[236:237], 0 op_sel_hi:[0,1,0]
	v_pk_fma_f32 v[44:45], v[44:45], v[234:235], 0 op_sel_hi:[1,1,0]
	;; [unrolled: 1-line block ×3, first 2 shown]
	v_pk_fma_f32 v[44:45], v[228:229], v[230:231], v[44:45]
	v_pk_mul_f32 v[70:71], v[70:71], v[142:143]
	v_mov_b32_e32 v54, 0
	v_pk_fma_f32 v[44:45], v[44:45], v[140:141], v[70:71] neg_lo:[0,0,1] neg_hi:[0,0,1]
	v_mov_b32_e32 v58, 0
	v_pk_add_f32 v[26:27], v[26:27], v[44:45]
	v_mov_b32_e32 v44, 0
	v_dot4c_i32_i8_e32 v44, v174, v12
	v_dot4c_i32_i8_e32 v44, v175, v13
	v_dot4c_i32_i8_e32 v44, v188, v14
	v_dot4c_i32_i8_e32 v44, v189, v15
	v_dot4c_i32_i8_e32 v44, v190, v8
	v_mov_b32_e32 v8, 0
	v_dot4c_i32_i8_e32 v8, v158, v4
	v_dot4c_i32_i8_e32 v8, v159, v5
	;; [unrolled: 1-line block ×11, first 2 shown]
	v_mul_lo_u32 v0, v90, v171
	v_mul_lo_u32 v1, v44, v171
	v_cvt_f32_i32_e32 v1, v1
	v_cvt_f32_i32_e32 v0, v0
	v_mul_lo_u32 v4, v94, v163
	v_mul_lo_u32 v5, v8, v163
	v_cvt_f32_i32_e32 v5, v5
	v_cvt_f32_i32_e32 v4, v4
	v_pk_fma_f32 v[2:3], v[150:151], v[236:237], 0 op_sel_hi:[0,1,0]
	v_pk_fma_f32 v[0:1], v[0:1], v[234:235], 0 op_sel_hi:[1,1,0]
	;; [unrolled: 1-line block ×3, first 2 shown]
	v_pk_fma_f32 v[0:1], v[4:5], v[230:231], v[0:1]
	v_pk_mul_f32 v[2:3], v[2:3], v[146:147]
	v_mov_b32_e32 v62, 0
	v_pk_fma_f32 v[0:1], v[0:1], v[144:145], v[2:3] neg_lo:[0,0,1] neg_hi:[0,0,1]
	v_mov_b32_e32 v66, 0
	v_pk_add_f32 v[24:25], v[24:25], v[0:1]
	v_or_b32_e32 v0, s18, v113
	v_lshlrev_b32_e32 v1, 2, v0
	v_lshrrev_b32_e32 v44, 1, v0
	ds_read_b128 v[12:15], v1 offset:33280
	ds_read_b128 v[8:11], v1 offset:33296
	;; [unrolled: 1-line block ×4, first 2 shown]
	ds_read_b64 v[228:229], v44 offset:43584
	v_mov_b32_e32 v82, 0
	v_mov_b32_e32 v86, 0
	;; [unrolled: 1-line block ×4, first 2 shown]
	s_waitcnt lgkmcnt(4)
	v_dot4c_i32_i8_e32 v54, v198, v12
	s_waitcnt lgkmcnt(2)
	v_dot4c_i32_i8_e32 v58, v194, v4
	v_dot4c_i32_i8_e32 v62, v168, v12
	v_dot4c_i32_i8_e32 v66, v164, v4
	v_dot4c_i32_i8_e32 v82, v172, v12
	v_dot4c_i32_i8_e32 v86, v166, v4
	v_dot4c_i32_i8_e32 v231, v174, v12
	v_dot4c_i32_i8_e32 v230, v158, v4
	v_dot4c_i32_i8_e32 v54, v199, v13
	v_dot4c_i32_i8_e32 v58, v195, v5
	v_dot4c_i32_i8_e32 v62, v169, v13
	v_dot4c_i32_i8_e32 v66, v165, v5
	v_dot4c_i32_i8_e32 v82, v173, v13
	v_dot4c_i32_i8_e32 v86, v167, v5
	v_dot4c_i32_i8_e32 v231, v175, v13
	v_dot4c_i32_i8_e32 v230, v159, v5
	v_dot4c_i32_i8_e32 v54, v206, v14
	v_dot4c_i32_i8_e32 v58, v222, v6
	v_dot4c_i32_i8_e32 v62, v176, v14
	v_dot4c_i32_i8_e32 v66, v202, v6
	v_dot4c_i32_i8_e32 v82, v182, v14
	v_dot4c_i32_i8_e32 v86, v212, v6
	v_dot4c_i32_i8_e32 v231, v188, v14
	v_dot4c_i32_i8_e32 v230, v152, v6
	v_dot4c_i32_i8_e32 v54, v207, v15
	v_dot4c_i32_i8_e32 v58, v223, v7
	v_dot4c_i32_i8_e32 v62, v177, v15
	v_dot4c_i32_i8_e32 v66, v203, v7
	v_dot4c_i32_i8_e32 v82, v183, v15
	v_dot4c_i32_i8_e32 v86, v213, v7
	v_dot4c_i32_i8_e32 v231, v189, v15
	v_dot4c_i32_i8_e32 v230, v153, v7
	v_dot4c_i32_i8_e32 v54, v210, v8
	s_waitcnt lgkmcnt(1)
	v_dot4c_i32_i8_e32 v58, v224, v0
	v_dot4c_i32_i8_e32 v62, v178, v8
	;; [unrolled: 1-line block ×15, first 2 shown]
	v_or_b32_e32 v0, s18, v119
	v_dot4c_i32_i8_e32 v54, v214, v10
	v_dot4c_i32_i8_e32 v58, v226, v2
	;; [unrolled: 1-line block ×8, first 2 shown]
	v_lshlrev_b32_e32 v1, 2, v0
	v_lshrrev_b32_e32 v44, 1, v0
	v_dot4c_i32_i8_e32 v54, v215, v11
	v_dot4c_i32_i8_e32 v58, v227, v3
	;; [unrolled: 1-line block ×8, first 2 shown]
	ds_read_b128 v[12:15], v1 offset:33280
	ds_read_b128 v[8:11], v1 offset:33296
	;; [unrolled: 1-line block ×4, first 2 shown]
	ds_read_b64 v[44:45], v44 offset:43584
	v_mov_b32_e32 v70, 0
	s_waitcnt lgkmcnt(4)
	v_dot4c_i32_i8_e32 v70, v198, v12
	v_mov_b32_e32 v90, 0
	v_dot4c_i32_i8_e32 v70, v199, v13
	s_waitcnt lgkmcnt(2)
	v_dot4c_i32_i8_e32 v90, v194, v4
	v_dot4c_i32_i8_e32 v70, v206, v14
	;; [unrolled: 1-line block ×8, first 2 shown]
	s_waitcnt lgkmcnt(1)
	v_dot4c_i32_i8_e32 v90, v224, v0
	v_dot4c_i32_i8_e32 v70, v214, v10
	;; [unrolled: 1-line block ×6, first 2 shown]
	s_waitcnt lgkmcnt(0)
	v_cvt_f32_f16_e32 v211, v44
	v_cvt_f32_f16_sdwa v207, v44 dst_sel:DWORD dst_unused:UNUSED_PAD src0_sel:WORD_1
	v_cvt_f32_f16_sdwa v206, v228 dst_sel:DWORD dst_unused:UNUSED_PAD src0_sel:WORD_1
	v_cvt_f32_f16_e32 v199, v45
	v_cvt_f32_f16_sdwa v195, v45 dst_sel:DWORD dst_unused:UNUSED_PAD src0_sel:WORD_1
	v_mul_lo_u32 v44, v54, v254
	v_mul_lo_u32 v45, v70, v254
	v_cvt_f32_f16_e32 v210, v228
	v_cvt_f32_f16_sdwa v194, v229 dst_sel:DWORD dst_unused:UNUSED_PAD src0_sel:WORD_1
	v_cvt_f32_i32_e32 v45, v45
	v_cvt_f32_i32_e32 v44, v44
	v_mul_lo_u32 v54, v58, v57
	v_mul_lo_u32 v57, v90, v57
	v_cvt_f32_f16_e32 v198, v229
	v_cvt_f32_i32_e32 v215, v57
	v_cvt_f32_i32_e32 v214, v54
	v_pk_fma_f32 v[70:71], v[170:171], v[206:207], 0 op_sel_hi:[0,1,0]
	v_pk_fma_f32 v[44:45], v[44:45], v[210:211], 0 op_sel_hi:[1,1,0]
	;; [unrolled: 1-line block ×3, first 2 shown]
	v_pk_fma_f32 v[44:45], v[214:215], v[198:199], v[44:45]
	v_pk_mul_f32 v[70:71], v[70:71], v[134:135]
	v_mov_b32_e32 v54, 0
	v_pk_fma_f32 v[44:45], v[44:45], v[132:133], v[70:71] neg_lo:[0,0,1] neg_hi:[0,0,1]
	v_dot4c_i32_i8_e32 v54, v164, v4
	v_pk_add_f32 v[22:23], v[22:23], v[44:45]
	v_mov_b32_e32 v44, 0
	v_dot4c_i32_i8_e32 v44, v168, v12
	v_dot4c_i32_i8_e32 v44, v169, v13
	;; [unrolled: 1-line block ×15, first 2 shown]
	v_mul_lo_u32 v57, v62, v201
	v_mul_lo_u32 v44, v44, v201
	v_cvt_f32_i32_e32 v45, v44
	v_cvt_f32_i32_e32 v44, v57
	v_mul_lo_u32 v57, v66, v255
	v_mul_lo_u32 v54, v54, v255
	v_cvt_f32_i32_e32 v165, v54
	v_cvt_f32_i32_e32 v164, v57
	v_pk_fma_f32 v[70:71], v[160:161], v[206:207], 0 op_sel_hi:[0,1,0]
	v_pk_fma_f32 v[44:45], v[44:45], v[210:211], 0 op_sel_hi:[1,1,0]
	;; [unrolled: 1-line block ×3, first 2 shown]
	v_pk_fma_f32 v[44:45], v[164:165], v[198:199], v[44:45]
	v_pk_mul_f32 v[70:71], v[70:71], v[138:139]
	v_mov_b32_e32 v54, 0
	v_pk_fma_f32 v[44:45], v[44:45], v[136:137], v[70:71] neg_lo:[0,0,1] neg_hi:[0,0,1]
	v_dot4c_i32_i8_e32 v54, v166, v4
	v_pk_add_f32 v[20:21], v[20:21], v[44:45]
	v_mov_b32_e32 v44, 0
	v_dot4c_i32_i8_e32 v44, v172, v12
	v_dot4c_i32_i8_e32 v44, v173, v13
	;; [unrolled: 1-line block ×15, first 2 shown]
	v_mul_lo_u32 v57, v82, v253
	v_mul_lo_u32 v44, v44, v253
	v_cvt_f32_i32_e32 v45, v44
	v_cvt_f32_i32_e32 v44, v57
	v_mul_lo_u32 v57, v86, v55
	v_mul_lo_u32 v54, v54, v55
	v_cvt_f32_i32_e32 v55, v54
	v_cvt_f32_i32_e32 v54, v57
	v_pk_fma_f32 v[44:45], v[44:45], v[210:211], 0 op_sel_hi:[1,1,0]
	v_pk_fma_f32 v[70:71], v[162:163], v[206:207], 0 op_sel_hi:[0,1,0]
	s_mov_b32 s19, 8
	v_pk_fma_f32 v[44:45], v[54:55], v[198:199], v[44:45]
	v_pk_fma_f32 v[54:55], v[200:201], v[194:195], v[70:71] op_sel_hi:[0,1,1]
	v_pk_mul_f32 v[54:55], v[54:55], v[142:143]
	s_and_b64 vcc, exec, s[4:5]
	v_pk_fma_f32 v[44:45], v[44:45], v[140:141], v[54:55] neg_lo:[0,0,1] neg_hi:[0,0,1]
	v_mov_b32_e32 v55, 0
	v_dot4c_i32_i8_e32 v55, v174, v12
	v_dot4c_i32_i8_e32 v55, v175, v13
	v_dot4c_i32_i8_e32 v55, v188, v14
	v_dot4c_i32_i8_e32 v55, v189, v15
	v_dot4c_i32_i8_e32 v55, v190, v8
	v_mov_b32_e32 v8, 0
	v_dot4c_i32_i8_e32 v8, v158, v4
	v_dot4c_i32_i8_e32 v8, v159, v5
	;; [unrolled: 1-line block ×11, first 2 shown]
	v_mul_lo_u32 v0, v231, v171
	v_mul_lo_u32 v1, v55, v171
	v_cvt_f32_i32_e32 v1, v1
	v_cvt_f32_i32_e32 v0, v0
	v_mul_lo_u32 v4, v230, v163
	v_mul_lo_u32 v5, v8, v163
	v_cvt_f32_i32_e32 v5, v5
	v_cvt_f32_i32_e32 v4, v4
	v_pk_fma_f32 v[2:3], v[150:151], v[206:207], 0 op_sel_hi:[0,1,0]
	v_pk_fma_f32 v[0:1], v[0:1], v[210:211], 0 op_sel_hi:[1,1,0]
	;; [unrolled: 1-line block ×3, first 2 shown]
	v_pk_fma_f32 v[0:1], v[4:5], v[198:199], v[0:1]
	v_pk_mul_f32 v[2:3], v[2:3], v[146:147]
	v_pk_add_f32 v[18:19], v[18:19], v[44:45]
	v_pk_fma_f32 v[0:1], v[0:1], v[144:145], v[2:3] neg_lo:[0,0,1] neg_hi:[0,0,1]
	s_mov_b64 s[4:5], 0
	v_pk_add_f32 v[16:17], v[16:17], v[0:1]
	s_cbranch_vccnz .LBB174_6
; %bb.7:                                ;   in Loop: Header=BB174_5 Depth=1
	v_add_u32_e32 v14, s17, v127
	v_add_u32_e32 v0, v14, v77
	;; [unrolled: 1-line block ×6, first 2 shown]
	v_mad_i64_i32 v[0:1], s[4:5], v0, 36, v[124:125]
	v_mad_i64_i32 v[2:3], s[4:5], v2, 36, v[124:125]
	;; [unrolled: 1-line block ×5, first 2 shown]
	v_add_u32_e32 v10, v14, v105
	v_add_u32_e32 v12, v14, v111
	;; [unrolled: 1-line block ×3, first 2 shown]
	s_barrier
	v_mad_i64_i32 v[10:11], s[4:5], v10, 36, v[124:125]
	v_mad_i64_i32 v[12:13], s[4:5], v12, 36, v[124:125]
	v_mad_i64_i32 v[14:15], s[4:5], v14, 36, v[124:125]
	global_load_dword v44, v[0:1], off offset:4
	s_nop 0
	global_load_dword v2, v[2:3], off offset:4
	s_nop 0
	global_load_dword v3, v[4:5], off offset:4
	s_nop 0
	global_load_dword v4, v[6:7], off offset:4
	global_load_dword v5, v[8:9], off offset:4
	s_nop 0
	global_load_dword v6, v[10:11], off offset:4
	global_load_dword v7, v[12:13], off offset:4
	;; [unrolled: 1-line block ×3, first 2 shown]
	v_add_u32_e32 v0, 4, v161
	v_mad_u64_u32 v[0:1], s[4:5], v0, 36, s[2:3]
	global_load_dword v0, v[0:1], off
	s_mov_b32 s4, 16
	s_waitcnt vmcnt(8)
	ds_write_b32 v102, v44
	s_waitcnt vmcnt(7)
	ds_write_b32 v85, v2
	s_waitcnt vmcnt(6)
	ds_write_b32 v91, v3
	s_waitcnt vmcnt(5)
	ds_write_b32 v97, v4
	s_waitcnt vmcnt(4)
	ds_write_b32 v103, v5
	s_waitcnt vmcnt(3)
	ds_write_b32 v109, v6
	s_waitcnt vmcnt(2)
	ds_write_b32 v115, v7
	s_waitcnt vmcnt(1)
	ds_write_b32 v121, v8
	s_waitcnt vmcnt(0)
	ds_write_b32 v73, v0
	s_waitcnt lgkmcnt(0)
	s_barrier
	ds_read_b32 v0, v123
	ds_read_b32 v1, v149 offset:128
	ds_read_b32 v2, v197 offset:256
	;; [unrolled: 1-line block ×3, first 2 shown]
	s_waitcnt lgkmcnt(2)
	v_cvt_f32_f16_e32 v136, v1
	v_cvt_f32_f16_e32 v132, v0
	v_cvt_f32_f16_sdwa v134, v0 dst_sel:DWORD dst_unused:UNUSED_PAD src0_sel:WORD_1
	v_cvt_f32_f16_sdwa v138, v1 dst_sel:DWORD dst_unused:UNUSED_PAD src0_sel:WORD_1
	s_waitcnt lgkmcnt(1)
	v_cvt_f32_f16_e32 v140, v2
	v_cvt_f32_f16_sdwa v142, v2 dst_sel:DWORD dst_unused:UNUSED_PAD src0_sel:WORD_1
	s_waitcnt lgkmcnt(0)
	v_cvt_f32_f16_e32 v144, v3
	v_cvt_f32_f16_sdwa v146, v3 dst_sel:DWORD dst_unused:UNUSED_PAD src0_sel:WORD_1
	v_mov_b32_e32 v133, v132
	v_mov_b32_e32 v135, v134
	;; [unrolled: 1-line block ×8, first 2 shown]
.LBB174_8:                              ;   Parent Loop BB174_5 Depth=1
                                        ; =>  This Inner Loop Header: Depth=2
	s_lshr_b32 s5, s4, 2
	s_and_b32 s17, s5, 0x3ffffffe
	s_lshl_b32 s5, s4, 1
	s_and_b32 s5, s5, 16
	v_or_b32_e32 v0, s5, v61
	v_lshlrev_b32_e32 v1, 2, v0
	v_lshrrev_b32_e32 v44, 1, v0
	s_add_i32 s17, s17, 0xa200
	s_lshl_b32 s18, s4, 3
	ds_read_b128 v[12:15], v1 offset:33280
	ds_read_b128 v[8:11], v1 offset:33296
	;; [unrolled: 1-line block ×4, first 2 shown]
	ds_read_b64 v[228:229], v44 offset:43584
	v_add3_u32 v44, s17, v248, v249
	v_add_u32_e32 v45, s18, v239
	ds_read2_b32 v[212:213], v45 offset1:1
	ds_read2_b32 v[214:215], v45 offset0:2 offset1:3
	ds_read2_b32 v[216:217], v45 offset0:4 offset1:5
	ds_read2_b32 v[218:219], v45 offset0:6 offset1:7
	ds_read_u16 v54, v44
	ds_read_u16 v44, v44 offset:8
	ds_read2_b32 v[194:195], v45 offset0:8 offset1:9
	ds_read2_b32 v[222:223], v45 offset0:10 offset1:11
	;; [unrolled: 1-line block ×4, first 2 shown]
	s_waitcnt lgkmcnt(4)
	v_cvt_f32_ubyte0_e32 v174, v44
	v_cvt_f32_ubyte1_e32 v220, v44
	v_add3_u32 v44, s17, v250, v245
	v_add_u32_e32 v45, s18, v240
	v_and_b32_e32 v253, 0xff, v54
	v_lshrrev_b16_e32 v57, 8, v54
	ds_read2_b32 v[164:165], v45 offset1:1
	ds_read2_b32 v[182:183], v45 offset0:2 offset1:3
	ds_read2_b32 v[188:189], v45 offset0:4 offset1:5
	;; [unrolled: 1-line block ×3, first 2 shown]
	ds_read_u16 v54, v44
	ds_read_u16 v44, v44 offset:8
	ds_read2_b32 v[172:173], v45 offset0:8 offset1:9
	ds_read2_b32 v[202:203], v45 offset0:10 offset1:11
	;; [unrolled: 1-line block ×4, first 2 shown]
	s_waitcnt lgkmcnt(4)
	v_cvt_f32_ubyte0_e32 v168, v44
	v_cvt_f32_ubyte1_e32 v198, v44
	v_add3_u32 v44, s17, v251, v246
	v_add_u32_e32 v45, s18, v241
	v_and_b32_e32 v199, 0xff, v54
	v_lshrrev_b16_e32 v254, 8, v54
	ds_read2_b32 v[162:163], v45 offset1:1
	ds_read2_b32 v[178:179], v45 offset0:2 offset1:3
	ds_read2_b32 v[184:185], v45 offset0:4 offset1:5
	;; [unrolled: 1-line block ×3, first 2 shown]
	ds_read_u16 v54, v44
	ds_read_u16 v44, v44 offset:8
	ds_read2_b32 v[170:171], v45 offset0:8 offset1:9
	ds_read2_b32 v[200:201], v45 offset0:10 offset1:11
	ds_read2_b32 v[204:205], v45 offset0:12 offset1:13
	ds_read2_b32 v[208:209], v45 offset0:14 offset1:15
	v_add_u32_e32 v45, s18, v242
	ds_read2_b32 v[160:161], v45 offset1:1
	ds_read2_b32 v[176:177], v45 offset0:2 offset1:3
	ds_read2_b32 v[180:181], v45 offset0:4 offset1:5
	ds_read2_b32 v[186:187], v45 offset0:6 offset1:7
	v_mov_b32_e32 v66, 0
	v_mov_b32_e32 v62, 0
	;; [unrolled: 1-line block ×3, first 2 shown]
	s_waitcnt lgkmcnt(9)
	v_and_b32_e32 v175, 0xff, v54
	v_lshrrev_b16_e32 v55, 8, v54
	v_mov_b32_e32 v54, 0
	v_dot4c_i32_i8_e32 v66, v212, v12
	v_dot4c_i32_i8_e32 v62, v164, v12
	;; [unrolled: 1-line block ×3, first 2 shown]
	s_waitcnt lgkmcnt(3)
	v_dot4c_i32_i8_e32 v54, v160, v12
	v_dot4c_i32_i8_e32 v66, v213, v13
	v_dot4c_i32_i8_e32 v62, v165, v13
	v_dot4c_i32_i8_e32 v58, v163, v13
	v_dot4c_i32_i8_e32 v54, v161, v13
	v_dot4c_i32_i8_e32 v66, v214, v14
	v_dot4c_i32_i8_e32 v62, v182, v14
	v_dot4c_i32_i8_e32 v58, v178, v14
	s_waitcnt lgkmcnt(2)
	v_dot4c_i32_i8_e32 v54, v176, v14
	v_dot4c_i32_i8_e32 v66, v215, v15
	;; [unrolled: 1-line block ×8, first 2 shown]
	v_cvt_f32_ubyte0_e32 v166, v44
	v_cvt_f32_ubyte1_e32 v196, v44
	v_add3_u32 v44, s17, v252, v247
	s_waitcnt lgkmcnt(1)
	v_dot4c_i32_i8_e32 v54, v180, v8
	v_dot4c_i32_i8_e32 v66, v217, v9
	;; [unrolled: 1-line block ×5, first 2 shown]
	ds_read_u16 v8, v44
	ds_read_u16 v9, v44 offset:8
	ds_read2_b32 v[158:159], v45 offset0:8 offset1:9
	ds_read2_b32 v[152:153], v45 offset0:10 offset1:11
	;; [unrolled: 1-line block ×4, first 2 shown]
	v_mov_b32_e32 v82, 0
	v_mov_b32_e32 v86, 0
	;; [unrolled: 1-line block ×4, first 2 shown]
	v_dot4c_i32_i8_e32 v82, v194, v4
	v_dot4c_i32_i8_e32 v86, v172, v4
	v_dot4c_i32_i8_e32 v90, v170, v4
	s_waitcnt lgkmcnt(3)
	v_dot4c_i32_i8_e32 v94, v158, v4
	v_dot4c_i32_i8_e32 v82, v195, v5
	v_dot4c_i32_i8_e32 v86, v173, v5
	v_dot4c_i32_i8_e32 v90, v171, v5
	v_dot4c_i32_i8_e32 v94, v159, v5
	v_dot4c_i32_i8_e32 v82, v222, v6
	v_dot4c_i32_i8_e32 v86, v202, v6
	v_dot4c_i32_i8_e32 v90, v200, v6
	s_waitcnt lgkmcnt(2)
	v_dot4c_i32_i8_e32 v94, v152, v6
	v_dot4c_i32_i8_e32 v82, v223, v7
	v_dot4c_i32_i8_e32 v86, v203, v7
	v_dot4c_i32_i8_e32 v90, v201, v7
	v_dot4c_i32_i8_e32 v94, v153, v7
	;; [unrolled: 9-line block ×3, first 2 shown]
	v_or_b32_e32 v0, s5, v83
	v_dot4c_i32_i8_e32 v66, v218, v10
	v_dot4c_i32_i8_e32 v82, v226, v2
	;; [unrolled: 1-line block ×7, first 2 shown]
	s_waitcnt lgkmcnt(0)
	v_dot4c_i32_i8_e32 v94, v156, v2
	v_lshlrev_b32_e32 v1, 2, v0
	v_lshrrev_b32_e32 v44, 1, v0
	v_dot4c_i32_i8_e32 v66, v219, v11
	v_dot4c_i32_i8_e32 v82, v227, v3
	v_dot4c_i32_i8_e32 v62, v193, v11
	v_dot4c_i32_i8_e32 v86, v211, v3
	v_dot4c_i32_i8_e32 v58, v191, v11
	v_dot4c_i32_i8_e32 v90, v209, v3
	v_dot4c_i32_i8_e32 v54, v187, v11
	v_and_b32_e32 v169, 0xff, v8
	v_cvt_f32_ubyte0_e32 v150, v9
	v_dot4c_i32_i8_e32 v94, v157, v3
	v_lshrrev_b16_e32 v167, 8, v8
	v_cvt_f32_ubyte1_e32 v148, v9
	ds_read_b128 v[12:15], v1 offset:33280
	ds_read_b128 v[8:11], v1 offset:33296
	;; [unrolled: 1-line block ×4, first 2 shown]
	ds_read_b64 v[44:45], v44 offset:43584
	v_mov_b32_e32 v70, 0
	s_waitcnt lgkmcnt(4)
	v_dot4c_i32_i8_e32 v70, v212, v12
	v_mov_b32_e32 v98, 0
	v_dot4c_i32_i8_e32 v70, v213, v13
	s_waitcnt lgkmcnt(2)
	v_dot4c_i32_i8_e32 v98, v194, v4
	v_dot4c_i32_i8_e32 v70, v214, v14
	;; [unrolled: 1-line block ×8, first 2 shown]
	s_waitcnt lgkmcnt(1)
	v_dot4c_i32_i8_e32 v98, v224, v0
	v_dot4c_i32_i8_e32 v70, v218, v10
	;; [unrolled: 1-line block ×6, first 2 shown]
	s_waitcnt lgkmcnt(0)
	v_cvt_f32_f16_e32 v235, v44
	v_cvt_f32_f16_sdwa v237, v44 dst_sel:DWORD dst_unused:UNUSED_PAD src0_sel:WORD_1
	v_cvt_f32_f16_sdwa v236, v228 dst_sel:DWORD dst_unused:UNUSED_PAD src0_sel:WORD_1
	v_cvt_f32_f16_e32 v231, v45
	v_cvt_f32_f16_sdwa v233, v45 dst_sel:DWORD dst_unused:UNUSED_PAD src0_sel:WORD_1
	v_mul_lo_u32 v44, v66, v253
	v_mul_lo_u32 v45, v70, v253
	v_cvt_f32_f16_e32 v234, v228
	v_cvt_f32_f16_sdwa v232, v229 dst_sel:DWORD dst_unused:UNUSED_PAD src0_sel:WORD_1
	v_cvt_f32_i32_e32 v45, v45
	v_cvt_f32_i32_e32 v44, v44
	v_mul_lo_u32 v66, v82, v57
	v_mul_lo_u32 v82, v98, v57
	v_cvt_f32_f16_e32 v230, v229
	v_cvt_f32_i32_e32 v229, v82
	v_cvt_f32_i32_e32 v228, v66
	v_pk_fma_f32 v[70:71], v[174:175], v[236:237], 0 op_sel_hi:[0,1,0]
	v_pk_fma_f32 v[44:45], v[234:235], v[44:45], 0 op_sel_hi:[1,1,0]
	;; [unrolled: 1-line block ×3, first 2 shown]
	v_pk_fma_f32 v[44:45], v[230:231], v[228:229], v[44:45]
	v_pk_mul_f32 v[70:71], v[70:71], v[134:135]
	v_mov_b32_e32 v66, 0
	v_pk_fma_f32 v[44:45], v[44:45], v[132:133], v[70:71] neg_lo:[0,0,1] neg_hi:[0,0,1]
	v_dot4c_i32_i8_e32 v66, v172, v4
	v_pk_add_f32 v[52:53], v[52:53], v[44:45]
	v_mov_b32_e32 v44, 0
	v_dot4c_i32_i8_e32 v44, v164, v12
	v_dot4c_i32_i8_e32 v44, v165, v13
	;; [unrolled: 1-line block ×15, first 2 shown]
	v_mul_lo_u32 v62, v62, v199
	v_mul_lo_u32 v44, v44, v199
	v_cvt_f32_i32_e32 v45, v44
	v_cvt_f32_i32_e32 v44, v62
	v_mul_lo_u32 v62, v86, v254
	v_mul_lo_u32 v66, v66, v254
	v_cvt_f32_i32_e32 v229, v66
	v_cvt_f32_i32_e32 v228, v62
	v_pk_fma_f32 v[70:71], v[168:169], v[236:237], 0 op_sel_hi:[0,1,0]
	v_pk_fma_f32 v[44:45], v[234:235], v[44:45], 0 op_sel_hi:[1,1,0]
	;; [unrolled: 1-line block ×3, first 2 shown]
	v_pk_fma_f32 v[44:45], v[230:231], v[228:229], v[44:45]
	v_pk_mul_f32 v[70:71], v[70:71], v[138:139]
	v_mov_b32_e32 v62, 0
	v_pk_fma_f32 v[44:45], v[44:45], v[136:137], v[70:71] neg_lo:[0,0,1] neg_hi:[0,0,1]
	v_dot4c_i32_i8_e32 v62, v170, v4
	v_pk_add_f32 v[48:49], v[48:49], v[44:45]
	v_mov_b32_e32 v44, 0
	v_dot4c_i32_i8_e32 v44, v162, v12
	v_dot4c_i32_i8_e32 v44, v163, v13
	;; [unrolled: 1-line block ×15, first 2 shown]
	v_mul_lo_u32 v58, v58, v175
	v_mul_lo_u32 v44, v44, v175
	v_cvt_f32_i32_e32 v45, v44
	v_cvt_f32_i32_e32 v44, v58
	v_mul_lo_u32 v58, v90, v55
	v_mul_lo_u32 v62, v62, v55
	v_cvt_f32_i32_e32 v229, v62
	v_cvt_f32_i32_e32 v228, v58
	v_pk_fma_f32 v[70:71], v[166:167], v[236:237], 0 op_sel_hi:[0,1,0]
	v_pk_fma_f32 v[44:45], v[234:235], v[44:45], 0 op_sel_hi:[1,1,0]
	;; [unrolled: 1-line block ×3, first 2 shown]
	v_pk_fma_f32 v[44:45], v[230:231], v[228:229], v[44:45]
	v_pk_mul_f32 v[70:71], v[70:71], v[142:143]
	v_mov_b32_e32 v58, 0
	v_pk_fma_f32 v[44:45], v[44:45], v[140:141], v[70:71] neg_lo:[0,0,1] neg_hi:[0,0,1]
	v_mov_b32_e32 v62, 0
	v_pk_add_f32 v[42:43], v[42:43], v[44:45]
	v_mov_b32_e32 v44, 0
	v_dot4c_i32_i8_e32 v44, v160, v12
	v_dot4c_i32_i8_e32 v44, v161, v13
	;; [unrolled: 1-line block ×5, first 2 shown]
	v_mov_b32_e32 v8, 0
	v_dot4c_i32_i8_e32 v8, v158, v4
	v_dot4c_i32_i8_e32 v8, v159, v5
	;; [unrolled: 1-line block ×11, first 2 shown]
	v_mul_lo_u32 v0, v54, v169
	v_mul_lo_u32 v1, v44, v169
	v_cvt_f32_i32_e32 v1, v1
	v_cvt_f32_i32_e32 v0, v0
	v_mul_lo_u32 v4, v94, v167
	v_mul_lo_u32 v5, v8, v167
	v_cvt_f32_i32_e32 v5, v5
	v_cvt_f32_i32_e32 v4, v4
	v_pk_fma_f32 v[2:3], v[150:151], v[236:237], 0 op_sel_hi:[0,1,0]
	v_pk_fma_f32 v[0:1], v[234:235], v[0:1], 0 op_sel_hi:[1,1,0]
	;; [unrolled: 1-line block ×3, first 2 shown]
	v_pk_fma_f32 v[0:1], v[230:231], v[4:5], v[0:1]
	v_pk_mul_f32 v[2:3], v[2:3], v[146:147]
	v_mov_b32_e32 v54, 0
	v_pk_fma_f32 v[0:1], v[0:1], v[144:145], v[2:3] neg_lo:[0,0,1] neg_hi:[0,0,1]
	v_mov_b32_e32 v66, 0
	v_pk_add_f32 v[40:41], v[40:41], v[0:1]
	v_or_b32_e32 v0, s5, v89
	v_lshlrev_b32_e32 v1, 2, v0
	v_lshrrev_b32_e32 v44, 1, v0
	ds_read_b128 v[12:15], v1 offset:33280
	ds_read_b128 v[8:11], v1 offset:33296
	;; [unrolled: 1-line block ×4, first 2 shown]
	ds_read_b64 v[228:229], v44 offset:43584
	v_mov_b32_e32 v82, 0
	v_mov_b32_e32 v86, 0
	;; [unrolled: 1-line block ×4, first 2 shown]
	s_waitcnt lgkmcnt(4)
	v_dot4c_i32_i8_e32 v54, v212, v12
	s_waitcnt lgkmcnt(2)
	v_dot4c_i32_i8_e32 v58, v194, v4
	v_dot4c_i32_i8_e32 v62, v164, v12
	;; [unrolled: 1-line block ×32, first 2 shown]
	s_waitcnt lgkmcnt(1)
	v_dot4c_i32_i8_e32 v58, v224, v0
	v_dot4c_i32_i8_e32 v62, v188, v8
	;; [unrolled: 1-line block ×15, first 2 shown]
	v_or_b32_e32 v0, s5, v95
	v_dot4c_i32_i8_e32 v54, v218, v10
	v_dot4c_i32_i8_e32 v58, v226, v2
	;; [unrolled: 1-line block ×8, first 2 shown]
	v_lshlrev_b32_e32 v1, 2, v0
	v_lshrrev_b32_e32 v44, 1, v0
	v_dot4c_i32_i8_e32 v54, v219, v11
	v_dot4c_i32_i8_e32 v58, v227, v3
	;; [unrolled: 1-line block ×8, first 2 shown]
	ds_read_b128 v[12:15], v1 offset:33280
	ds_read_b128 v[8:11], v1 offset:33296
	ds_read_b128 v[4:7], v1 offset:33312
	ds_read_b128 v[0:3], v1 offset:33328
	ds_read_b64 v[44:45], v44 offset:43584
	v_mov_b32_e32 v70, 0
	s_waitcnt lgkmcnt(4)
	v_dot4c_i32_i8_e32 v70, v212, v12
	v_mov_b32_e32 v98, 0
	v_dot4c_i32_i8_e32 v70, v213, v13
	s_waitcnt lgkmcnt(2)
	v_dot4c_i32_i8_e32 v98, v194, v4
	v_dot4c_i32_i8_e32 v70, v214, v14
	;; [unrolled: 1-line block ×8, first 2 shown]
	s_waitcnt lgkmcnt(1)
	v_dot4c_i32_i8_e32 v98, v224, v0
	v_dot4c_i32_i8_e32 v70, v218, v10
	;; [unrolled: 1-line block ×6, first 2 shown]
	s_waitcnt lgkmcnt(0)
	v_cvt_f32_f16_e32 v235, v44
	v_cvt_f32_f16_sdwa v237, v44 dst_sel:DWORD dst_unused:UNUSED_PAD src0_sel:WORD_1
	v_cvt_f32_f16_sdwa v236, v228 dst_sel:DWORD dst_unused:UNUSED_PAD src0_sel:WORD_1
	v_cvt_f32_f16_e32 v231, v45
	v_cvt_f32_f16_sdwa v233, v45 dst_sel:DWORD dst_unused:UNUSED_PAD src0_sel:WORD_1
	v_mul_lo_u32 v44, v54, v253
	v_mul_lo_u32 v45, v70, v253
	v_cvt_f32_f16_e32 v234, v228
	v_cvt_f32_f16_sdwa v232, v229 dst_sel:DWORD dst_unused:UNUSED_PAD src0_sel:WORD_1
	v_cvt_f32_i32_e32 v45, v45
	v_cvt_f32_i32_e32 v44, v44
	v_mul_lo_u32 v54, v58, v57
	v_mul_lo_u32 v58, v98, v57
	v_cvt_f32_f16_e32 v230, v229
	v_cvt_f32_i32_e32 v229, v58
	v_cvt_f32_i32_e32 v228, v54
	v_pk_fma_f32 v[70:71], v[174:175], v[236:237], 0 op_sel_hi:[0,1,0]
	v_pk_fma_f32 v[44:45], v[44:45], v[234:235], 0 op_sel_hi:[1,1,0]
	;; [unrolled: 1-line block ×3, first 2 shown]
	v_pk_fma_f32 v[44:45], v[228:229], v[230:231], v[44:45]
	v_pk_mul_f32 v[70:71], v[70:71], v[134:135]
	v_mov_b32_e32 v54, 0
	v_pk_fma_f32 v[44:45], v[44:45], v[132:133], v[70:71] neg_lo:[0,0,1] neg_hi:[0,0,1]
	v_dot4c_i32_i8_e32 v54, v172, v4
	v_pk_add_f32 v[38:39], v[38:39], v[44:45]
	v_mov_b32_e32 v44, 0
	v_dot4c_i32_i8_e32 v44, v164, v12
	v_dot4c_i32_i8_e32 v44, v165, v13
	v_dot4c_i32_i8_e32 v44, v182, v14
	v_dot4c_i32_i8_e32 v54, v173, v5
	v_dot4c_i32_i8_e32 v44, v183, v15
	v_dot4c_i32_i8_e32 v54, v202, v6
	v_dot4c_i32_i8_e32 v44, v188, v8
	v_dot4c_i32_i8_e32 v54, v203, v7
	v_dot4c_i32_i8_e32 v44, v189, v9
	v_dot4c_i32_i8_e32 v54, v206, v0
	v_dot4c_i32_i8_e32 v44, v192, v10
	v_dot4c_i32_i8_e32 v54, v207, v1
	v_dot4c_i32_i8_e32 v44, v193, v11
	v_dot4c_i32_i8_e32 v54, v210, v2
	v_dot4c_i32_i8_e32 v54, v211, v3
	v_mul_lo_u32 v58, v62, v199
	v_mul_lo_u32 v44, v44, v199
	v_cvt_f32_i32_e32 v45, v44
	v_cvt_f32_i32_e32 v44, v58
	v_mul_lo_u32 v58, v66, v254
	v_mul_lo_u32 v54, v54, v254
	v_cvt_f32_i32_e32 v229, v54
	v_cvt_f32_i32_e32 v228, v58
	v_pk_fma_f32 v[70:71], v[168:169], v[236:237], 0 op_sel_hi:[0,1,0]
	v_pk_fma_f32 v[44:45], v[44:45], v[234:235], 0 op_sel_hi:[1,1,0]
	;; [unrolled: 1-line block ×3, first 2 shown]
	v_pk_fma_f32 v[44:45], v[228:229], v[230:231], v[44:45]
	v_pk_mul_f32 v[70:71], v[70:71], v[138:139]
	v_mov_b32_e32 v54, 0
	v_pk_fma_f32 v[44:45], v[44:45], v[136:137], v[70:71] neg_lo:[0,0,1] neg_hi:[0,0,1]
	v_dot4c_i32_i8_e32 v54, v170, v4
	v_pk_add_f32 v[36:37], v[36:37], v[44:45]
	v_mov_b32_e32 v44, 0
	v_dot4c_i32_i8_e32 v44, v162, v12
	v_dot4c_i32_i8_e32 v44, v163, v13
	;; [unrolled: 1-line block ×15, first 2 shown]
	v_mul_lo_u32 v58, v82, v175
	v_mul_lo_u32 v44, v44, v175
	v_cvt_f32_i32_e32 v45, v44
	v_cvt_f32_i32_e32 v44, v58
	v_mul_lo_u32 v58, v86, v55
	v_mul_lo_u32 v54, v54, v55
	v_cvt_f32_i32_e32 v229, v54
	v_cvt_f32_i32_e32 v228, v58
	v_pk_fma_f32 v[70:71], v[166:167], v[236:237], 0 op_sel_hi:[0,1,0]
	v_pk_fma_f32 v[44:45], v[44:45], v[234:235], 0 op_sel_hi:[1,1,0]
	;; [unrolled: 1-line block ×3, first 2 shown]
	v_pk_fma_f32 v[44:45], v[228:229], v[230:231], v[44:45]
	v_pk_mul_f32 v[70:71], v[70:71], v[142:143]
	v_mov_b32_e32 v54, 0
	v_pk_fma_f32 v[44:45], v[44:45], v[140:141], v[70:71] neg_lo:[0,0,1] neg_hi:[0,0,1]
	v_mov_b32_e32 v58, 0
	v_pk_add_f32 v[34:35], v[34:35], v[44:45]
	v_mov_b32_e32 v44, 0
	v_dot4c_i32_i8_e32 v44, v160, v12
	v_dot4c_i32_i8_e32 v44, v161, v13
	;; [unrolled: 1-line block ×5, first 2 shown]
	v_mov_b32_e32 v8, 0
	v_dot4c_i32_i8_e32 v8, v158, v4
	v_dot4c_i32_i8_e32 v8, v159, v5
	v_dot4c_i32_i8_e32 v8, v152, v6
	v_dot4c_i32_i8_e32 v8, v153, v7
	v_dot4c_i32_i8_e32 v44, v181, v9
	v_dot4c_i32_i8_e32 v8, v154, v0
	v_dot4c_i32_i8_e32 v44, v186, v10
	v_dot4c_i32_i8_e32 v8, v155, v1
	v_dot4c_i32_i8_e32 v44, v187, v11
	v_dot4c_i32_i8_e32 v8, v156, v2
	v_dot4c_i32_i8_e32 v8, v157, v3
	v_mul_lo_u32 v0, v90, v169
	v_mul_lo_u32 v1, v44, v169
	v_cvt_f32_i32_e32 v1, v1
	v_cvt_f32_i32_e32 v0, v0
	v_mul_lo_u32 v4, v94, v167
	v_mul_lo_u32 v5, v8, v167
	v_cvt_f32_i32_e32 v5, v5
	v_cvt_f32_i32_e32 v4, v4
	v_pk_fma_f32 v[2:3], v[150:151], v[236:237], 0 op_sel_hi:[0,1,0]
	v_pk_fma_f32 v[0:1], v[0:1], v[234:235], 0 op_sel_hi:[1,1,0]
	;; [unrolled: 1-line block ×3, first 2 shown]
	v_pk_fma_f32 v[0:1], v[4:5], v[230:231], v[0:1]
	v_pk_mul_f32 v[2:3], v[2:3], v[146:147]
	v_mov_b32_e32 v62, 0
	v_pk_fma_f32 v[0:1], v[0:1], v[144:145], v[2:3] neg_lo:[0,0,1] neg_hi:[0,0,1]
	v_mov_b32_e32 v66, 0
	v_pk_add_f32 v[32:33], v[32:33], v[0:1]
	v_or_b32_e32 v0, s5, v101
	v_lshlrev_b32_e32 v1, 2, v0
	v_lshrrev_b32_e32 v44, 1, v0
	ds_read_b128 v[12:15], v1 offset:33280
	ds_read_b128 v[8:11], v1 offset:33296
	;; [unrolled: 1-line block ×4, first 2 shown]
	ds_read_b64 v[228:229], v44 offset:43584
	v_mov_b32_e32 v82, 0
	v_mov_b32_e32 v86, 0
	;; [unrolled: 1-line block ×4, first 2 shown]
	s_waitcnt lgkmcnt(4)
	v_dot4c_i32_i8_e32 v54, v212, v12
	s_waitcnt lgkmcnt(2)
	v_dot4c_i32_i8_e32 v58, v194, v4
	v_dot4c_i32_i8_e32 v62, v164, v12
	v_dot4c_i32_i8_e32 v66, v172, v4
	v_dot4c_i32_i8_e32 v82, v162, v12
	v_dot4c_i32_i8_e32 v86, v170, v4
	v_dot4c_i32_i8_e32 v90, v160, v12
	v_dot4c_i32_i8_e32 v94, v158, v4
	v_dot4c_i32_i8_e32 v54, v213, v13
	v_dot4c_i32_i8_e32 v58, v195, v5
	v_dot4c_i32_i8_e32 v62, v165, v13
	v_dot4c_i32_i8_e32 v66, v173, v5
	v_dot4c_i32_i8_e32 v82, v163, v13
	v_dot4c_i32_i8_e32 v86, v171, v5
	v_dot4c_i32_i8_e32 v90, v161, v13
	v_dot4c_i32_i8_e32 v94, v159, v5
	v_dot4c_i32_i8_e32 v54, v214, v14
	v_dot4c_i32_i8_e32 v58, v222, v6
	v_dot4c_i32_i8_e32 v62, v182, v14
	v_dot4c_i32_i8_e32 v66, v202, v6
	v_dot4c_i32_i8_e32 v82, v178, v14
	v_dot4c_i32_i8_e32 v86, v200, v6
	v_dot4c_i32_i8_e32 v90, v176, v14
	v_dot4c_i32_i8_e32 v94, v152, v6
	v_dot4c_i32_i8_e32 v54, v215, v15
	v_dot4c_i32_i8_e32 v58, v223, v7
	v_dot4c_i32_i8_e32 v62, v183, v15
	v_dot4c_i32_i8_e32 v66, v203, v7
	v_dot4c_i32_i8_e32 v82, v179, v15
	v_dot4c_i32_i8_e32 v86, v201, v7
	v_dot4c_i32_i8_e32 v90, v177, v15
	v_dot4c_i32_i8_e32 v94, v153, v7
	v_dot4c_i32_i8_e32 v54, v216, v8
	s_waitcnt lgkmcnt(1)
	v_dot4c_i32_i8_e32 v58, v224, v0
	v_dot4c_i32_i8_e32 v62, v188, v8
	;; [unrolled: 1-line block ×15, first 2 shown]
	v_or_b32_e32 v0, s5, v107
	v_dot4c_i32_i8_e32 v54, v218, v10
	v_dot4c_i32_i8_e32 v58, v226, v2
	;; [unrolled: 1-line block ×8, first 2 shown]
	v_lshlrev_b32_e32 v1, 2, v0
	v_lshrrev_b32_e32 v44, 1, v0
	v_dot4c_i32_i8_e32 v54, v219, v11
	v_dot4c_i32_i8_e32 v58, v227, v3
	;; [unrolled: 1-line block ×8, first 2 shown]
	ds_read_b128 v[12:15], v1 offset:33280
	ds_read_b128 v[8:11], v1 offset:33296
	;; [unrolled: 1-line block ×4, first 2 shown]
	ds_read_b64 v[44:45], v44 offset:43584
	v_mov_b32_e32 v70, 0
	s_waitcnt lgkmcnt(4)
	v_dot4c_i32_i8_e32 v70, v212, v12
	v_mov_b32_e32 v98, 0
	v_dot4c_i32_i8_e32 v70, v213, v13
	s_waitcnt lgkmcnt(2)
	v_dot4c_i32_i8_e32 v98, v194, v4
	v_dot4c_i32_i8_e32 v70, v214, v14
	v_dot4c_i32_i8_e32 v98, v195, v5
	v_dot4c_i32_i8_e32 v70, v215, v15
	v_dot4c_i32_i8_e32 v98, v222, v6
	v_dot4c_i32_i8_e32 v70, v216, v8
	v_dot4c_i32_i8_e32 v98, v223, v7
	v_dot4c_i32_i8_e32 v70, v217, v9
	s_waitcnt lgkmcnt(1)
	v_dot4c_i32_i8_e32 v98, v224, v0
	v_dot4c_i32_i8_e32 v70, v218, v10
	;; [unrolled: 1-line block ×6, first 2 shown]
	s_waitcnt lgkmcnt(0)
	v_cvt_f32_f16_e32 v235, v44
	v_cvt_f32_f16_sdwa v237, v44 dst_sel:DWORD dst_unused:UNUSED_PAD src0_sel:WORD_1
	v_cvt_f32_f16_sdwa v236, v228 dst_sel:DWORD dst_unused:UNUSED_PAD src0_sel:WORD_1
	v_cvt_f32_f16_e32 v231, v45
	v_cvt_f32_f16_sdwa v233, v45 dst_sel:DWORD dst_unused:UNUSED_PAD src0_sel:WORD_1
	v_mul_lo_u32 v44, v54, v253
	v_mul_lo_u32 v45, v70, v253
	v_cvt_f32_f16_e32 v234, v228
	v_cvt_f32_f16_sdwa v232, v229 dst_sel:DWORD dst_unused:UNUSED_PAD src0_sel:WORD_1
	v_cvt_f32_i32_e32 v45, v45
	v_cvt_f32_i32_e32 v44, v44
	v_mul_lo_u32 v54, v58, v57
	v_mul_lo_u32 v58, v98, v57
	v_cvt_f32_f16_e32 v230, v229
	v_cvt_f32_i32_e32 v229, v58
	v_cvt_f32_i32_e32 v228, v54
	v_pk_fma_f32 v[70:71], v[174:175], v[236:237], 0 op_sel_hi:[0,1,0]
	v_pk_fma_f32 v[44:45], v[44:45], v[234:235], 0 op_sel_hi:[1,1,0]
	;; [unrolled: 1-line block ×3, first 2 shown]
	v_pk_fma_f32 v[44:45], v[228:229], v[230:231], v[44:45]
	v_pk_mul_f32 v[70:71], v[70:71], v[134:135]
	v_mov_b32_e32 v54, 0
	v_pk_fma_f32 v[44:45], v[44:45], v[132:133], v[70:71] neg_lo:[0,0,1] neg_hi:[0,0,1]
	v_dot4c_i32_i8_e32 v54, v172, v4
	v_pk_add_f32 v[30:31], v[30:31], v[44:45]
	v_mov_b32_e32 v44, 0
	v_dot4c_i32_i8_e32 v44, v164, v12
	v_dot4c_i32_i8_e32 v44, v165, v13
	;; [unrolled: 1-line block ×15, first 2 shown]
	v_mul_lo_u32 v58, v62, v199
	v_mul_lo_u32 v44, v44, v199
	v_cvt_f32_i32_e32 v45, v44
	v_cvt_f32_i32_e32 v44, v58
	v_mul_lo_u32 v58, v66, v254
	v_mul_lo_u32 v54, v54, v254
	v_cvt_f32_i32_e32 v229, v54
	v_cvt_f32_i32_e32 v228, v58
	v_pk_fma_f32 v[70:71], v[168:169], v[236:237], 0 op_sel_hi:[0,1,0]
	v_pk_fma_f32 v[44:45], v[44:45], v[234:235], 0 op_sel_hi:[1,1,0]
	;; [unrolled: 1-line block ×3, first 2 shown]
	v_pk_fma_f32 v[44:45], v[228:229], v[230:231], v[44:45]
	v_pk_mul_f32 v[70:71], v[70:71], v[138:139]
	v_mov_b32_e32 v54, 0
	v_pk_fma_f32 v[44:45], v[44:45], v[136:137], v[70:71] neg_lo:[0,0,1] neg_hi:[0,0,1]
	v_dot4c_i32_i8_e32 v54, v170, v4
	v_pk_add_f32 v[28:29], v[28:29], v[44:45]
	v_mov_b32_e32 v44, 0
	v_dot4c_i32_i8_e32 v44, v162, v12
	v_dot4c_i32_i8_e32 v44, v163, v13
	;; [unrolled: 1-line block ×15, first 2 shown]
	v_mul_lo_u32 v58, v82, v175
	v_mul_lo_u32 v44, v44, v175
	v_cvt_f32_i32_e32 v45, v44
	v_cvt_f32_i32_e32 v44, v58
	v_mul_lo_u32 v58, v86, v55
	v_mul_lo_u32 v54, v54, v55
	v_cvt_f32_i32_e32 v229, v54
	v_cvt_f32_i32_e32 v228, v58
	v_pk_fma_f32 v[70:71], v[166:167], v[236:237], 0 op_sel_hi:[0,1,0]
	v_pk_fma_f32 v[44:45], v[44:45], v[234:235], 0 op_sel_hi:[1,1,0]
	;; [unrolled: 1-line block ×3, first 2 shown]
	v_pk_fma_f32 v[44:45], v[228:229], v[230:231], v[44:45]
	v_pk_mul_f32 v[70:71], v[70:71], v[142:143]
	v_mov_b32_e32 v54, 0
	v_pk_fma_f32 v[44:45], v[44:45], v[140:141], v[70:71] neg_lo:[0,0,1] neg_hi:[0,0,1]
	v_mov_b32_e32 v58, 0
	v_pk_add_f32 v[26:27], v[26:27], v[44:45]
	v_mov_b32_e32 v44, 0
	v_dot4c_i32_i8_e32 v44, v160, v12
	v_dot4c_i32_i8_e32 v44, v161, v13
	;; [unrolled: 1-line block ×5, first 2 shown]
	v_mov_b32_e32 v8, 0
	v_dot4c_i32_i8_e32 v8, v158, v4
	v_dot4c_i32_i8_e32 v8, v159, v5
	;; [unrolled: 1-line block ×11, first 2 shown]
	v_mul_lo_u32 v0, v90, v169
	v_mul_lo_u32 v1, v44, v169
	v_cvt_f32_i32_e32 v1, v1
	v_cvt_f32_i32_e32 v0, v0
	v_mul_lo_u32 v4, v94, v167
	v_mul_lo_u32 v5, v8, v167
	v_cvt_f32_i32_e32 v5, v5
	v_cvt_f32_i32_e32 v4, v4
	v_pk_fma_f32 v[2:3], v[150:151], v[236:237], 0 op_sel_hi:[0,1,0]
	v_pk_fma_f32 v[0:1], v[0:1], v[234:235], 0 op_sel_hi:[1,1,0]
	;; [unrolled: 1-line block ×3, first 2 shown]
	v_pk_fma_f32 v[0:1], v[4:5], v[230:231], v[0:1]
	v_pk_mul_f32 v[2:3], v[2:3], v[146:147]
	v_mov_b32_e32 v62, 0
	v_pk_fma_f32 v[0:1], v[0:1], v[144:145], v[2:3] neg_lo:[0,0,1] neg_hi:[0,0,1]
	v_mov_b32_e32 v66, 0
	v_pk_add_f32 v[24:25], v[24:25], v[0:1]
	v_or_b32_e32 v0, s5, v113
	v_lshlrev_b32_e32 v1, 2, v0
	v_lshrrev_b32_e32 v44, 1, v0
	ds_read_b128 v[12:15], v1 offset:33280
	ds_read_b128 v[8:11], v1 offset:33296
	;; [unrolled: 1-line block ×4, first 2 shown]
	ds_read_b64 v[228:229], v44 offset:43584
	v_mov_b32_e32 v82, 0
	v_mov_b32_e32 v86, 0
	;; [unrolled: 1-line block ×4, first 2 shown]
	s_waitcnt lgkmcnt(4)
	v_dot4c_i32_i8_e32 v54, v212, v12
	s_waitcnt lgkmcnt(2)
	v_dot4c_i32_i8_e32 v58, v194, v4
	v_dot4c_i32_i8_e32 v62, v164, v12
	;; [unrolled: 1-line block ×32, first 2 shown]
	s_waitcnt lgkmcnt(1)
	v_dot4c_i32_i8_e32 v58, v224, v0
	v_dot4c_i32_i8_e32 v62, v188, v8
	v_dot4c_i32_i8_e32 v66, v206, v0
	v_dot4c_i32_i8_e32 v82, v184, v8
	v_dot4c_i32_i8_e32 v86, v204, v0
	v_dot4c_i32_i8_e32 v231, v180, v8
	v_dot4c_i32_i8_e32 v230, v154, v0
	v_dot4c_i32_i8_e32 v54, v217, v9
	v_dot4c_i32_i8_e32 v58, v225, v1
	v_dot4c_i32_i8_e32 v62, v189, v9
	v_dot4c_i32_i8_e32 v66, v207, v1
	v_dot4c_i32_i8_e32 v82, v185, v9
	v_dot4c_i32_i8_e32 v86, v205, v1
	v_dot4c_i32_i8_e32 v231, v181, v9
	v_dot4c_i32_i8_e32 v230, v155, v1
	v_or_b32_e32 v0, s5, v119
	v_dot4c_i32_i8_e32 v54, v218, v10
	v_dot4c_i32_i8_e32 v58, v226, v2
	v_dot4c_i32_i8_e32 v62, v192, v10
	v_dot4c_i32_i8_e32 v66, v210, v2
	v_dot4c_i32_i8_e32 v82, v190, v10
	v_dot4c_i32_i8_e32 v86, v208, v2
	v_dot4c_i32_i8_e32 v231, v186, v10
	v_dot4c_i32_i8_e32 v230, v156, v2
	v_lshlrev_b32_e32 v1, 2, v0
	v_lshrrev_b32_e32 v44, 1, v0
	v_dot4c_i32_i8_e32 v54, v219, v11
	v_dot4c_i32_i8_e32 v58, v227, v3
	;; [unrolled: 1-line block ×8, first 2 shown]
	ds_read_b128 v[12:15], v1 offset:33280
	ds_read_b128 v[8:11], v1 offset:33296
	;; [unrolled: 1-line block ×4, first 2 shown]
	ds_read_b64 v[44:45], v44 offset:43584
	v_mov_b32_e32 v70, 0
	s_waitcnt lgkmcnt(4)
	v_dot4c_i32_i8_e32 v70, v212, v12
	v_mov_b32_e32 v90, 0
	v_dot4c_i32_i8_e32 v70, v213, v13
	s_waitcnt lgkmcnt(2)
	v_dot4c_i32_i8_e32 v90, v194, v4
	v_dot4c_i32_i8_e32 v70, v214, v14
	;; [unrolled: 1-line block ×8, first 2 shown]
	s_waitcnt lgkmcnt(1)
	v_dot4c_i32_i8_e32 v90, v224, v0
	v_dot4c_i32_i8_e32 v70, v218, v10
	;; [unrolled: 1-line block ×6, first 2 shown]
	s_waitcnt lgkmcnt(0)
	v_cvt_f32_f16_e32 v217, v44
	v_cvt_f32_f16_sdwa v215, v44 dst_sel:DWORD dst_unused:UNUSED_PAD src0_sel:WORD_1
	v_cvt_f32_f16_sdwa v214, v228 dst_sel:DWORD dst_unused:UNUSED_PAD src0_sel:WORD_1
	v_cvt_f32_f16_e32 v213, v45
	v_cvt_f32_f16_sdwa v195, v45 dst_sel:DWORD dst_unused:UNUSED_PAD src0_sel:WORD_1
	v_mul_lo_u32 v44, v54, v253
	v_mul_lo_u32 v45, v70, v253
	v_cvt_f32_f16_e32 v216, v228
	v_cvt_f32_f16_sdwa v194, v229 dst_sel:DWORD dst_unused:UNUSED_PAD src0_sel:WORD_1
	v_cvt_f32_i32_e32 v45, v45
	v_cvt_f32_i32_e32 v44, v44
	v_mul_lo_u32 v54, v58, v57
	v_mul_lo_u32 v57, v90, v57
	v_cvt_f32_f16_e32 v212, v229
	v_cvt_f32_i32_e32 v219, v57
	v_cvt_f32_i32_e32 v218, v54
	v_pk_fma_f32 v[70:71], v[174:175], v[214:215], 0 op_sel_hi:[0,1,0]
	v_pk_fma_f32 v[44:45], v[44:45], v[216:217], 0 op_sel_hi:[1,1,0]
	;; [unrolled: 1-line block ×3, first 2 shown]
	v_pk_fma_f32 v[44:45], v[218:219], v[212:213], v[44:45]
	v_pk_mul_f32 v[70:71], v[70:71], v[134:135]
	v_mov_b32_e32 v54, 0
	v_pk_fma_f32 v[44:45], v[44:45], v[132:133], v[70:71] neg_lo:[0,0,1] neg_hi:[0,0,1]
	v_dot4c_i32_i8_e32 v54, v172, v4
	v_pk_add_f32 v[22:23], v[22:23], v[44:45]
	v_mov_b32_e32 v44, 0
	v_dot4c_i32_i8_e32 v44, v164, v12
	v_dot4c_i32_i8_e32 v44, v165, v13
	;; [unrolled: 1-line block ×15, first 2 shown]
	v_mul_lo_u32 v57, v62, v199
	v_mul_lo_u32 v44, v44, v199
	v_cvt_f32_i32_e32 v45, v44
	v_cvt_f32_i32_e32 v44, v57
	v_mul_lo_u32 v57, v66, v254
	v_mul_lo_u32 v54, v54, v254
	v_cvt_f32_i32_e32 v165, v54
	v_cvt_f32_i32_e32 v164, v57
	v_pk_fma_f32 v[70:71], v[168:169], v[214:215], 0 op_sel_hi:[0,1,0]
	v_pk_fma_f32 v[44:45], v[44:45], v[216:217], 0 op_sel_hi:[1,1,0]
	;; [unrolled: 1-line block ×3, first 2 shown]
	v_pk_fma_f32 v[44:45], v[164:165], v[212:213], v[44:45]
	v_pk_mul_f32 v[70:71], v[70:71], v[138:139]
	v_mov_b32_e32 v54, 0
	v_pk_fma_f32 v[44:45], v[44:45], v[136:137], v[70:71] neg_lo:[0,0,1] neg_hi:[0,0,1]
	v_dot4c_i32_i8_e32 v54, v170, v4
	v_pk_add_f32 v[20:21], v[20:21], v[44:45]
	v_mov_b32_e32 v44, 0
	v_dot4c_i32_i8_e32 v44, v162, v12
	v_dot4c_i32_i8_e32 v44, v163, v13
	;; [unrolled: 1-line block ×15, first 2 shown]
	v_mul_lo_u32 v57, v82, v175
	v_mul_lo_u32 v44, v44, v175
	v_cvt_f32_i32_e32 v45, v44
	v_cvt_f32_i32_e32 v44, v57
	v_mul_lo_u32 v57, v86, v55
	v_mul_lo_u32 v54, v54, v55
	v_cvt_f32_i32_e32 v55, v54
	v_cvt_f32_i32_e32 v54, v57
	v_pk_fma_f32 v[44:45], v[44:45], v[216:217], 0 op_sel_hi:[1,1,0]
	v_pk_fma_f32 v[70:71], v[166:167], v[214:215], 0 op_sel_hi:[0,1,0]
	s_add_i32 s5, s4, 8
	v_pk_fma_f32 v[44:45], v[54:55], v[212:213], v[44:45]
	v_pk_fma_f32 v[54:55], v[196:197], v[194:195], v[70:71] op_sel_hi:[0,1,1]
	v_pk_mul_f32 v[54:55], v[54:55], v[142:143]
	s_cmp_lt_u32 s4, 24
	v_pk_fma_f32 v[44:45], v[44:45], v[140:141], v[54:55] neg_lo:[0,0,1] neg_hi:[0,0,1]
	v_mov_b32_e32 v55, 0
	v_dot4c_i32_i8_e32 v55, v160, v12
	v_dot4c_i32_i8_e32 v55, v161, v13
	;; [unrolled: 1-line block ×5, first 2 shown]
	v_mov_b32_e32 v8, 0
	v_dot4c_i32_i8_e32 v8, v158, v4
	v_dot4c_i32_i8_e32 v8, v159, v5
	;; [unrolled: 1-line block ×11, first 2 shown]
	v_mul_lo_u32 v0, v231, v169
	v_mul_lo_u32 v1, v55, v169
	v_cvt_f32_i32_e32 v1, v1
	v_cvt_f32_i32_e32 v0, v0
	v_mul_lo_u32 v4, v230, v167
	v_mul_lo_u32 v5, v8, v167
	v_cvt_f32_i32_e32 v5, v5
	v_cvt_f32_i32_e32 v4, v4
	v_pk_fma_f32 v[2:3], v[150:151], v[214:215], 0 op_sel_hi:[0,1,0]
	v_pk_fma_f32 v[0:1], v[0:1], v[216:217], 0 op_sel_hi:[1,1,0]
	;; [unrolled: 1-line block ×3, first 2 shown]
	v_pk_fma_f32 v[0:1], v[4:5], v[212:213], v[0:1]
	v_pk_mul_f32 v[2:3], v[2:3], v[146:147]
	v_pk_add_f32 v[18:19], v[18:19], v[44:45]
	v_pk_fma_f32 v[0:1], v[0:1], v[144:145], v[2:3] neg_lo:[0,0,1] neg_hi:[0,0,1]
	s_mov_b32 s4, s5
	v_pk_add_f32 v[16:17], v[16:17], v[0:1]
	s_cbranch_scc1 .LBB174_8
; %bb.9:                                ;   in Loop: Header=BB174_5 Depth=1
	s_add_i32 s0, s0, 1
	s_cmp_eq_u32 s0, s7
	s_barrier
	s_cbranch_scc0 .LBB174_5
; %bb.10:
	scratch_load_dword v1, off, off offset:104 ; 4-byte Folded Reload
	scratch_load_dword v2, off, off offset:108 ; 4-byte Folded Reload
.LBB174_11:
	s_waitcnt vmcnt(0)
	v_cmp_gt_u32_e32 vcc, s10, v2
	s_and_saveexec_b64 s[0:1], vcc
	s_cbranch_execz .LBB174_62
; %bb.12:
	v_add_u32_e32 v0, s6, v74
	v_mul_lo_u32 v5, v2, s14
	v_cmp_gt_u32_e32 vcc, s14, v0
	s_and_saveexec_b64 s[2:3], vcc
	s_cbranch_execz .LBB174_14
; %bb.13:
	v_bfe_u32 v2, v52, 16, 1
	s_movk_i32 s0, 0x7fff
	v_add3_u32 v2, v52, v2, s0
	v_lshrrev_b32_e32 v2, 16, v2
	v_mov_b32_e32 v3, 0x7fc0
	v_cmp_o_f32_e64 s[0:1], v52, v52
	s_nop 1
	v_cndmask_b32_e64 v4, v3, v2, s[0:1]
	v_add_u32_e32 v2, v0, v5
	v_mov_b32_e32 v3, 0
	s_waitcnt lgkmcnt(0)
	v_lshl_add_u64 v[2:3], v[2:3], 1, s[12:13]
	global_store_short v[2:3], v4, off
.LBB174_14:
	s_or_b64 exec, exec, s[2:3]
	v_add_u32_e32 v2, 32, v0
	v_cmp_gt_u32_e64 s[0:1], s14, v2
	s_and_saveexec_b64 s[4:5], s[0:1]
	s_cbranch_execz .LBB174_16
; %bb.15:
	v_bfe_u32 v3, v48, 16, 1
	s_movk_i32 s2, 0x7fff
	v_add3_u32 v3, v48, v3, s2
	v_lshrrev_b32_e32 v3, 16, v3
	v_mov_b32_e32 v4, 0x7fc0
	v_cmp_o_f32_e64 s[2:3], v48, v48
	v_add_u32_e32 v6, v2, v5
	v_mov_b32_e32 v7, 0
	v_cndmask_b32_e64 v3, v4, v3, s[2:3]
	s_waitcnt lgkmcnt(0)
	v_lshl_add_u64 v[6:7], v[6:7], 1, s[12:13]
	global_store_short v[6:7], v3, off
.LBB174_16:
	s_or_b64 exec, exec, s[4:5]
	v_add_u32_e32 v3, 64, v0
	v_cmp_gt_u32_e64 s[2:3], s14, v3
	s_and_saveexec_b64 s[6:7], s[2:3]
	s_cbranch_execz .LBB174_18
; %bb.17:
	v_bfe_u32 v4, v42, 16, 1
	s_movk_i32 s4, 0x7fff
	v_add3_u32 v4, v42, v4, s4
	v_lshrrev_b32_e32 v4, 16, v4
	v_mov_b32_e32 v6, 0x7fc0
	v_cmp_o_f32_e64 s[4:5], v42, v42
	v_mov_b32_e32 v7, 0
	s_nop 0
	v_cndmask_b32_e64 v4, v6, v4, s[4:5]
	v_add_u32_e32 v6, v3, v5
	s_waitcnt lgkmcnt(0)
	v_lshl_add_u64 v[6:7], v[6:7], 1, s[12:13]
	global_store_short v[6:7], v4, off
.LBB174_18:
	s_or_b64 exec, exec, s[6:7]
	v_add_u32_e32 v4, 0x60, v0
	v_cmp_gt_u32_e64 s[4:5], s14, v4
	s_and_saveexec_b64 s[8:9], s[4:5]
	s_cbranch_execz .LBB174_20
; %bb.19:
	v_bfe_u32 v6, v40, 16, 1
	s_movk_i32 s6, 0x7fff
	v_add3_u32 v6, v40, v6, s6
	v_lshrrev_b32_e32 v6, 16, v6
	v_mov_b32_e32 v7, 0x7fc0
	v_cmp_o_f32_e64 s[6:7], v40, v40
	s_nop 1
	v_cndmask_b32_e64 v8, v7, v6, s[6:7]
	v_add_u32_e32 v6, v4, v5
	v_mov_b32_e32 v7, 0
	s_waitcnt lgkmcnt(0)
	v_lshl_add_u64 v[6:7], v[6:7], 1, s[12:13]
	global_store_short v[6:7], v8, off
.LBB174_20:
	s_or_b64 exec, exec, s[8:9]
	v_add3_u32 v5, v1, s15, 8
	v_cmp_gt_u32_e64 s[6:7], s10, v5
	s_and_b64 exec, exec, s[6:7]
	s_cbranch_execz .LBB174_62
; %bb.21:
	v_mul_lo_u32 v5, v5, s14
	s_and_saveexec_b64 s[8:9], vcc
	s_cbranch_execnz .LBB174_63
; %bb.22:
	s_or_b64 exec, exec, s[8:9]
	s_and_saveexec_b64 s[8:9], s[0:1]
	s_cbranch_execnz .LBB174_64
.LBB174_23:
	s_or_b64 exec, exec, s[8:9]
	s_and_saveexec_b64 s[8:9], s[2:3]
	s_cbranch_execnz .LBB174_65
.LBB174_24:
	s_or_b64 exec, exec, s[8:9]
	s_and_saveexec_b64 s[8:9], s[4:5]
	s_cbranch_execz .LBB174_26
.LBB174_25:
	v_bfe_u32 v6, v41, 16, 1
	s_movk_i32 s6, 0x7fff
	v_add3_u32 v6, v41, v6, s6
	v_lshrrev_b32_e32 v6, 16, v6
	v_mov_b32_e32 v7, 0x7fc0
	v_cmp_o_f32_e64 s[6:7], v41, v41
	s_nop 1
	v_cndmask_b32_e64 v8, v7, v6, s[6:7]
	v_add_u32_e32 v6, v5, v4
	v_mov_b32_e32 v7, 0
	s_waitcnt lgkmcnt(0)
	v_lshl_add_u64 v[6:7], v[6:7], 1, s[12:13]
	global_store_short v[6:7], v8, off
.LBB174_26:
	s_or_b64 exec, exec, s[8:9]
	v_add3_u32 v5, v1, s15, 16
	v_cmp_gt_u32_e64 s[6:7], s10, v5
	s_and_b64 exec, exec, s[6:7]
	s_cbranch_execz .LBB174_62
; %bb.27:
	v_mul_lo_u32 v5, v5, s14
	s_and_saveexec_b64 s[8:9], vcc
	s_cbranch_execnz .LBB174_66
; %bb.28:
	s_or_b64 exec, exec, s[8:9]
	s_and_saveexec_b64 s[8:9], s[0:1]
	s_cbranch_execnz .LBB174_67
.LBB174_29:
	s_or_b64 exec, exec, s[8:9]
	s_and_saveexec_b64 s[8:9], s[2:3]
	s_cbranch_execnz .LBB174_68
.LBB174_30:
	s_or_b64 exec, exec, s[8:9]
	s_and_saveexec_b64 s[8:9], s[4:5]
	s_cbranch_execz .LBB174_32
.LBB174_31:
	v_bfe_u32 v6, v32, 16, 1
	s_movk_i32 s6, 0x7fff
	v_add3_u32 v6, v32, v6, s6
	v_lshrrev_b32_e32 v6, 16, v6
	v_mov_b32_e32 v7, 0x7fc0
	v_cmp_o_f32_e64 s[6:7], v32, v32
	s_nop 1
	v_cndmask_b32_e64 v8, v7, v6, s[6:7]
	v_add_u32_e32 v6, v5, v4
	v_mov_b32_e32 v7, 0
	s_waitcnt lgkmcnt(0)
	v_lshl_add_u64 v[6:7], v[6:7], 1, s[12:13]
	global_store_short v[6:7], v8, off
.LBB174_32:
	s_or_b64 exec, exec, s[8:9]
	v_add3_u32 v5, v1, s15, 24
	v_cmp_gt_u32_e64 s[6:7], s10, v5
	s_and_b64 exec, exec, s[6:7]
	s_cbranch_execz .LBB174_62
; %bb.33:
	v_mul_lo_u32 v5, v5, s14
	s_and_saveexec_b64 s[8:9], vcc
	s_cbranch_execnz .LBB174_69
; %bb.34:
	s_or_b64 exec, exec, s[8:9]
	s_and_saveexec_b64 s[8:9], s[0:1]
	s_cbranch_execnz .LBB174_70
.LBB174_35:
	s_or_b64 exec, exec, s[8:9]
	s_and_saveexec_b64 s[8:9], s[2:3]
	s_cbranch_execnz .LBB174_71
.LBB174_36:
	s_or_b64 exec, exec, s[8:9]
	s_and_saveexec_b64 s[8:9], s[4:5]
	s_cbranch_execz .LBB174_38
.LBB174_37:
	v_bfe_u32 v6, v33, 16, 1
	s_movk_i32 s6, 0x7fff
	v_add3_u32 v6, v33, v6, s6
	v_lshrrev_b32_e32 v6, 16, v6
	v_mov_b32_e32 v7, 0x7fc0
	v_cmp_o_f32_e64 s[6:7], v33, v33
	s_nop 1
	v_cndmask_b32_e64 v8, v7, v6, s[6:7]
	v_add_u32_e32 v6, v5, v4
	v_mov_b32_e32 v7, 0
	s_waitcnt lgkmcnt(0)
	v_lshl_add_u64 v[6:7], v[6:7], 1, s[12:13]
	global_store_short v[6:7], v8, off
.LBB174_38:
	s_or_b64 exec, exec, s[8:9]
	v_add3_u32 v5, v1, s15, 32
	v_cmp_gt_u32_e64 s[6:7], s10, v5
	s_and_b64 exec, exec, s[6:7]
	s_cbranch_execz .LBB174_62
; %bb.39:
	v_mul_lo_u32 v5, v5, s14
	s_and_saveexec_b64 s[8:9], vcc
	s_cbranch_execnz .LBB174_72
; %bb.40:
	s_or_b64 exec, exec, s[8:9]
	s_and_saveexec_b64 s[8:9], s[0:1]
	s_cbranch_execnz .LBB174_73
.LBB174_41:
	s_or_b64 exec, exec, s[8:9]
	s_and_saveexec_b64 s[8:9], s[2:3]
	s_cbranch_execnz .LBB174_74
.LBB174_42:
	s_or_b64 exec, exec, s[8:9]
	s_and_saveexec_b64 s[8:9], s[4:5]
	s_cbranch_execz .LBB174_44
.LBB174_43:
	v_bfe_u32 v6, v24, 16, 1
	s_movk_i32 s6, 0x7fff
	v_add3_u32 v6, v24, v6, s6
	v_lshrrev_b32_e32 v6, 16, v6
	v_mov_b32_e32 v7, 0x7fc0
	v_cmp_o_f32_e64 s[6:7], v24, v24
	s_nop 1
	v_cndmask_b32_e64 v8, v7, v6, s[6:7]
	v_add_u32_e32 v6, v5, v4
	v_mov_b32_e32 v7, 0
	s_waitcnt lgkmcnt(0)
	v_lshl_add_u64 v[6:7], v[6:7], 1, s[12:13]
	global_store_short v[6:7], v8, off
.LBB174_44:
	s_or_b64 exec, exec, s[8:9]
	v_add3_u32 v5, v1, s15, 40
	v_cmp_gt_u32_e64 s[6:7], s10, v5
	s_and_b64 exec, exec, s[6:7]
	s_cbranch_execz .LBB174_62
; %bb.45:
	v_mul_lo_u32 v5, v5, s14
	s_and_saveexec_b64 s[8:9], vcc
	s_cbranch_execnz .LBB174_75
; %bb.46:
	s_or_b64 exec, exec, s[8:9]
	s_and_saveexec_b64 s[8:9], s[0:1]
	s_cbranch_execnz .LBB174_76
.LBB174_47:
	s_or_b64 exec, exec, s[8:9]
	s_and_saveexec_b64 s[8:9], s[2:3]
	s_cbranch_execnz .LBB174_77
.LBB174_48:
	s_or_b64 exec, exec, s[8:9]
	s_and_saveexec_b64 s[8:9], s[4:5]
	s_cbranch_execz .LBB174_50
.LBB174_49:
	v_bfe_u32 v6, v25, 16, 1
	s_movk_i32 s6, 0x7fff
	v_add3_u32 v6, v25, v6, s6
	v_lshrrev_b32_e32 v6, 16, v6
	v_mov_b32_e32 v7, 0x7fc0
	v_cmp_o_f32_e64 s[6:7], v25, v25
	s_nop 1
	v_cndmask_b32_e64 v8, v7, v6, s[6:7]
	v_add_u32_e32 v6, v5, v4
	v_mov_b32_e32 v7, 0
	s_waitcnt lgkmcnt(0)
	v_lshl_add_u64 v[6:7], v[6:7], 1, s[12:13]
	global_store_short v[6:7], v8, off
.LBB174_50:
	s_or_b64 exec, exec, s[8:9]
	v_add3_u32 v5, v1, s15, 48
	v_cmp_gt_u32_e64 s[6:7], s10, v5
	s_and_b64 exec, exec, s[6:7]
	s_cbranch_execz .LBB174_62
; %bb.51:
	v_mul_lo_u32 v5, v5, s14
	s_and_saveexec_b64 s[8:9], vcc
	s_cbranch_execnz .LBB174_78
; %bb.52:
	s_or_b64 exec, exec, s[8:9]
	s_and_saveexec_b64 s[8:9], s[0:1]
	s_cbranch_execnz .LBB174_79
.LBB174_53:
	s_or_b64 exec, exec, s[8:9]
	s_and_saveexec_b64 s[8:9], s[2:3]
	s_cbranch_execnz .LBB174_80
.LBB174_54:
	s_or_b64 exec, exec, s[8:9]
	s_and_saveexec_b64 s[8:9], s[4:5]
	s_cbranch_execz .LBB174_56
.LBB174_55:
	v_bfe_u32 v6, v16, 16, 1
	s_movk_i32 s6, 0x7fff
	v_add3_u32 v6, v16, v6, s6
	v_lshrrev_b32_e32 v6, 16, v6
	v_mov_b32_e32 v7, 0x7fc0
	v_cmp_o_f32_e64 s[6:7], v16, v16
	s_nop 1
	v_cndmask_b32_e64 v8, v7, v6, s[6:7]
	v_add_u32_e32 v6, v5, v4
	v_mov_b32_e32 v7, 0
	s_waitcnt lgkmcnt(0)
	v_lshl_add_u64 v[6:7], v[6:7], 1, s[12:13]
	global_store_short v[6:7], v8, off
.LBB174_56:
	s_or_b64 exec, exec, s[8:9]
	v_add3_u32 v1, v1, s15, 56
	v_cmp_gt_u32_e64 s[6:7], s10, v1
	s_and_b64 exec, exec, s[6:7]
	s_cbranch_execz .LBB174_62
; %bb.57:
	v_mul_lo_u32 v1, v1, s14
	s_and_saveexec_b64 s[6:7], vcc
	s_cbranch_execnz .LBB174_81
; %bb.58:
	s_or_b64 exec, exec, s[6:7]
	s_and_saveexec_b64 s[6:7], s[0:1]
	s_cbranch_execnz .LBB174_82
.LBB174_59:
	s_or_b64 exec, exec, s[6:7]
	s_and_saveexec_b64 s[0:1], s[2:3]
	s_cbranch_execnz .LBB174_83
.LBB174_60:
	s_or_b64 exec, exec, s[0:1]
	s_and_b64 exec, exec, s[4:5]
	s_cbranch_execz .LBB174_62
.LBB174_61:
	v_bfe_u32 v0, v17, 16, 1
	s_movk_i32 s0, 0x7fff
	v_add3_u32 v0, v17, v0, s0
	v_lshrrev_b32_e32 v0, 16, v0
	v_mov_b32_e32 v2, 0x7fc0
	v_cmp_o_f32_e32 vcc, v17, v17
	s_nop 1
	v_cndmask_b32_e32 v2, v2, v0, vcc
	v_add_u32_e32 v0, v1, v4
	v_mov_b32_e32 v1, 0
	s_waitcnt lgkmcnt(0)
	v_lshl_add_u64 v[0:1], v[0:1], 1, s[12:13]
	global_store_short v[0:1], v2, off
.LBB174_62:
	s_endpgm
.LBB174_63:
	v_bfe_u32 v6, v53, 16, 1
	s_movk_i32 s6, 0x7fff
	v_add3_u32 v6, v53, v6, s6
	v_lshrrev_b32_e32 v6, 16, v6
	v_mov_b32_e32 v7, 0x7fc0
	v_cmp_o_f32_e64 s[6:7], v53, v53
	s_nop 1
	v_cndmask_b32_e64 v8, v7, v6, s[6:7]
	v_add_u32_e32 v6, v5, v0
	v_mov_b32_e32 v7, 0
	s_waitcnt lgkmcnt(0)
	v_lshl_add_u64 v[6:7], v[6:7], 1, s[12:13]
	global_store_short v[6:7], v8, off
	s_or_b64 exec, exec, s[8:9]
	s_and_saveexec_b64 s[8:9], s[0:1]
	s_cbranch_execz .LBB174_23
.LBB174_64:
	v_bfe_u32 v6, v49, 16, 1
	s_movk_i32 s6, 0x7fff
	v_add3_u32 v6, v49, v6, s6
	v_lshrrev_b32_e32 v6, 16, v6
	v_mov_b32_e32 v7, 0x7fc0
	v_cmp_o_f32_e64 s[6:7], v49, v49
	s_nop 1
	v_cndmask_b32_e64 v8, v7, v6, s[6:7]
	v_add_u32_e32 v6, v5, v2
	v_mov_b32_e32 v7, 0
	s_waitcnt lgkmcnt(0)
	v_lshl_add_u64 v[6:7], v[6:7], 1, s[12:13]
	global_store_short v[6:7], v8, off
	s_or_b64 exec, exec, s[8:9]
	s_and_saveexec_b64 s[8:9], s[2:3]
	s_cbranch_execz .LBB174_24
.LBB174_65:
	v_bfe_u32 v6, v43, 16, 1
	s_movk_i32 s6, 0x7fff
	v_add3_u32 v6, v43, v6, s6
	v_lshrrev_b32_e32 v6, 16, v6
	v_mov_b32_e32 v7, 0x7fc0
	v_cmp_o_f32_e64 s[6:7], v43, v43
	s_nop 1
	v_cndmask_b32_e64 v8, v7, v6, s[6:7]
	v_add_u32_e32 v6, v5, v3
	v_mov_b32_e32 v7, 0
	s_waitcnt lgkmcnt(0)
	v_lshl_add_u64 v[6:7], v[6:7], 1, s[12:13]
	global_store_short v[6:7], v8, off
	s_or_b64 exec, exec, s[8:9]
	s_and_saveexec_b64 s[8:9], s[4:5]
	s_cbranch_execnz .LBB174_25
	s_branch .LBB174_26
.LBB174_66:
	v_bfe_u32 v6, v38, 16, 1
	s_movk_i32 s6, 0x7fff
	v_add3_u32 v6, v38, v6, s6
	v_lshrrev_b32_e32 v6, 16, v6
	v_mov_b32_e32 v7, 0x7fc0
	v_cmp_o_f32_e64 s[6:7], v38, v38
	s_nop 1
	v_cndmask_b32_e64 v8, v7, v6, s[6:7]
	v_add_u32_e32 v6, v5, v0
	v_mov_b32_e32 v7, 0
	s_waitcnt lgkmcnt(0)
	v_lshl_add_u64 v[6:7], v[6:7], 1, s[12:13]
	global_store_short v[6:7], v8, off
	s_or_b64 exec, exec, s[8:9]
	s_and_saveexec_b64 s[8:9], s[0:1]
	s_cbranch_execz .LBB174_29
.LBB174_67:
	v_bfe_u32 v6, v36, 16, 1
	s_movk_i32 s6, 0x7fff
	v_add3_u32 v6, v36, v6, s6
	v_lshrrev_b32_e32 v6, 16, v6
	v_mov_b32_e32 v7, 0x7fc0
	v_cmp_o_f32_e64 s[6:7], v36, v36
	s_nop 1
	v_cndmask_b32_e64 v8, v7, v6, s[6:7]
	v_add_u32_e32 v6, v5, v2
	v_mov_b32_e32 v7, 0
	s_waitcnt lgkmcnt(0)
	v_lshl_add_u64 v[6:7], v[6:7], 1, s[12:13]
	global_store_short v[6:7], v8, off
	s_or_b64 exec, exec, s[8:9]
	s_and_saveexec_b64 s[8:9], s[2:3]
	s_cbranch_execz .LBB174_30
.LBB174_68:
	v_bfe_u32 v6, v34, 16, 1
	s_movk_i32 s6, 0x7fff
	v_add3_u32 v6, v34, v6, s6
	v_lshrrev_b32_e32 v6, 16, v6
	v_mov_b32_e32 v7, 0x7fc0
	v_cmp_o_f32_e64 s[6:7], v34, v34
	s_nop 1
	v_cndmask_b32_e64 v8, v7, v6, s[6:7]
	v_add_u32_e32 v6, v5, v3
	v_mov_b32_e32 v7, 0
	s_waitcnt lgkmcnt(0)
	v_lshl_add_u64 v[6:7], v[6:7], 1, s[12:13]
	global_store_short v[6:7], v8, off
	s_or_b64 exec, exec, s[8:9]
	s_and_saveexec_b64 s[8:9], s[4:5]
	s_cbranch_execnz .LBB174_31
	s_branch .LBB174_32
.LBB174_69:
	v_bfe_u32 v6, v39, 16, 1
	s_movk_i32 s6, 0x7fff
	v_add3_u32 v6, v39, v6, s6
	v_lshrrev_b32_e32 v6, 16, v6
	v_mov_b32_e32 v7, 0x7fc0
	v_cmp_o_f32_e64 s[6:7], v39, v39
	s_nop 1
	v_cndmask_b32_e64 v8, v7, v6, s[6:7]
	v_add_u32_e32 v6, v5, v0
	v_mov_b32_e32 v7, 0
	s_waitcnt lgkmcnt(0)
	v_lshl_add_u64 v[6:7], v[6:7], 1, s[12:13]
	global_store_short v[6:7], v8, off
	s_or_b64 exec, exec, s[8:9]
	s_and_saveexec_b64 s[8:9], s[0:1]
	s_cbranch_execz .LBB174_35
.LBB174_70:
	v_bfe_u32 v6, v37, 16, 1
	s_movk_i32 s6, 0x7fff
	v_add3_u32 v6, v37, v6, s6
	v_lshrrev_b32_e32 v6, 16, v6
	v_mov_b32_e32 v7, 0x7fc0
	v_cmp_o_f32_e64 s[6:7], v37, v37
	s_nop 1
	v_cndmask_b32_e64 v8, v7, v6, s[6:7]
	v_add_u32_e32 v6, v5, v2
	v_mov_b32_e32 v7, 0
	s_waitcnt lgkmcnt(0)
	v_lshl_add_u64 v[6:7], v[6:7], 1, s[12:13]
	global_store_short v[6:7], v8, off
	s_or_b64 exec, exec, s[8:9]
	s_and_saveexec_b64 s[8:9], s[2:3]
	s_cbranch_execz .LBB174_36
.LBB174_71:
	v_bfe_u32 v6, v35, 16, 1
	s_movk_i32 s6, 0x7fff
	v_add3_u32 v6, v35, v6, s6
	v_lshrrev_b32_e32 v6, 16, v6
	v_mov_b32_e32 v7, 0x7fc0
	v_cmp_o_f32_e64 s[6:7], v35, v35
	s_nop 1
	v_cndmask_b32_e64 v8, v7, v6, s[6:7]
	v_add_u32_e32 v6, v5, v3
	v_mov_b32_e32 v7, 0
	s_waitcnt lgkmcnt(0)
	v_lshl_add_u64 v[6:7], v[6:7], 1, s[12:13]
	global_store_short v[6:7], v8, off
	s_or_b64 exec, exec, s[8:9]
	s_and_saveexec_b64 s[8:9], s[4:5]
	s_cbranch_execnz .LBB174_37
	s_branch .LBB174_38
.LBB174_72:
	v_bfe_u32 v6, v30, 16, 1
	s_movk_i32 s6, 0x7fff
	v_add3_u32 v6, v30, v6, s6
	v_lshrrev_b32_e32 v6, 16, v6
	v_mov_b32_e32 v7, 0x7fc0
	v_cmp_o_f32_e64 s[6:7], v30, v30
	s_nop 1
	v_cndmask_b32_e64 v8, v7, v6, s[6:7]
	v_add_u32_e32 v6, v5, v0
	v_mov_b32_e32 v7, 0
	s_waitcnt lgkmcnt(0)
	v_lshl_add_u64 v[6:7], v[6:7], 1, s[12:13]
	global_store_short v[6:7], v8, off
	s_or_b64 exec, exec, s[8:9]
	s_and_saveexec_b64 s[8:9], s[0:1]
	s_cbranch_execz .LBB174_41
.LBB174_73:
	v_bfe_u32 v6, v28, 16, 1
	s_movk_i32 s6, 0x7fff
	v_add3_u32 v6, v28, v6, s6
	v_lshrrev_b32_e32 v6, 16, v6
	v_mov_b32_e32 v7, 0x7fc0
	v_cmp_o_f32_e64 s[6:7], v28, v28
	s_nop 1
	v_cndmask_b32_e64 v8, v7, v6, s[6:7]
	v_add_u32_e32 v6, v5, v2
	v_mov_b32_e32 v7, 0
	s_waitcnt lgkmcnt(0)
	v_lshl_add_u64 v[6:7], v[6:7], 1, s[12:13]
	global_store_short v[6:7], v8, off
	s_or_b64 exec, exec, s[8:9]
	s_and_saveexec_b64 s[8:9], s[2:3]
	s_cbranch_execz .LBB174_42
.LBB174_74:
	v_bfe_u32 v6, v26, 16, 1
	s_movk_i32 s6, 0x7fff
	v_add3_u32 v6, v26, v6, s6
	v_lshrrev_b32_e32 v6, 16, v6
	v_mov_b32_e32 v7, 0x7fc0
	v_cmp_o_f32_e64 s[6:7], v26, v26
	s_nop 1
	v_cndmask_b32_e64 v8, v7, v6, s[6:7]
	v_add_u32_e32 v6, v5, v3
	v_mov_b32_e32 v7, 0
	s_waitcnt lgkmcnt(0)
	v_lshl_add_u64 v[6:7], v[6:7], 1, s[12:13]
	global_store_short v[6:7], v8, off
	s_or_b64 exec, exec, s[8:9]
	s_and_saveexec_b64 s[8:9], s[4:5]
	s_cbranch_execnz .LBB174_43
	s_branch .LBB174_44
.LBB174_75:
	v_bfe_u32 v6, v31, 16, 1
	s_movk_i32 s6, 0x7fff
	v_add3_u32 v6, v31, v6, s6
	v_lshrrev_b32_e32 v6, 16, v6
	v_mov_b32_e32 v7, 0x7fc0
	v_cmp_o_f32_e64 s[6:7], v31, v31
	s_nop 1
	v_cndmask_b32_e64 v8, v7, v6, s[6:7]
	v_add_u32_e32 v6, v5, v0
	v_mov_b32_e32 v7, 0
	s_waitcnt lgkmcnt(0)
	v_lshl_add_u64 v[6:7], v[6:7], 1, s[12:13]
	global_store_short v[6:7], v8, off
	s_or_b64 exec, exec, s[8:9]
	s_and_saveexec_b64 s[8:9], s[0:1]
	s_cbranch_execz .LBB174_47
.LBB174_76:
	v_bfe_u32 v6, v29, 16, 1
	s_movk_i32 s6, 0x7fff
	v_add3_u32 v6, v29, v6, s6
	v_lshrrev_b32_e32 v6, 16, v6
	v_mov_b32_e32 v7, 0x7fc0
	v_cmp_o_f32_e64 s[6:7], v29, v29
	s_nop 1
	v_cndmask_b32_e64 v8, v7, v6, s[6:7]
	v_add_u32_e32 v6, v5, v2
	v_mov_b32_e32 v7, 0
	s_waitcnt lgkmcnt(0)
	v_lshl_add_u64 v[6:7], v[6:7], 1, s[12:13]
	global_store_short v[6:7], v8, off
	s_or_b64 exec, exec, s[8:9]
	s_and_saveexec_b64 s[8:9], s[2:3]
	s_cbranch_execz .LBB174_48
.LBB174_77:
	v_bfe_u32 v6, v27, 16, 1
	s_movk_i32 s6, 0x7fff
	v_add3_u32 v6, v27, v6, s6
	v_lshrrev_b32_e32 v6, 16, v6
	v_mov_b32_e32 v7, 0x7fc0
	v_cmp_o_f32_e64 s[6:7], v27, v27
	s_nop 1
	v_cndmask_b32_e64 v8, v7, v6, s[6:7]
	v_add_u32_e32 v6, v5, v3
	v_mov_b32_e32 v7, 0
	s_waitcnt lgkmcnt(0)
	v_lshl_add_u64 v[6:7], v[6:7], 1, s[12:13]
	global_store_short v[6:7], v8, off
	s_or_b64 exec, exec, s[8:9]
	s_and_saveexec_b64 s[8:9], s[4:5]
	s_cbranch_execnz .LBB174_49
	s_branch .LBB174_50
.LBB174_78:
	v_bfe_u32 v6, v22, 16, 1
	s_movk_i32 s6, 0x7fff
	v_add3_u32 v6, v22, v6, s6
	v_lshrrev_b32_e32 v6, 16, v6
	v_mov_b32_e32 v7, 0x7fc0
	v_cmp_o_f32_e64 s[6:7], v22, v22
	s_nop 1
	v_cndmask_b32_e64 v8, v7, v6, s[6:7]
	v_add_u32_e32 v6, v5, v0
	v_mov_b32_e32 v7, 0
	s_waitcnt lgkmcnt(0)
	v_lshl_add_u64 v[6:7], v[6:7], 1, s[12:13]
	global_store_short v[6:7], v8, off
	s_or_b64 exec, exec, s[8:9]
	s_and_saveexec_b64 s[8:9], s[0:1]
	s_cbranch_execz .LBB174_53
.LBB174_79:
	v_bfe_u32 v6, v20, 16, 1
	s_movk_i32 s6, 0x7fff
	v_add3_u32 v6, v20, v6, s6
	v_lshrrev_b32_e32 v6, 16, v6
	v_mov_b32_e32 v7, 0x7fc0
	v_cmp_o_f32_e64 s[6:7], v20, v20
	s_nop 1
	v_cndmask_b32_e64 v8, v7, v6, s[6:7]
	v_add_u32_e32 v6, v5, v2
	v_mov_b32_e32 v7, 0
	s_waitcnt lgkmcnt(0)
	v_lshl_add_u64 v[6:7], v[6:7], 1, s[12:13]
	global_store_short v[6:7], v8, off
	s_or_b64 exec, exec, s[8:9]
	s_and_saveexec_b64 s[8:9], s[2:3]
	s_cbranch_execz .LBB174_54
.LBB174_80:
	v_bfe_u32 v6, v18, 16, 1
	s_movk_i32 s6, 0x7fff
	v_add3_u32 v6, v18, v6, s6
	v_lshrrev_b32_e32 v6, 16, v6
	v_mov_b32_e32 v7, 0x7fc0
	v_cmp_o_f32_e64 s[6:7], v18, v18
	s_nop 1
	v_cndmask_b32_e64 v8, v7, v6, s[6:7]
	v_add_u32_e32 v6, v5, v3
	v_mov_b32_e32 v7, 0
	s_waitcnt lgkmcnt(0)
	v_lshl_add_u64 v[6:7], v[6:7], 1, s[12:13]
	global_store_short v[6:7], v8, off
	s_or_b64 exec, exec, s[8:9]
	s_and_saveexec_b64 s[8:9], s[4:5]
	s_cbranch_execnz .LBB174_55
	s_branch .LBB174_56
.LBB174_81:
	v_bfe_u32 v5, v23, 16, 1
	s_movk_i32 s8, 0x7fff
	v_add3_u32 v5, v23, v5, s8
	v_lshrrev_b32_e32 v5, 16, v5
	v_mov_b32_e32 v6, 0x7fc0
	v_cmp_o_f32_e32 vcc, v23, v23
	v_mov_b32_e32 v7, 0
	s_nop 0
	v_cndmask_b32_e32 v5, v6, v5, vcc
	v_add_u32_e32 v6, v1, v0
	s_waitcnt lgkmcnt(0)
	v_lshl_add_u64 v[6:7], v[6:7], 1, s[12:13]
	global_store_short v[6:7], v5, off
	s_or_b64 exec, exec, s[6:7]
	s_and_saveexec_b64 s[6:7], s[0:1]
	s_cbranch_execz .LBB174_59
.LBB174_82:
	v_bfe_u32 v0, v21, 16, 1
	s_movk_i32 s0, 0x7fff
	v_add3_u32 v0, v21, v0, s0
	v_lshrrev_b32_e32 v0, 16, v0
	v_mov_b32_e32 v5, 0x7fc0
	v_cmp_o_f32_e32 vcc, v21, v21
	v_add_u32_e32 v6, v1, v2
	v_mov_b32_e32 v7, 0
	v_cndmask_b32_e32 v0, v5, v0, vcc
	s_waitcnt lgkmcnt(0)
	v_lshl_add_u64 v[6:7], v[6:7], 1, s[12:13]
	global_store_short v[6:7], v0, off
	s_or_b64 exec, exec, s[6:7]
	s_and_saveexec_b64 s[0:1], s[2:3]
	s_cbranch_execz .LBB174_60
.LBB174_83:
	v_bfe_u32 v0, v19, 16, 1
	s_movk_i32 s2, 0x7fff
	v_add3_u32 v0, v19, v0, s2
	v_lshrrev_b32_e32 v0, 16, v0
	v_mov_b32_e32 v2, 0x7fc0
	v_cmp_o_f32_e32 vcc, v19, v19
	s_nop 1
	v_cndmask_b32_e32 v0, v2, v0, vcc
	v_add_u32_e32 v2, v1, v3
	v_mov_b32_e32 v3, 0
	s_waitcnt lgkmcnt(0)
	v_lshl_add_u64 v[2:3], v[2:3], 1, s[12:13]
	global_store_short v[2:3], v0, off
	s_or_b64 exec, exec, s[0:1]
	s_and_b64 exec, exec, s[4:5]
	s_cbranch_execnz .LBB174_61
	s_branch .LBB174_62
	.section	.rodata,"a",@progbits
	.p2align	6, 0x0
	.amdhsa_kernel _ZL12mul_mat_q5_KIN3c108BFloat16ELb1EEvPKvS3_PT_iiiii
		.amdhsa_group_segment_fixed_size 45136
		.amdhsa_private_segment_fixed_size 116
		.amdhsa_kernarg_size 44
		.amdhsa_user_sgpr_count 2
		.amdhsa_user_sgpr_dispatch_ptr 0
		.amdhsa_user_sgpr_queue_ptr 0
		.amdhsa_user_sgpr_kernarg_segment_ptr 1
		.amdhsa_user_sgpr_dispatch_id 0
		.amdhsa_user_sgpr_kernarg_preload_length 0
		.amdhsa_user_sgpr_kernarg_preload_offset 0
		.amdhsa_user_sgpr_private_segment_size 0
		.amdhsa_uses_dynamic_stack 0
		.amdhsa_enable_private_segment 1
		.amdhsa_system_sgpr_workgroup_id_x 1
		.amdhsa_system_sgpr_workgroup_id_y 1
		.amdhsa_system_sgpr_workgroup_id_z 0
		.amdhsa_system_sgpr_workgroup_info 0
		.amdhsa_system_vgpr_workitem_id 1
		.amdhsa_next_free_vgpr 256
		.amdhsa_next_free_sgpr 21
		.amdhsa_accum_offset 256
		.amdhsa_reserve_vcc 1
		.amdhsa_float_round_mode_32 0
		.amdhsa_float_round_mode_16_64 0
		.amdhsa_float_denorm_mode_32 3
		.amdhsa_float_denorm_mode_16_64 3
		.amdhsa_dx10_clamp 1
		.amdhsa_ieee_mode 1
		.amdhsa_fp16_overflow 0
		.amdhsa_tg_split 0
		.amdhsa_exception_fp_ieee_invalid_op 0
		.amdhsa_exception_fp_denorm_src 0
		.amdhsa_exception_fp_ieee_div_zero 0
		.amdhsa_exception_fp_ieee_overflow 0
		.amdhsa_exception_fp_ieee_underflow 0
		.amdhsa_exception_fp_ieee_inexact 0
		.amdhsa_exception_int_div_zero 0
	.end_amdhsa_kernel
	.section	.text._ZL12mul_mat_q5_KIN3c108BFloat16ELb1EEvPKvS3_PT_iiiii,"axG",@progbits,_ZL12mul_mat_q5_KIN3c108BFloat16ELb1EEvPKvS3_PT_iiiii,comdat
.Lfunc_end174:
	.size	_ZL12mul_mat_q5_KIN3c108BFloat16ELb1EEvPKvS3_PT_iiiii, .Lfunc_end174-_ZL12mul_mat_q5_KIN3c108BFloat16ELb1EEvPKvS3_PT_iiiii
                                        ; -- End function
	.section	.AMDGPU.csdata,"",@progbits
; Kernel info:
; codeLenInByte = 18808
; NumSgprs: 27
; NumVgprs: 256
; NumAgprs: 0
; TotalNumVgprs: 256
; ScratchSize: 116
; MemoryBound: 0
; FloatMode: 240
; IeeeMode: 1
; LDSByteSize: 45136 bytes/workgroup (compile time only)
; SGPRBlocks: 3
; VGPRBlocks: 31
; NumSGPRsForWavesPerEU: 27
; NumVGPRsForWavesPerEU: 256
; AccumOffset: 256
; Occupancy: 1
; WaveLimiterHint : 0
; COMPUTE_PGM_RSRC2:SCRATCH_EN: 1
; COMPUTE_PGM_RSRC2:USER_SGPR: 2
; COMPUTE_PGM_RSRC2:TRAP_HANDLER: 0
; COMPUTE_PGM_RSRC2:TGID_X_EN: 1
; COMPUTE_PGM_RSRC2:TGID_Y_EN: 1
; COMPUTE_PGM_RSRC2:TGID_Z_EN: 0
; COMPUTE_PGM_RSRC2:TIDIG_COMP_CNT: 1
; COMPUTE_PGM_RSRC3_GFX90A:ACCUM_OFFSET: 63
; COMPUTE_PGM_RSRC3_GFX90A:TG_SPLIT: 0
	.section	.text._ZL12mul_mat_q6_KIN3c108BFloat16ELb0EEvPKvS3_PT_iiiii,"axG",@progbits,_ZL12mul_mat_q6_KIN3c108BFloat16ELb0EEvPKvS3_PT_iiiii,comdat
	.globl	_ZL12mul_mat_q6_KIN3c108BFloat16ELb0EEvPKvS3_PT_iiiii ; -- Begin function _ZL12mul_mat_q6_KIN3c108BFloat16ELb0EEvPKvS3_PT_iiiii
	.p2align	8
	.type	_ZL12mul_mat_q6_KIN3c108BFloat16ELb0EEvPKvS3_PT_iiiii,@function
_ZL12mul_mat_q6_KIN3c108BFloat16ELb0EEvPKvS3_PT_iiiii: ; @_ZL12mul_mat_q6_KIN3c108BFloat16ELb0EEvPKvS3_PT_iiiii
; %bb.0:
	s_load_dword s7, s[0:1], 0x18
	s_load_dwordx4 s[8:11], s[0:1], 0x20
	s_waitcnt lgkmcnt(0)
	s_lshl_b32 s11, s3, 6
	v_bfe_u32 v134, v0, 10, 10
	s_cmpk_gt_i32 s7, 0xff
	s_cbranch_scc1 .LBB175_2
; %bb.1:
	v_bfe_u32 v1, v0, 10, 10
	v_and_b32_e32 v132, 0x3ff, v0
	v_add_u32_e32 v138, s11, v1
	s_mov_b64 s[4:5], 0
	s_mov_b32 s3, 0
	s_branch .LBB175_3
.LBB175_2:
	s_mov_b64 s[4:5], -1
                                        ; implicit-def: $sgpr3
                                        ; implicit-def: $vgpr1
                                        ; implicit-def: $vgpr132
                                        ; implicit-def: $vgpr138
.LBB175_3:
	s_load_dwordx2 s[12:13], s[0:1], 0x10
	s_lshl_b32 s6, s2, 7
	s_andn2_b64 vcc, exec, s[4:5]
	v_mov_b32_e32 v17, s3
	v_mov_b32_e32 v29, s3
	;; [unrolled: 1-line block ×32, first 2 shown]
	s_cbranch_vccnz .LBB175_11
; %bb.4:
	v_and_b32_e32 v132, 0x3ff, v0
	v_and_b32_e32 v6, 31, v132
	s_ashr_i32 s4, s7, 31
	v_cmp_lt_u32_e32 vcc, 15, v6
	s_load_dwordx4 s[0:3], s[0:1], 0x0
	s_lshr_b32 s4, s4, 24
	v_cndmask_b32_e64 v1, 0, 1, vcc
	s_add_i32 s7, s7, s4
	s_ashr_i32 s5, s9, 31
	v_and_b32_e32 v0, 7, v132
	v_lshlrev_b32_e32 v1, 5, v1
	s_ashr_i32 s4, s7, 8
	s_lshr_b32 s5, s5, 27
	v_lshl_or_b32 v20, v0, 2, v1
	v_add_u16_e32 v0, -16, v6
	v_cmp_gt_u32_e32 vcc, 16, v6
	s_add_i32 s5, s9, s5
	s_mul_i32 s7, s4, s6
	v_cndmask_b32_e32 v0, v0, v6, vcc
	s_ashr_i32 s15, s5, 5
	s_mul_hi_i32 s9, s7, 0xd2
	s_mulk_i32 s7, 0xd2
	v_cmp_lt_u16_e32 vcc, 7, v0
	s_waitcnt lgkmcnt(0)
	s_add_u32 s7, s0, s7
	s_addc_u32 s9, s1, s9
	v_cndmask_b32_e64 v0, 0, 1, vcc
	v_lshlrev_b32_e32 v141, 1, v0
	v_and_or_b32 v0, v132, 15, v1
	v_mul_u32_u24_e32 v1, 0x41, v134
	s_lshl_b32 s0, s4, 3
	v_add_lshl_u32 v143, v0, v1, 2
	v_mov_b32_e32 v0, s0
	v_mad_i32_i24 v24, s4, v134, v0
	v_add_u32_e32 v26, s0, v24
	v_add_u32_e32 v28, s0, v26
	v_lshlrev_b32_e32 v160, 5, v134
	v_add_u32_e32 v30, s0, v28
	v_add_u32_e32 v0, v160, v132
	;; [unrolled: 1-line block ×3, first 2 shown]
	v_and_b32_e32 v1, 0x7f, v0
	v_lshrrev_b32_e32 v0, 3, v0
	v_add_u32_e32 v34, s0, v32
	v_mul_i32_i24_e32 v54, s4, v1
	v_and_b32_e32 v0, 12, v0
	v_lshlrev_b32_e32 v1, 2, v1
	s_mov_b32 s16, 0xae40
	v_add_u32_e32 v36, s0, v34
	v_add3_u32 v162, v1, v0, s16
	v_lshlrev_b32_e32 v1, 3, v134
	v_lshrrev_b32_e32 v2, 2, v132
	v_add_u32_e32 v38, s0, v36
	v_add_u32_e32 v7, v2, v1
	v_and_b32_e32 v0, 3, v132
	v_add_u16_e32 v1, v2, v1
	v_add_u32_e32 v40, s0, v38
	v_lshlrev_b32_e32 v56, 2, v0
	v_and_b32_e32 v3, 0x7f, v7
	v_lshrrev_b16_e32 v1, 1, v1
	v_add_u32_e32 v42, s0, v40
	v_lshl_or_b32 v4, v3, 4, v56
	v_and_b32_e32 v1, 60, v1
	s_mov_b32 s17, 0xa200
	v_add_u32_e32 v44, s0, v42
	v_add3_u32 v163, v4, v1, s17
	v_xor_b32_e32 v1, 64, v3
	v_add_u32_e32 v46, s0, v44
	v_mul_i32_i24_e32 v60, s4, v1
	v_lshl_or_b32 v2, v1, 4, v56
	v_lshrrev_b32_e32 v1, 1, v1
	v_mov_b32_e32 v19, 0
	v_add_u32_e32 v48, s0, v46
	v_and_b32_e32 v1, 60, v1
	v_lshlrev_b32_e32 v8, 2, v132
	v_add_u32_e32 v50, s0, v48
	v_add3_u32 v165, v2, v1, s17
	v_and_b32_e32 v4, 28, v8
	v_mov_b32_e32 v5, v19
	v_and_b32_e32 v1, 63, v7
	v_add_u32_e32 v52, s0, v50
	s_add_i32 s0, s8, -1
	v_lshl_add_u64 v[62:63], s[2:3], 0, v[4:5]
	v_or_b32_e32 v4, s11, v1
	v_min_i32_e32 v4, s0, v4
	v_mul_i32_i24_e32 v58, s4, v3
	v_add_u32_e32 v138, s11, v134
	v_cvt_f64_i32_e32 v[2:3], s0
	v_mad_u64_u32 v[64:65], s[0:1], v4, s15, v[0:1]
	v_lshl_or_b32 v0, v1, 4, v56
	v_add_u32_e32 v166, 0xaa40, v0
	v_cvt_f64_u32_e32 v[0:1], v138
	v_min_f64 v[0:1], v[0:1], v[2:3]
	v_cvt_i32_f64_e32 v0, v[0:1]
	v_mul_lo_u32 v169, s15, v0
	v_or_b32_e32 v0, v160, v6
	v_mov_b32_e32 v4, 0x8200
	v_lshl_add_u32 v170, v0, 2, v4
	v_add_u32_e32 v0, 8, v138
	v_cvt_f64_u32_e32 v[0:1], v0
	v_min_f64 v[0:1], v[0:1], v[2:3]
	v_cvt_i32_f64_e32 v0, v[0:1]
	v_add_u32_e32 v172, 0x100, v160
	v_mul_lo_u32 v171, s15, v0
	v_or_b32_e32 v0, v172, v6
	v_lshl_add_u32 v173, v0, 2, v4
	v_add_u32_e32 v0, 16, v138
	v_cvt_f64_u32_e32 v[0:1], v0
	v_min_f64 v[0:1], v[0:1], v[2:3]
	v_cvt_i32_f64_e32 v0, v[0:1]
	v_add_u32_e32 v175, 0x200, v160
	v_mul_lo_u32 v174, s15, v0
	v_or_b32_e32 v0, v175, v6
	;; [unrolled: 8-line block ×6, first 2 shown]
	v_lshl_add_u32 v188, v0, 2, v4
	v_add_u32_e32 v0, 56, v138
	v_cvt_f64_u32_e32 v[0:1], v0
	v_min_f64 v[0:1], v[0:1], v[2:3]
	v_cvt_i32_f64_e32 v0, v[0:1]
	v_add_u32_e32 v190, 0x700, v160
	v_lshrrev_b32_e32 v16, 5, v132
	v_mul_lo_u32 v189, s15, v0
	v_or_b32_e32 v0, v190, v6
	v_lshl_add_u32 v191, v0, 2, v4
	v_lshlrev_b32_e32 v0, 2, v16
	v_add3_u32 v192, v0, v8, s16
	v_add_u32_e32 v0, 32, v132
	v_lshrrev_b32_e32 v193, 3, v0
	v_and_b32_e32 v1, 60, v193
	v_add3_u32 v194, v8, v1, s16
	v_add_u32_e32 v1, 64, v132
	v_lshrrev_b32_e32 v2, 3, v1
	v_and_b32_e32 v2, 60, v2
	v_add3_u32 v195, v8, v2, s16
	v_add_u32_e32 v2, 0x60, v132
	v_lshrrev_b32_e32 v3, 3, v2
	v_lshrrev_b32_e32 v167, 3, v132
	v_and_b32_e32 v3, 60, v3
	v_add3_u32 v196, v8, v3, s16
	v_lshlrev_b32_e32 v3, 2, v167
	v_lshlrev_b32_e32 v4, 4, v132
	v_add3_u32 v197, v4, v3, s17
	v_lshlrev_b32_e32 v3, 2, v193
	v_lshlrev_b32_e32 v0, 4, v0
	s_movk_i32 s0, 0x104
	v_add3_u32 v199, v3, v0, s17
	v_mov_b32_e32 v0, 0x2080
	v_mad_u32_u24 v200, v132, s0, v0
	v_lshrrev_b32_e32 v0, 1, v1
	v_and_b32_e32 v0, 0xfc, v0
	v_lshlrev_b32_e32 v1, 4, v1
	v_add3_u32 v201, v1, v0, s17
	v_mov_b32_e32 v0, 0x4100
	v_mad_u32_u24 v202, v132, s0, v0
	v_lshrrev_b32_e32 v0, 1, v2
	v_and_b32_e32 v0, 0xfc, v0
	v_lshlrev_b32_e32 v1, 4, v2
	v_add3_u32 v203, v1, v0, s17
	v_mov_b32_e32 v0, 0x6180
	s_movk_i32 s5, 0xd2
	s_mov_b32 s14, 0
	v_lshlrev_b32_e32 v18, 2, v6
	v_mov_b32_e32 v21, v19
	v_mul_i32_i24_e32 v22, s4, v134
	v_add_u32_e32 v144, 0x820, v143
	v_add_u32_e32 v145, 0x1040, v143
	;; [unrolled: 1-line block ×15, first 2 shown]
	v_mov_b32_e32 v57, v19
	v_mul_u32_u24_e32 v198, 0x104, v132
	v_mad_u32_u24 v204, v132, s0, v0
	s_mov_b32 s15, 0xf0f0f0f
	s_mov_b32 s16, 0x30303030
	s_movk_i32 s17, 0x3f00
	s_movk_i32 s18, 0xe000
	v_mov_b32_e32 v205, 8
	v_mov_b32_e32 v168, v19
	v_mov_b32_e32 v142, v19
	v_mov_b32_e32 v136, v19
	v_mov_b32_e32 v61, v19
	v_mov_b32_e32 v51, v19
	v_mov_b32_e32 v43, v19
	v_mov_b32_e32 v35, v19
	v_mov_b32_e32 v27, v19
	v_mov_b32_e32 v164, v19
	v_mov_b32_e32 v140, v19
	v_mov_b32_e32 v135, v19
	v_mov_b32_e32 v59, v19
	v_mov_b32_e32 v49, v19
	v_mov_b32_e32 v41, v19
	v_mov_b32_e32 v33, v19
	v_mov_b32_e32 v25, v19
	v_mov_b32_e32 v161, v19
	v_mov_b32_e32 v139, v19
	v_mov_b32_e32 v133, v19
	v_mov_b32_e32 v55, v19
	v_mov_b32_e32 v47, v19
	v_mov_b32_e32 v39, v19
	v_mov_b32_e32 v31, v19
	v_mov_b32_e32 v23, v19
	v_mov_b32_e32 v152, v19
	v_mov_b32_e32 v137, v19
	v_mov_b32_e32 v65, v19
	v_mov_b32_e32 v53, v19
	v_mov_b32_e32 v45, v19
	v_mov_b32_e32 v37, v19
	v_mov_b32_e32 v29, v19
	v_mov_b32_e32 v17, v19
.LBB175_5:                              ; =>This Loop Header: Depth=1
                                        ;     Child Loop BB175_6 Depth 2
                                        ;     Child Loop BB175_8 Depth 2
	s_mul_i32 s0, s14, 0xd2
	s_mul_hi_u32 s1, s14, 0xd2
	s_add_u32 s0, s7, s0
	s_addc_u32 s1, s9, s1
	v_mov_b64_e32 v[0:1], s[0:1]
	v_mad_u64_u32 v[2:3], s[20:21], v16, s5, v[0:1]
	v_mad_u64_u32 v[4:5], s[20:21], v22, s5, v[2:3]
	v_lshl_add_u64 v[6:7], v[4:5], 0, v[18:19]
	v_lshl_add_u64 v[4:5], v[4:5], 0, v[20:21]
	v_mad_u64_u32 v[8:9], s[20:21], v24, s5, v[2:3]
	global_load_dword v12, v[6:7], off
	v_lshl_add_u64 v[10:11], v[8:9], 0, v[18:19]
	v_lshl_add_u64 v[8:9], v[8:9], 0, v[20:21]
	v_mad_u64_u32 v[6:7], s[20:21], v26, s5, v[2:3]
	global_load_dword v13, v[4:5], off offset:128
	global_load_dword v14, v[10:11], off
	v_lshl_add_u64 v[4:5], v[6:7], 0, v[18:19]
	global_load_dword v15, v[8:9], off offset:128
	global_load_dword v66, v[4:5], off
	v_lshl_add_u64 v[4:5], v[6:7], 0, v[20:21]
	global_load_dword v67, v[4:5], off offset:128
	v_mad_u64_u32 v[4:5], s[20:21], v28, s5, v[2:3]
	v_lshl_add_u64 v[8:9], v[4:5], 0, v[18:19]
	v_lshl_add_u64 v[4:5], v[4:5], 0, v[20:21]
	global_load_dword v8, v[8:9], off
	s_nop 0
	global_load_dword v9, v[4:5], off offset:128
	v_mad_u64_u32 v[6:7], s[20:21], v30, s5, v[2:3]
	v_lshl_add_u64 v[10:11], v[6:7], 0, v[18:19]
	s_lshl_b32 s19, s14, 3
	v_mad_u64_u32 v[0:1], s[20:21], v54, s5, v[0:1]
	v_add_u32_e32 v206, s19, v64
	s_waitcnt vmcnt(7)
	v_and_b32_e32 v4, 0xf0f0f0f, v12
	v_lshrrev_b32_e32 v5, 4, v12
	s_waitcnt vmcnt(6)
	v_ashrrev_i32_e32 v12, v141, v13
	v_lshlrev_b32_e32 v69, 4, v12
	s_waitcnt vmcnt(4)
	v_ashrrev_i32_e32 v15, v141, v15
	v_and_b32_e32 v12, 0x30303030, v12
	v_and_b32_e32 v13, 0xf0f0f0f, v14
	v_lshrrev_b32_e32 v14, 4, v14
	v_lshlrev_b32_e32 v70, 4, v15
	v_and_b32_e32 v15, 0x30303030, v15
	v_and_or_b32 v4, v69, s16, v4
	v_and_or_b32 v5, v5, s15, v12
	;; [unrolled: 1-line block ×4, first 2 shown]
	v_and_b32_e32 v14, 0x3f00, v4
	v_lshlrev_b16_e32 v15, 8, v4
	v_and_b32_sdwa v69, v4, s17 dst_sel:DWORD dst_unused:UNUSED_PAD src0_sel:WORD_1 src1_sel:DWORD
	v_lshlrev_b16_sdwa v4, v205, v4 dst_sel:DWORD dst_unused:UNUSED_PAD src0_sel:DWORD src1_sel:WORD_1
	v_and_b32_e32 v70, 0x3f00, v5
	v_lshlrev_b16_e32 v71, 8, v5
	v_and_b32_sdwa v72, v5, s17 dst_sel:DWORD dst_unused:UNUSED_PAD src0_sel:WORD_1 src1_sel:DWORD
	v_lshlrev_b16_sdwa v5, v205, v5 dst_sel:DWORD dst_unused:UNUSED_PAD src0_sel:DWORD src1_sel:WORD_1
	;; [unrolled: 4-line block ×4, first 2 shown]
	v_add_u16_e32 v15, 0xe000, v15
	v_add_u16_e32 v4, 0xe000, v4
	;; [unrolled: 1-line block ×8, first 2 shown]
	v_or_b32_sdwa v14, v14, v15 dst_sel:DWORD dst_unused:UNUSED_PAD src0_sel:DWORD src1_sel:BYTE_1
	v_or_b32_sdwa v4, v69, v4 dst_sel:DWORD dst_unused:UNUSED_PAD src0_sel:DWORD src1_sel:BYTE_1
	v_or_b32_sdwa v15, v70, v71 dst_sel:DWORD dst_unused:UNUSED_PAD src0_sel:DWORD src1_sel:BYTE_1
	v_or_b32_sdwa v5, v72, v5 dst_sel:DWORD dst_unused:UNUSED_PAD src0_sel:DWORD src1_sel:BYTE_1
	v_or_b32_sdwa v69, v73, v74 dst_sel:DWORD dst_unused:UNUSED_PAD src0_sel:DWORD src1_sel:BYTE_1
	v_or_b32_sdwa v12, v75, v12 dst_sel:DWORD dst_unused:UNUSED_PAD src0_sel:DWORD src1_sel:BYTE_1
	v_or_b32_sdwa v70, v76, v77 dst_sel:DWORD dst_unused:UNUSED_PAD src0_sel:DWORD src1_sel:BYTE_1
	v_or_b32_sdwa v13, v78, v13 dst_sel:DWORD dst_unused:UNUSED_PAD src0_sel:DWORD src1_sel:BYTE_1
	v_add_u16_e32 v14, 0xe000, v14
	v_add_u16_sdwa v4, v4, s18 dst_sel:WORD_1 dst_unused:UNUSED_PAD src0_sel:DWORD src1_sel:DWORD
	v_add_u16_e32 v15, 0xe000, v15
	v_add_u16_sdwa v5, v5, s18 dst_sel:WORD_1 dst_unused:UNUSED_PAD src0_sel:DWORD src1_sel:DWORD
	;; [unrolled: 2-line block ×4, first 2 shown]
	v_or_b32_e32 v4, v14, v4
	v_or_b32_e32 v5, v15, v5
	;; [unrolled: 1-line block ×4, first 2 shown]
	ds_write2_b32 v143, v4, v5 offset1:16
	ds_write2_b32 v144, v12, v13 offset1:16
	v_lshl_add_u64 v[4:5], v[6:7], 0, v[20:21]
	global_load_dword v10, v[10:11], off
	s_waitcnt vmcnt(4)
	v_and_b32_e32 v68, 0xf0f0f0f, v66
	global_load_dword v11, v[4:5], off offset:128
	s_waitcnt vmcnt(4)
	v_ashrrev_i32_e32 v5, v141, v67
	v_lshlrev_b32_e32 v6, 4, v5
	v_and_or_b32 v6, v6, s16, v68
	v_lshlrev_b16_e32 v12, 8, v6
	v_and_b32_e32 v7, 0x3f00, v6
	v_add_u16_e32 v12, 0xe000, v12
	v_or_b32_sdwa v7, v7, v12 dst_sel:DWORD dst_unused:UNUSED_PAD src0_sel:DWORD src1_sel:BYTE_1
	v_and_b32_sdwa v12, v6, s17 dst_sel:DWORD dst_unused:UNUSED_PAD src0_sel:WORD_1 src1_sel:DWORD
	v_lshlrev_b16_sdwa v6, v205, v6 dst_sel:DWORD dst_unused:UNUSED_PAD src0_sel:DWORD src1_sel:WORD_1
	v_add_u16_e32 v6, 0xe000, v6
	v_lshrrev_b32_e32 v4, 4, v66
	v_and_b32_e32 v5, 0x30303030, v5
	v_or_b32_sdwa v6, v12, v6 dst_sel:DWORD dst_unused:UNUSED_PAD src0_sel:DWORD src1_sel:BYTE_1
	v_add_u16_e32 v7, 0xe000, v7
	v_add_u16_sdwa v6, v6, s18 dst_sel:WORD_1 dst_unused:UNUSED_PAD src0_sel:DWORD src1_sel:DWORD
	v_and_or_b32 v4, v4, s15, v5
	v_or_b32_e32 v12, v7, v6
	v_lshlrev_b16_e32 v6, 8, v4
	v_and_b32_e32 v5, 0x3f00, v4
	v_add_u16_e32 v6, 0xe000, v6
	v_or_b32_sdwa v5, v5, v6 dst_sel:DWORD dst_unused:UNUSED_PAD src0_sel:DWORD src1_sel:BYTE_1
	v_add_u16_e32 v13, 0xe000, v5
	v_and_b32_sdwa v14, v4, s17 dst_sel:DWORD dst_unused:UNUSED_PAD src0_sel:WORD_1 src1_sel:DWORD
	v_lshlrev_b16_sdwa v15, v205, v4 dst_sel:DWORD dst_unused:UNUSED_PAD src0_sel:DWORD src1_sel:WORD_1
	v_mad_u64_u32 v[4:5], s[20:21], v32, s5, v[2:3]
	v_lshl_add_u64 v[6:7], v[4:5], 0, v[18:19]
	v_lshl_add_u64 v[4:5], v[4:5], 0, v[20:21]
	global_load_dword v66, v[6:7], off
	global_load_dword v67, v[4:5], off offset:128
	v_add_u16_e32 v4, 0xe000, v15
	v_or_b32_sdwa v4, v14, v4 dst_sel:DWORD dst_unused:UNUSED_PAD src0_sel:DWORD src1_sel:BYTE_1
	v_add_u16_sdwa v4, v4, s18 dst_sel:WORD_1 dst_unused:UNUSED_PAD src0_sel:DWORD src1_sel:DWORD
	s_waitcnt vmcnt(4)
	v_ashrrev_i32_e32 v6, v141, v9
	v_or_b32_e32 v4, v13, v4
	ds_write2_b32 v145, v12, v4 offset1:16
	v_and_b32_e32 v4, 0xf0f0f0f, v8
	v_lshlrev_b32_e32 v7, 4, v6
	v_and_or_b32 v4, v7, s16, v4
	v_lshrrev_b32_e32 v5, 4, v8
	v_lshlrev_b16_e32 v8, 8, v4
	v_and_b32_e32 v7, 0x3f00, v4
	v_add_u16_e32 v8, 0xe000, v8
	v_or_b32_sdwa v7, v7, v8 dst_sel:DWORD dst_unused:UNUSED_PAD src0_sel:DWORD src1_sel:BYTE_1
	v_and_b32_sdwa v8, v4, s17 dst_sel:DWORD dst_unused:UNUSED_PAD src0_sel:WORD_1 src1_sel:DWORD
	v_lshlrev_b16_sdwa v4, v205, v4 dst_sel:DWORD dst_unused:UNUSED_PAD src0_sel:DWORD src1_sel:WORD_1
	v_add_u16_e32 v4, 0xe000, v4
	v_or_b32_sdwa v4, v8, v4 dst_sel:DWORD dst_unused:UNUSED_PAD src0_sel:DWORD src1_sel:BYTE_1
	v_and_b32_e32 v6, 0x30303030, v6
	v_add_u16_e32 v7, 0xe000, v7
	v_add_u16_sdwa v4, v4, s18 dst_sel:WORD_1 dst_unused:UNUSED_PAD src0_sel:DWORD src1_sel:DWORD
	v_and_or_b32 v9, v5, s15, v6
	v_or_b32_e32 v8, v7, v4
	v_mad_u64_u32 v[4:5], s[20:21], v34, s5, v[2:3]
	v_lshl_add_u64 v[6:7], v[4:5], 0, v[18:19]
	global_load_dword v13, v[6:7], off
	v_lshlrev_b16_e32 v6, 8, v9
	v_and_b32_e32 v12, 0x3f00, v9
	v_add_u16_e32 v6, 0xe000, v6
	v_lshl_add_u64 v[4:5], v[4:5], 0, v[20:21]
	v_or_b32_sdwa v6, v12, v6 dst_sel:DWORD dst_unused:UNUSED_PAD src0_sel:DWORD src1_sel:BYTE_1
	global_load_dword v12, v[4:5], off offset:128
	v_and_b32_sdwa v7, v9, s17 dst_sel:DWORD dst_unused:UNUSED_PAD src0_sel:WORD_1 src1_sel:DWORD
	v_lshlrev_b16_sdwa v9, v205, v9 dst_sel:DWORD dst_unused:UNUSED_PAD src0_sel:DWORD src1_sel:WORD_1
	v_add_u16_e32 v4, 0xe000, v9
	v_or_b32_sdwa v4, v7, v4 dst_sel:DWORD dst_unused:UNUSED_PAD src0_sel:DWORD src1_sel:BYTE_1
	v_add_u16_e32 v6, 0xe000, v6
	v_add_u16_sdwa v4, v4, s18 dst_sel:WORD_1 dst_unused:UNUSED_PAD src0_sel:DWORD src1_sel:DWORD
	s_nop 0
	v_or_b32_e32 v4, v6, v4
	ds_write2_b32 v146, v8, v4 offset1:16
	v_mad_u64_u32 v[4:5], s[20:21], v36, s5, v[2:3]
	v_lshl_add_u64 v[6:7], v[4:5], 0, v[18:19]
	v_lshl_add_u64 v[4:5], v[4:5], 0, v[20:21]
	global_load_dword v8, v[6:7], off
	global_load_dword v9, v[4:5], off offset:128
	s_waitcnt vmcnt(7)
	v_and_b32_e32 v4, 0xf0f0f0f, v10
	v_lshrrev_b32_e32 v5, 4, v10
	s_waitcnt vmcnt(6)
	v_ashrrev_i32_e32 v6, v141, v11
	v_lshlrev_b32_e32 v7, 4, v6
	v_and_or_b32 v4, v7, s16, v4
	v_lshlrev_b16_e32 v10, 8, v4
	v_and_b32_e32 v7, 0x3f00, v4
	v_add_u16_e32 v10, 0xe000, v10
	v_or_b32_sdwa v7, v7, v10 dst_sel:DWORD dst_unused:UNUSED_PAD src0_sel:DWORD src1_sel:BYTE_1
	v_and_b32_sdwa v10, v4, s17 dst_sel:DWORD dst_unused:UNUSED_PAD src0_sel:WORD_1 src1_sel:DWORD
	v_lshlrev_b16_sdwa v4, v205, v4 dst_sel:DWORD dst_unused:UNUSED_PAD src0_sel:DWORD src1_sel:WORD_1
	v_add_u16_e32 v4, 0xe000, v4
	v_and_b32_e32 v6, 0x30303030, v6
	v_or_b32_sdwa v4, v10, v4 dst_sel:DWORD dst_unused:UNUSED_PAD src0_sel:DWORD src1_sel:BYTE_1
	v_add_u16_e32 v7, 0xe000, v7
	v_add_u16_sdwa v4, v4, s18 dst_sel:WORD_1 dst_unused:UNUSED_PAD src0_sel:DWORD src1_sel:DWORD
	v_and_or_b32 v5, v5, s15, v6
	v_or_b32_e32 v4, v7, v4
	v_lshlrev_b16_e32 v7, 8, v5
	v_and_b32_e32 v6, 0x3f00, v5
	v_add_u16_e32 v7, 0xe000, v7
	v_or_b32_sdwa v6, v6, v7 dst_sel:DWORD dst_unused:UNUSED_PAD src0_sel:DWORD src1_sel:BYTE_1
	v_and_b32_sdwa v7, v5, s17 dst_sel:DWORD dst_unused:UNUSED_PAD src0_sel:WORD_1 src1_sel:DWORD
	v_lshlrev_b16_sdwa v5, v205, v5 dst_sel:DWORD dst_unused:UNUSED_PAD src0_sel:DWORD src1_sel:WORD_1
	v_add_u16_e32 v5, 0xe000, v5
	v_or_b32_sdwa v5, v7, v5 dst_sel:DWORD dst_unused:UNUSED_PAD src0_sel:DWORD src1_sel:BYTE_1
	v_add_u16_e32 v6, 0xe000, v6
	v_add_u16_sdwa v5, v5, s18 dst_sel:WORD_1 dst_unused:UNUSED_PAD src0_sel:DWORD src1_sel:DWORD
	s_nop 0
	v_or_b32_e32 v5, v6, v5
	ds_write2_b32 v147, v4, v5 offset1:16
	s_waitcnt vmcnt(5)
	v_and_b32_e32 v4, 0xf0f0f0f, v66
	s_waitcnt vmcnt(4)
	v_ashrrev_i32_e32 v6, v141, v67
	v_lshlrev_b32_e32 v7, 4, v6
	v_and_or_b32 v4, v7, s16, v4
	v_lshlrev_b16_e32 v10, 8, v4
	v_and_b32_e32 v7, 0x3f00, v4
	v_add_u16_e32 v10, 0xe000, v10
	v_or_b32_sdwa v7, v7, v10 dst_sel:DWORD dst_unused:UNUSED_PAD src0_sel:DWORD src1_sel:BYTE_1
	v_and_b32_sdwa v10, v4, s17 dst_sel:DWORD dst_unused:UNUSED_PAD src0_sel:WORD_1 src1_sel:DWORD
	v_lshlrev_b16_sdwa v4, v205, v4 dst_sel:DWORD dst_unused:UNUSED_PAD src0_sel:DWORD src1_sel:WORD_1
	v_add_u16_e32 v4, 0xe000, v4
	v_lshrrev_b32_e32 v5, 4, v66
	v_and_b32_e32 v6, 0x30303030, v6
	v_or_b32_sdwa v4, v10, v4 dst_sel:DWORD dst_unused:UNUSED_PAD src0_sel:DWORD src1_sel:BYTE_1
	v_add_u16_e32 v7, 0xe000, v7
	v_add_u16_sdwa v4, v4, s18 dst_sel:WORD_1 dst_unused:UNUSED_PAD src0_sel:DWORD src1_sel:DWORD
	v_and_or_b32 v5, v5, s15, v6
	v_or_b32_e32 v4, v7, v4
	v_lshlrev_b16_e32 v7, 8, v5
	v_and_b32_e32 v6, 0x3f00, v5
	v_add_u16_e32 v7, 0xe000, v7
	v_or_b32_sdwa v6, v6, v7 dst_sel:DWORD dst_unused:UNUSED_PAD src0_sel:DWORD src1_sel:BYTE_1
	v_and_b32_sdwa v7, v5, s17 dst_sel:DWORD dst_unused:UNUSED_PAD src0_sel:WORD_1 src1_sel:DWORD
	v_lshlrev_b16_sdwa v5, v205, v5 dst_sel:DWORD dst_unused:UNUSED_PAD src0_sel:DWORD src1_sel:WORD_1
	v_add_u16_e32 v5, 0xe000, v5
	v_or_b32_sdwa v5, v7, v5 dst_sel:DWORD dst_unused:UNUSED_PAD src0_sel:DWORD src1_sel:BYTE_1
	v_add_u16_e32 v6, 0xe000, v6
	v_add_u16_sdwa v5, v5, s18 dst_sel:WORD_1 dst_unused:UNUSED_PAD src0_sel:DWORD src1_sel:DWORD
	s_waitcnt vmcnt(3)
	v_and_b32_e32 v10, 0xf0f0f0f, v13
	v_or_b32_e32 v5, v6, v5
	ds_write2_b32 v148, v4, v5 offset1:16
	v_mad_u64_u32 v[4:5], s[20:21], v38, s5, v[2:3]
	v_lshl_add_u64 v[6:7], v[4:5], 0, v[18:19]
	v_lshl_add_u64 v[4:5], v[4:5], 0, v[20:21]
	global_load_dword v11, v[6:7], off
	global_load_dword v14, v[4:5], off offset:128
	s_waitcnt vmcnt(4)
	v_ashrrev_i32_e32 v5, v141, v12
	v_lshlrev_b32_e32 v6, 4, v5
	v_and_or_b32 v6, v6, s16, v10
	v_lshlrev_b16_e32 v10, 8, v6
	v_and_b32_e32 v7, 0x3f00, v6
	v_add_u16_e32 v10, 0xe000, v10
	v_or_b32_sdwa v7, v7, v10 dst_sel:DWORD dst_unused:UNUSED_PAD src0_sel:DWORD src1_sel:BYTE_1
	v_and_b32_sdwa v10, v6, s17 dst_sel:DWORD dst_unused:UNUSED_PAD src0_sel:WORD_1 src1_sel:DWORD
	v_lshlrev_b16_sdwa v6, v205, v6 dst_sel:DWORD dst_unused:UNUSED_PAD src0_sel:DWORD src1_sel:WORD_1
	v_add_u16_e32 v6, 0xe000, v6
	v_lshrrev_b32_e32 v4, 4, v13
	v_and_b32_e32 v5, 0x30303030, v5
	v_or_b32_sdwa v6, v10, v6 dst_sel:DWORD dst_unused:UNUSED_PAD src0_sel:DWORD src1_sel:BYTE_1
	v_add_u16_e32 v7, 0xe000, v7
	v_add_u16_sdwa v6, v6, s18 dst_sel:WORD_1 dst_unused:UNUSED_PAD src0_sel:DWORD src1_sel:DWORD
	v_and_or_b32 v4, v4, s15, v5
	v_or_b32_e32 v10, v7, v6
	v_lshlrev_b16_e32 v6, 8, v4
	v_and_b32_e32 v5, 0x3f00, v4
	v_add_u16_e32 v6, 0xe000, v6
	v_or_b32_sdwa v5, v5, v6 dst_sel:DWORD dst_unused:UNUSED_PAD src0_sel:DWORD src1_sel:BYTE_1
	v_add_u16_e32 v12, 0xe000, v5
	v_and_b32_sdwa v13, v4, s17 dst_sel:DWORD dst_unused:UNUSED_PAD src0_sel:WORD_1 src1_sel:DWORD
	v_lshlrev_b16_sdwa v15, v205, v4 dst_sel:DWORD dst_unused:UNUSED_PAD src0_sel:DWORD src1_sel:WORD_1
	v_mad_u64_u32 v[4:5], s[20:21], v40, s5, v[2:3]
	v_lshl_add_u64 v[6:7], v[4:5], 0, v[18:19]
	v_lshl_add_u64 v[4:5], v[4:5], 0, v[20:21]
	global_load_dword v66, v[6:7], off
	global_load_dword v67, v[4:5], off offset:128
	v_add_u16_e32 v4, 0xe000, v15
	v_or_b32_sdwa v4, v13, v4 dst_sel:DWORD dst_unused:UNUSED_PAD src0_sel:DWORD src1_sel:BYTE_1
	v_add_u16_sdwa v4, v4, s18 dst_sel:WORD_1 dst_unused:UNUSED_PAD src0_sel:DWORD src1_sel:DWORD
	s_waitcnt vmcnt(4)
	v_ashrrev_i32_e32 v6, v141, v9
	v_or_b32_e32 v4, v12, v4
	ds_write2_b32 v149, v10, v4 offset1:16
	v_and_b32_e32 v4, 0xf0f0f0f, v8
	v_lshlrev_b32_e32 v7, 4, v6
	v_and_or_b32 v4, v7, s16, v4
	v_lshrrev_b32_e32 v5, 4, v8
	v_lshlrev_b16_e32 v8, 8, v4
	v_and_b32_e32 v7, 0x3f00, v4
	v_add_u16_e32 v8, 0xe000, v8
	v_or_b32_sdwa v7, v7, v8 dst_sel:DWORD dst_unused:UNUSED_PAD src0_sel:DWORD src1_sel:BYTE_1
	v_and_b32_sdwa v8, v4, s17 dst_sel:DWORD dst_unused:UNUSED_PAD src0_sel:WORD_1 src1_sel:DWORD
	v_lshlrev_b16_sdwa v4, v205, v4 dst_sel:DWORD dst_unused:UNUSED_PAD src0_sel:DWORD src1_sel:WORD_1
	v_add_u16_e32 v4, 0xe000, v4
	v_or_b32_sdwa v4, v8, v4 dst_sel:DWORD dst_unused:UNUSED_PAD src0_sel:DWORD src1_sel:BYTE_1
	v_and_b32_e32 v6, 0x30303030, v6
	v_add_u16_e32 v7, 0xe000, v7
	v_add_u16_sdwa v4, v4, s18 dst_sel:WORD_1 dst_unused:UNUSED_PAD src0_sel:DWORD src1_sel:DWORD
	v_and_or_b32 v9, v5, s15, v6
	v_or_b32_e32 v8, v7, v4
	v_mad_u64_u32 v[4:5], s[20:21], v42, s5, v[2:3]
	v_lshl_add_u64 v[6:7], v[4:5], 0, v[18:19]
	global_load_dword v12, v[6:7], off
	v_lshlrev_b16_e32 v6, 8, v9
	v_and_b32_e32 v10, 0x3f00, v9
	v_add_u16_e32 v6, 0xe000, v6
	v_lshl_add_u64 v[4:5], v[4:5], 0, v[20:21]
	v_or_b32_sdwa v6, v10, v6 dst_sel:DWORD dst_unused:UNUSED_PAD src0_sel:DWORD src1_sel:BYTE_1
	global_load_dword v10, v[4:5], off offset:128
	v_and_b32_sdwa v7, v9, s17 dst_sel:DWORD dst_unused:UNUSED_PAD src0_sel:WORD_1 src1_sel:DWORD
	v_lshlrev_b16_sdwa v9, v205, v9 dst_sel:DWORD dst_unused:UNUSED_PAD src0_sel:DWORD src1_sel:WORD_1
	v_add_u16_e32 v4, 0xe000, v9
	v_or_b32_sdwa v4, v7, v4 dst_sel:DWORD dst_unused:UNUSED_PAD src0_sel:DWORD src1_sel:BYTE_1
	v_add_u16_e32 v6, 0xe000, v6
	v_add_u16_sdwa v4, v4, s18 dst_sel:WORD_1 dst_unused:UNUSED_PAD src0_sel:DWORD src1_sel:DWORD
	s_nop 0
	v_or_b32_e32 v4, v6, v4
	ds_write2_b32 v150, v8, v4 offset1:16
	v_mad_u64_u32 v[4:5], s[20:21], v44, s5, v[2:3]
	v_lshl_add_u64 v[6:7], v[4:5], 0, v[18:19]
	v_lshl_add_u64 v[4:5], v[4:5], 0, v[20:21]
	global_load_dword v8, v[6:7], off
	global_load_dword v9, v[4:5], off offset:128
	s_waitcnt vmcnt(7)
	v_and_b32_e32 v4, 0xf0f0f0f, v11
	s_waitcnt vmcnt(6)
	v_ashrrev_i32_e32 v6, v141, v14
	v_lshlrev_b32_e32 v7, 4, v6
	v_and_or_b32 v4, v7, s16, v4
	v_lshrrev_b32_e32 v5, 4, v11
	v_lshlrev_b16_e32 v11, 8, v4
	v_and_b32_e32 v7, 0x3f00, v4
	v_add_u16_e32 v11, 0xe000, v11
	v_or_b32_sdwa v7, v7, v11 dst_sel:DWORD dst_unused:UNUSED_PAD src0_sel:DWORD src1_sel:BYTE_1
	v_and_b32_sdwa v11, v4, s17 dst_sel:DWORD dst_unused:UNUSED_PAD src0_sel:WORD_1 src1_sel:DWORD
	v_lshlrev_b16_sdwa v4, v205, v4 dst_sel:DWORD dst_unused:UNUSED_PAD src0_sel:DWORD src1_sel:WORD_1
	v_add_u16_e32 v4, 0xe000, v4
	v_and_b32_e32 v6, 0x30303030, v6
	v_or_b32_sdwa v4, v11, v4 dst_sel:DWORD dst_unused:UNUSED_PAD src0_sel:DWORD src1_sel:BYTE_1
	v_add_u16_e32 v7, 0xe000, v7
	v_add_u16_sdwa v4, v4, s18 dst_sel:WORD_1 dst_unused:UNUSED_PAD src0_sel:DWORD src1_sel:DWORD
	v_and_or_b32 v5, v5, s15, v6
	v_or_b32_e32 v4, v7, v4
	v_lshlrev_b16_e32 v7, 8, v5
	v_and_b32_e32 v6, 0x3f00, v5
	v_add_u16_e32 v7, 0xe000, v7
	v_or_b32_sdwa v6, v6, v7 dst_sel:DWORD dst_unused:UNUSED_PAD src0_sel:DWORD src1_sel:BYTE_1
	v_and_b32_sdwa v7, v5, s17 dst_sel:DWORD dst_unused:UNUSED_PAD src0_sel:WORD_1 src1_sel:DWORD
	v_lshlrev_b16_sdwa v5, v205, v5 dst_sel:DWORD dst_unused:UNUSED_PAD src0_sel:DWORD src1_sel:WORD_1
	v_add_u16_e32 v5, 0xe000, v5
	v_or_b32_sdwa v5, v7, v5 dst_sel:DWORD dst_unused:UNUSED_PAD src0_sel:DWORD src1_sel:BYTE_1
	v_add_u16_e32 v6, 0xe000, v6
	v_add_u16_sdwa v5, v5, s18 dst_sel:WORD_1 dst_unused:UNUSED_PAD src0_sel:DWORD src1_sel:DWORD
	s_nop 0
	v_or_b32_e32 v5, v6, v5
	ds_write2_b32 v151, v4, v5 offset1:16
	s_waitcnt vmcnt(4)
	v_ashrrev_i32_e32 v6, v141, v67
	v_and_b32_e32 v4, 0xf0f0f0f, v66
	v_lshlrev_b32_e32 v7, 4, v6
	v_and_or_b32 v4, v7, s16, v4
	v_lshlrev_b16_e32 v11, 8, v4
	v_and_b32_e32 v7, 0x3f00, v4
	v_add_u16_e32 v11, 0xe000, v11
	v_or_b32_sdwa v7, v7, v11 dst_sel:DWORD dst_unused:UNUSED_PAD src0_sel:DWORD src1_sel:BYTE_1
	v_and_b32_sdwa v11, v4, s17 dst_sel:DWORD dst_unused:UNUSED_PAD src0_sel:WORD_1 src1_sel:DWORD
	v_lshlrev_b16_sdwa v4, v205, v4 dst_sel:DWORD dst_unused:UNUSED_PAD src0_sel:DWORD src1_sel:WORD_1
	v_add_u16_e32 v4, 0xe000, v4
	v_lshrrev_b32_e32 v5, 4, v66
	v_and_b32_e32 v6, 0x30303030, v6
	v_or_b32_sdwa v4, v11, v4 dst_sel:DWORD dst_unused:UNUSED_PAD src0_sel:DWORD src1_sel:BYTE_1
	v_add_u16_e32 v7, 0xe000, v7
	v_add_u16_sdwa v4, v4, s18 dst_sel:WORD_1 dst_unused:UNUSED_PAD src0_sel:DWORD src1_sel:DWORD
	v_and_or_b32 v5, v5, s15, v6
	v_or_b32_e32 v4, v7, v4
	v_lshlrev_b16_e32 v7, 8, v5
	v_and_b32_e32 v6, 0x3f00, v5
	v_add_u16_e32 v7, 0xe000, v7
	v_or_b32_sdwa v6, v6, v7 dst_sel:DWORD dst_unused:UNUSED_PAD src0_sel:DWORD src1_sel:BYTE_1
	v_and_b32_sdwa v7, v5, s17 dst_sel:DWORD dst_unused:UNUSED_PAD src0_sel:WORD_1 src1_sel:DWORD
	v_lshlrev_b16_sdwa v5, v205, v5 dst_sel:DWORD dst_unused:UNUSED_PAD src0_sel:DWORD src1_sel:WORD_1
	v_add_u16_e32 v5, 0xe000, v5
	v_or_b32_sdwa v5, v7, v5 dst_sel:DWORD dst_unused:UNUSED_PAD src0_sel:DWORD src1_sel:BYTE_1
	v_add_u16_e32 v6, 0xe000, v6
	v_add_u16_sdwa v5, v5, s18 dst_sel:WORD_1 dst_unused:UNUSED_PAD src0_sel:DWORD src1_sel:DWORD
	s_waitcnt vmcnt(3)
	v_and_b32_e32 v11, 0xf0f0f0f, v12
	v_or_b32_e32 v5, v6, v5
	ds_write2_b32 v153, v4, v5 offset1:16
	v_mad_u64_u32 v[4:5], s[20:21], v46, s5, v[2:3]
	v_lshl_add_u64 v[6:7], v[4:5], 0, v[18:19]
	v_lshl_add_u64 v[4:5], v[4:5], 0, v[20:21]
	global_load_dword v13, v[6:7], off
	global_load_dword v14, v[4:5], off offset:128
	s_waitcnt vmcnt(4)
	v_ashrrev_i32_e32 v5, v141, v10
	v_lshlrev_b32_e32 v6, 4, v5
	v_and_or_b32 v6, v6, s16, v11
	v_lshlrev_b16_e32 v10, 8, v6
	v_and_b32_e32 v7, 0x3f00, v6
	v_add_u16_e32 v10, 0xe000, v10
	v_or_b32_sdwa v7, v7, v10 dst_sel:DWORD dst_unused:UNUSED_PAD src0_sel:DWORD src1_sel:BYTE_1
	v_and_b32_sdwa v10, v6, s17 dst_sel:DWORD dst_unused:UNUSED_PAD src0_sel:WORD_1 src1_sel:DWORD
	v_lshlrev_b16_sdwa v6, v205, v6 dst_sel:DWORD dst_unused:UNUSED_PAD src0_sel:DWORD src1_sel:WORD_1
	v_add_u16_e32 v6, 0xe000, v6
	v_lshrrev_b32_e32 v4, 4, v12
	v_and_b32_e32 v5, 0x30303030, v5
	v_or_b32_sdwa v6, v10, v6 dst_sel:DWORD dst_unused:UNUSED_PAD src0_sel:DWORD src1_sel:BYTE_1
	v_add_u16_e32 v7, 0xe000, v7
	v_add_u16_sdwa v6, v6, s18 dst_sel:WORD_1 dst_unused:UNUSED_PAD src0_sel:DWORD src1_sel:DWORD
	v_and_or_b32 v4, v4, s15, v5
	v_or_b32_e32 v10, v7, v6
	v_lshlrev_b16_e32 v6, 8, v4
	v_and_b32_e32 v5, 0x3f00, v4
	v_add_u16_e32 v6, 0xe000, v6
	v_or_b32_sdwa v5, v5, v6 dst_sel:DWORD dst_unused:UNUSED_PAD src0_sel:DWORD src1_sel:BYTE_1
	v_add_u16_e32 v11, 0xe000, v5
	v_and_b32_sdwa v12, v4, s17 dst_sel:DWORD dst_unused:UNUSED_PAD src0_sel:WORD_1 src1_sel:DWORD
	v_lshlrev_b16_sdwa v15, v205, v4 dst_sel:DWORD dst_unused:UNUSED_PAD src0_sel:DWORD src1_sel:WORD_1
	v_mad_u64_u32 v[4:5], s[20:21], v48, s5, v[2:3]
	v_lshl_add_u64 v[6:7], v[4:5], 0, v[18:19]
	v_lshl_add_u64 v[4:5], v[4:5], 0, v[20:21]
	global_load_dword v66, v[6:7], off
	global_load_dword v67, v[4:5], off offset:128
	v_add_u16_e32 v4, 0xe000, v15
	v_or_b32_sdwa v4, v12, v4 dst_sel:DWORD dst_unused:UNUSED_PAD src0_sel:DWORD src1_sel:BYTE_1
	v_add_u16_sdwa v4, v4, s18 dst_sel:WORD_1 dst_unused:UNUSED_PAD src0_sel:DWORD src1_sel:DWORD
	s_waitcnt vmcnt(4)
	v_ashrrev_i32_e32 v6, v141, v9
	v_or_b32_e32 v4, v11, v4
	ds_write2_b32 v154, v10, v4 offset1:16
	v_and_b32_e32 v4, 0xf0f0f0f, v8
	v_lshlrev_b32_e32 v7, 4, v6
	v_and_or_b32 v4, v7, s16, v4
	v_lshrrev_b32_e32 v5, 4, v8
	v_lshlrev_b16_e32 v8, 8, v4
	v_and_b32_e32 v7, 0x3f00, v4
	v_add_u16_e32 v8, 0xe000, v8
	v_or_b32_sdwa v7, v7, v8 dst_sel:DWORD dst_unused:UNUSED_PAD src0_sel:DWORD src1_sel:BYTE_1
	v_and_b32_sdwa v8, v4, s17 dst_sel:DWORD dst_unused:UNUSED_PAD src0_sel:WORD_1 src1_sel:DWORD
	v_lshlrev_b16_sdwa v4, v205, v4 dst_sel:DWORD dst_unused:UNUSED_PAD src0_sel:DWORD src1_sel:WORD_1
	v_add_u16_e32 v4, 0xe000, v4
	v_and_b32_e32 v6, 0x30303030, v6
	v_or_b32_sdwa v4, v8, v4 dst_sel:DWORD dst_unused:UNUSED_PAD src0_sel:DWORD src1_sel:BYTE_1
	v_add_u16_e32 v7, 0xe000, v7
	v_add_u16_sdwa v4, v4, s18 dst_sel:WORD_1 dst_unused:UNUSED_PAD src0_sel:DWORD src1_sel:DWORD
	v_and_or_b32 v5, v5, s15, v6
	v_or_b32_e32 v4, v7, v4
	v_lshlrev_b16_e32 v7, 8, v5
	v_and_b32_e32 v6, 0x3f00, v5
	v_add_u16_e32 v7, 0xe000, v7
	v_or_b32_sdwa v6, v6, v7 dst_sel:DWORD dst_unused:UNUSED_PAD src0_sel:DWORD src1_sel:BYTE_1
	v_and_b32_sdwa v7, v5, s17 dst_sel:DWORD dst_unused:UNUSED_PAD src0_sel:WORD_1 src1_sel:DWORD
	v_lshlrev_b16_sdwa v5, v205, v5 dst_sel:DWORD dst_unused:UNUSED_PAD src0_sel:DWORD src1_sel:WORD_1
	v_add_u16_e32 v5, 0xe000, v5
	v_or_b32_sdwa v5, v7, v5 dst_sel:DWORD dst_unused:UNUSED_PAD src0_sel:DWORD src1_sel:BYTE_1
	v_add_u16_e32 v6, 0xe000, v6
	v_add_u16_sdwa v5, v5, s18 dst_sel:WORD_1 dst_unused:UNUSED_PAD src0_sel:DWORD src1_sel:DWORD
	s_nop 0
	v_or_b32_e32 v5, v6, v5
	ds_write2_b32 v155, v4, v5 offset1:16
	v_mad_u64_u32 v[4:5], s[20:21], v50, s5, v[2:3]
	v_lshl_add_u64 v[6:7], v[4:5], 0, v[18:19]
	v_lshl_add_u64 v[4:5], v[4:5], 0, v[20:21]
	v_mad_u64_u32 v[2:3], s[20:21], v52, s5, v[2:3]
	v_lshl_add_u64 v[8:9], v[2:3], 0, v[18:19]
	v_lshl_add_u64 v[2:3], v[2:3], 0, v[20:21]
	global_load_dword v68, v[6:7], off
	global_load_dword v69, v[4:5], off offset:128
	global_load_dword v70, v[8:9], off
	global_load_dword v71, v[2:3], off offset:128
	s_mov_b32 s21, 0
	s_waitcnt vmcnt(7)
	v_and_b32_e32 v2, 0xf0f0f0f, v13
	s_waitcnt vmcnt(6)
	v_ashrrev_i32_e32 v4, v141, v14
	v_lshlrev_b32_e32 v5, 4, v4
	v_and_or_b32 v2, v5, s16, v2
	v_lshlrev_b16_e32 v6, 8, v2
	v_and_b32_e32 v5, 0x3f00, v2
	v_add_u16_e32 v6, 0xe000, v6
	v_or_b32_sdwa v5, v5, v6 dst_sel:DWORD dst_unused:UNUSED_PAD src0_sel:DWORD src1_sel:BYTE_1
	v_and_b32_sdwa v6, v2, s17 dst_sel:DWORD dst_unused:UNUSED_PAD src0_sel:WORD_1 src1_sel:DWORD
	v_lshlrev_b16_sdwa v2, v205, v2 dst_sel:DWORD dst_unused:UNUSED_PAD src0_sel:DWORD src1_sel:WORD_1
	v_add_u16_e32 v2, 0xe000, v2
	v_lshrrev_b32_e32 v3, 4, v13
	v_and_b32_e32 v4, 0x30303030, v4
	v_or_b32_sdwa v2, v6, v2 dst_sel:DWORD dst_unused:UNUSED_PAD src0_sel:DWORD src1_sel:BYTE_1
	v_add_u16_e32 v5, 0xe000, v5
	v_add_u16_sdwa v2, v2, s18 dst_sel:WORD_1 dst_unused:UNUSED_PAD src0_sel:DWORD src1_sel:DWORD
	v_and_or_b32 v3, v3, s15, v4
	v_or_b32_e32 v2, v5, v2
	v_lshlrev_b16_e32 v5, 8, v3
	v_and_b32_e32 v4, 0x3f00, v3
	v_add_u16_e32 v5, 0xe000, v5
	v_or_b32_sdwa v4, v4, v5 dst_sel:DWORD dst_unused:UNUSED_PAD src0_sel:DWORD src1_sel:BYTE_1
	v_and_b32_sdwa v5, v3, s17 dst_sel:DWORD dst_unused:UNUSED_PAD src0_sel:WORD_1 src1_sel:DWORD
	v_lshlrev_b16_sdwa v3, v205, v3 dst_sel:DWORD dst_unused:UNUSED_PAD src0_sel:DWORD src1_sel:WORD_1
	v_add_u16_e32 v3, 0xe000, v3
	v_or_b32_sdwa v3, v5, v3 dst_sel:DWORD dst_unused:UNUSED_PAD src0_sel:DWORD src1_sel:BYTE_1
	v_add_u16_e32 v4, 0xe000, v4
	v_add_u16_sdwa v3, v3, s18 dst_sel:WORD_1 dst_unused:UNUSED_PAD src0_sel:DWORD src1_sel:DWORD
	v_add_u32_e32 v14, s19, v167
	v_or_b32_e32 v3, v4, v3
	ds_write2_b32 v156, v2, v3 offset1:16
	s_waitcnt vmcnt(4)
	v_ashrrev_i32_e32 v4, v141, v67
	v_and_b32_e32 v2, 0xf0f0f0f, v66
	v_lshlrev_b32_e32 v5, 4, v4
	v_and_or_b32 v2, v5, s16, v2
	v_lshlrev_b16_e32 v6, 8, v2
	v_and_b32_e32 v5, 0x3f00, v2
	v_add_u16_e32 v6, 0xe000, v6
	v_or_b32_sdwa v5, v5, v6 dst_sel:DWORD dst_unused:UNUSED_PAD src0_sel:DWORD src1_sel:BYTE_1
	v_and_b32_sdwa v6, v2, s17 dst_sel:DWORD dst_unused:UNUSED_PAD src0_sel:WORD_1 src1_sel:DWORD
	v_lshlrev_b16_sdwa v2, v205, v2 dst_sel:DWORD dst_unused:UNUSED_PAD src0_sel:DWORD src1_sel:WORD_1
	v_lshrrev_b32_e32 v3, 4, v66
	v_and_b32_e32 v4, 0x30303030, v4
	v_add_u16_e32 v2, 0xe000, v2
	v_or_b32_sdwa v2, v6, v2 dst_sel:DWORD dst_unused:UNUSED_PAD src0_sel:DWORD src1_sel:BYTE_1
	v_and_or_b32 v73, v3, s15, v4
	v_add_u16_e32 v5, 0xe000, v5
	v_add_u16_sdwa v2, v2, s18 dst_sel:WORD_1 dst_unused:UNUSED_PAD src0_sel:DWORD src1_sel:DWORD
	v_lshlrev_b16_e32 v3, 8, v73
	v_or_b32_e32 v72, v5, v2
	v_and_b32_e32 v2, 0x3f00, v73
	v_add_u16_e32 v3, 0xe000, v3
	v_or_b32_sdwa v2, v2, v3 dst_sel:DWORD dst_unused:UNUSED_PAD src0_sel:DWORD src1_sel:BYTE_1
	v_add_u16_e32 v74, 0xe000, v2
	v_lshl_add_u64 v[2:3], s[0:1], 0, v[56:57]
	v_mad_u64_u32 v[4:5], s[0:1], v58, s5, v[2:3]
	v_mad_u64_u32 v[2:3], s[0:1], v60, s5, v[2:3]
	global_load_ushort v75, v[0:1], off offset:208
	global_load_dword v76, v[4:5], off offset:192
	global_load_dword v77, v[2:3], off offset:192
	v_add_u32_e32 v0, v14, v169
	v_add_u32_e32 v2, v14, v171
	;; [unrolled: 1-line block ×5, first 2 shown]
	v_mad_i64_i32 v[0:1], s[0:1], v0, 36, v[62:63]
	v_mad_i64_i32 v[2:3], s[0:1], v2, 36, v[62:63]
	;; [unrolled: 1-line block ×5, first 2 shown]
	v_add_u32_e32 v10, v14, v183
	v_add_u32_e32 v12, v14, v186
	;; [unrolled: 1-line block ×3, first 2 shown]
	v_mad_i64_i32 v[10:11], s[0:1], v10, 36, v[62:63]
	v_mad_i64_i32 v[12:13], s[0:1], v12, 36, v[62:63]
	;; [unrolled: 1-line block ×3, first 2 shown]
	v_mad_u64_u32 v[66:67], s[0:1], v206, 36, s[2:3]
	global_load_dword v0, v[0:1], off offset:4
	s_nop 0
	global_load_dword v1, v[2:3], off offset:4
	s_nop 0
	global_load_dword v2, v[4:5], off offset:4
	global_load_dword v3, v[6:7], off offset:4
	s_nop 0
	global_load_dword v4, v[8:9], off offset:4
	global_load_dword v5, v[66:67], off
	global_load_dword v6, v[10:11], off offset:4
	global_load_dword v7, v[12:13], off offset:4
	s_nop 0
	global_load_dword v8, v[14:15], off offset:4
	v_lshlrev_b16_sdwa v10, v205, v73 dst_sel:DWORD dst_unused:UNUSED_PAD src0_sel:DWORD src1_sel:WORD_1
	v_and_b32_sdwa v9, v73, s17 dst_sel:DWORD dst_unused:UNUSED_PAD src0_sel:WORD_1 src1_sel:DWORD
	v_add_u16_e32 v10, 0xe000, v10
	v_or_b32_sdwa v9, v9, v10 dst_sel:DWORD dst_unused:UNUSED_PAD src0_sel:DWORD src1_sel:BYTE_1
	v_add_u16_sdwa v9, v9, s18 dst_sel:WORD_1 dst_unused:UNUSED_PAD src0_sel:DWORD src1_sel:DWORD
	s_waitcnt vmcnt(14)
	v_ashrrev_i32_e32 v11, v141, v69
	v_or_b32_e32 v9, v74, v9
	ds_write2_b32 v157, v72, v9 offset1:16
	v_and_b32_e32 v9, 0xf0f0f0f, v68
	v_lshlrev_b32_e32 v12, 4, v11
	v_and_or_b32 v9, v12, s16, v9
	v_lshlrev_b16_e32 v13, 8, v9
	v_and_b32_e32 v12, 0x3f00, v9
	v_add_u16_e32 v13, 0xe000, v13
	v_or_b32_sdwa v12, v12, v13 dst_sel:DWORD dst_unused:UNUSED_PAD src0_sel:DWORD src1_sel:BYTE_1
	v_and_b32_sdwa v13, v9, s17 dst_sel:DWORD dst_unused:UNUSED_PAD src0_sel:WORD_1 src1_sel:DWORD
	v_lshlrev_b16_sdwa v9, v205, v9 dst_sel:DWORD dst_unused:UNUSED_PAD src0_sel:DWORD src1_sel:WORD_1
	v_add_u16_e32 v9, 0xe000, v9
	v_lshrrev_b32_e32 v10, 4, v68
	v_and_b32_e32 v11, 0x30303030, v11
	v_or_b32_sdwa v9, v13, v9 dst_sel:DWORD dst_unused:UNUSED_PAD src0_sel:DWORD src1_sel:BYTE_1
	v_add_u16_e32 v12, 0xe000, v12
	v_add_u16_sdwa v9, v9, s18 dst_sel:WORD_1 dst_unused:UNUSED_PAD src0_sel:DWORD src1_sel:DWORD
	v_and_or_b32 v10, v10, s15, v11
	v_or_b32_e32 v9, v12, v9
	v_lshlrev_b16_e32 v12, 8, v10
	v_and_b32_e32 v11, 0x3f00, v10
	v_add_u16_e32 v12, 0xe000, v12
	v_or_b32_sdwa v11, v11, v12 dst_sel:DWORD dst_unused:UNUSED_PAD src0_sel:DWORD src1_sel:BYTE_1
	v_and_b32_sdwa v12, v10, s17 dst_sel:DWORD dst_unused:UNUSED_PAD src0_sel:WORD_1 src1_sel:DWORD
	v_lshlrev_b16_sdwa v10, v205, v10 dst_sel:DWORD dst_unused:UNUSED_PAD src0_sel:DWORD src1_sel:WORD_1
	v_add_u16_e32 v10, 0xe000, v10
	v_or_b32_sdwa v10, v12, v10 dst_sel:DWORD dst_unused:UNUSED_PAD src0_sel:DWORD src1_sel:BYTE_1
	v_add_u16_e32 v11, 0xe000, v11
	v_add_u16_sdwa v10, v10, s18 dst_sel:WORD_1 dst_unused:UNUSED_PAD src0_sel:DWORD src1_sel:DWORD
	s_mov_b64 s[0:1], -1
	v_or_b32_e32 v10, v11, v10
	s_waitcnt vmcnt(12)
	v_ashrrev_i32_e32 v11, v141, v71
	ds_write2_b32 v158, v9, v10 offset1:16
	v_and_b32_e32 v9, 0xf0f0f0f, v70
	v_lshlrev_b32_e32 v12, 4, v11
	v_and_or_b32 v9, v12, s16, v9
	v_lshlrev_b16_e32 v13, 8, v9
	v_and_b32_e32 v12, 0x3f00, v9
	v_add_u16_e32 v13, 0xe000, v13
	v_or_b32_sdwa v12, v12, v13 dst_sel:DWORD dst_unused:UNUSED_PAD src0_sel:DWORD src1_sel:BYTE_1
	v_and_b32_sdwa v13, v9, s17 dst_sel:DWORD dst_unused:UNUSED_PAD src0_sel:WORD_1 src1_sel:DWORD
	v_lshlrev_b16_sdwa v9, v205, v9 dst_sel:DWORD dst_unused:UNUSED_PAD src0_sel:DWORD src1_sel:WORD_1
	v_add_u16_e32 v9, 0xe000, v9
	v_lshrrev_b32_e32 v10, 4, v70
	v_and_b32_e32 v11, 0x30303030, v11
	v_or_b32_sdwa v9, v13, v9 dst_sel:DWORD dst_unused:UNUSED_PAD src0_sel:DWORD src1_sel:BYTE_1
	v_add_u16_e32 v12, 0xe000, v12
	v_add_u16_sdwa v9, v9, s18 dst_sel:WORD_1 dst_unused:UNUSED_PAD src0_sel:DWORD src1_sel:DWORD
	v_and_or_b32 v10, v10, s15, v11
	v_or_b32_e32 v9, v12, v9
	v_lshlrev_b16_e32 v12, 8, v10
	v_and_b32_e32 v11, 0x3f00, v10
	v_add_u16_e32 v12, 0xe000, v12
	v_or_b32_sdwa v11, v11, v12 dst_sel:DWORD dst_unused:UNUSED_PAD src0_sel:DWORD src1_sel:BYTE_1
	v_and_b32_sdwa v12, v10, s17 dst_sel:DWORD dst_unused:UNUSED_PAD src0_sel:WORD_1 src1_sel:DWORD
	v_lshlrev_b16_sdwa v10, v205, v10 dst_sel:DWORD dst_unused:UNUSED_PAD src0_sel:DWORD src1_sel:WORD_1
	v_add_u16_e32 v10, 0xe000, v10
	v_or_b32_sdwa v10, v12, v10 dst_sel:DWORD dst_unused:UNUSED_PAD src0_sel:DWORD src1_sel:BYTE_1
	s_waitcnt vmcnt(11)
	v_cvt_f32_f16_e32 v12, v75
	v_add_u16_e32 v11, 0xe000, v11
	v_add_u16_sdwa v10, v10, s18 dst_sel:WORD_1 dst_unused:UNUSED_PAD src0_sel:DWORD src1_sel:DWORD
	s_nop 0
	v_or_b32_e32 v10, v11, v10
	ds_write2_b32 v159, v9, v10 offset1:16
	ds_write_b32 v162, v12
	s_waitcnt vmcnt(10)
	ds_write_b32 v163, v76
	s_waitcnt vmcnt(9)
	;; [unrolled: 2-line block ×8, first 2 shown]
	v_cvt_f32_f16_e32 v0, v5
	s_waitcnt vmcnt(2)
	ds_write_b32 v185, v6
	s_waitcnt vmcnt(1)
	ds_write_b32 v188, v7
	;; [unrolled: 2-line block ×3, first 2 shown]
	ds_write_b32 v166, v0
	s_waitcnt lgkmcnt(0)
	s_barrier
	ds_read_b32 v207, v192
	ds_read_b32 v208, v194 offset:128
	ds_read_b32 v209, v195 offset:256
	;; [unrolled: 1-line block ×3, first 2 shown]
.LBB175_6:                              ;   Parent Loop BB175_5 Depth=1
                                        ; =>  This Inner Loop Header: Depth=2
	s_lshl_b32 s20, s21, 1
	v_or_b32_e32 v0, s20, v160
	v_lshlrev_b32_e32 v12, 2, v0
	s_lshr_b32 s22, s21, 1
	s_lshl_b32 s21, s21, 3
	v_lshrrev_b32_e32 v66, 1, v0
	ds_read_b128 v[0:3], v12 offset:33280
	ds_read_b128 v[4:7], v12 offset:33296
	;; [unrolled: 1-line block ×4, first 2 shown]
	ds_read_b64 v[130:131], v66 offset:43584
	v_add_u32_e32 v74, s22, v197
	v_add_u32_e32 v75, s21, v198
	ds_read2_b32 v[70:71], v75 offset0:6 offset1:7
	ds_read2_b32 v[72:73], v75 offset0:4 offset1:5
	;; [unrolled: 1-line block ×3, first 2 shown]
	ds_read2_b32 v[68:69], v75 offset1:1
	ds_read_b32 v76, v74
	ds_read2_b32 v[126:127], v75 offset0:14 offset1:15
	ds_read2_b32 v[128:129], v75 offset0:12 offset1:13
	v_mov_b32_e32 v74, 0
	ds_read2_b32 v[82:83], v75 offset0:10 offset1:11
	ds_read2_b32 v[84:85], v75 offset0:8 offset1:9
	s_waitcnt lgkmcnt(7)
	v_dot4c_i32_i8_e32 v74, v72, v4
	v_mov_b32_e32 v75, 0
	v_dot4c_i32_i8_e32 v74, v73, v5
	s_waitcnt lgkmcnt(5)
	v_dot4c_i32_i8_e32 v75, v68, v0
	v_dot4c_i32_i8_e32 v74, v70, v6
	;; [unrolled: 1-line block ×4, first 2 shown]
	s_waitcnt lgkmcnt(4)
	v_bfe_i32 v211, v76, 8, 8
	v_dot4c_i32_i8_e32 v75, v66, v2
	v_dot4c_i32_i8_e32 v75, v67, v3
	v_mul_lo_u32 v74, v74, v211
	v_bfe_i32 v212, v76, 0, 8
	v_mov_b32_e32 v77, 0
	v_mad_u64_u32 v[74:75], s[24:25], v75, v212, v[74:75]
	s_waitcnt lgkmcnt(2)
	v_dot4c_i32_i8_e32 v77, v128, v12
	v_mov_b32_e32 v78, 0
	v_cvt_f32_i32_e32 v74, v74
	v_dot4c_i32_i8_e32 v77, v129, v13
	s_waitcnt lgkmcnt(0)
	v_dot4c_i32_i8_e32 v78, v84, v8
	v_dot4c_i32_i8_e32 v77, v126, v14
	;; [unrolled: 1-line block ×5, first 2 shown]
	v_ashrrev_i32_e32 v214, 24, v76
	v_dot4c_i32_i8_e32 v78, v83, v11
	v_fma_f32 v79, v130, v74, 0
	v_bfe_i32 v213, v76, 16, 8
	v_mul_lo_u32 v74, v77, v214
	v_mad_u64_u32 v[74:75], s[24:25], v78, v213, v[74:75]
	v_cvt_f32_i32_e32 v74, v74
	v_add_u32_e32 v86, s22, v199
	v_add_u32_e32 v90, s21, v200
	v_mov_b32_e32 v91, 0
	v_fmac_f32_e32 v79, v131, v74
	v_fmac_f32_e32 v168, v207, v79
	ds_read2_b32 v[78:79], v90 offset0:6 offset1:7
	ds_read2_b32 v[80:81], v90 offset0:4 offset1:5
	;; [unrolled: 1-line block ×3, first 2 shown]
	ds_read2_b32 v[76:77], v90 offset1:1
	ds_read_b32 v92, v86
	ds_read2_b32 v[86:87], v90 offset0:14 offset1:15
	ds_read2_b32 v[88:89], v90 offset0:12 offset1:13
	;; [unrolled: 1-line block ×4, first 2 shown]
	v_mov_b32_e32 v90, 0
	s_waitcnt lgkmcnt(7)
	v_dot4c_i32_i8_e32 v90, v80, v4
	v_dot4c_i32_i8_e32 v90, v81, v5
	s_waitcnt lgkmcnt(5)
	v_dot4c_i32_i8_e32 v91, v76, v0
	v_dot4c_i32_i8_e32 v90, v78, v6
	;; [unrolled: 1-line block ×4, first 2 shown]
	s_waitcnt lgkmcnt(4)
	v_bfe_i32 v215, v92, 8, 8
	v_dot4c_i32_i8_e32 v91, v74, v2
	v_dot4c_i32_i8_e32 v91, v75, v3
	v_mul_lo_u32 v90, v90, v215
	v_bfe_i32 v216, v92, 0, 8
	v_mov_b32_e32 v93, 0
	v_mad_u64_u32 v[90:91], s[24:25], v91, v216, v[90:91]
	s_waitcnt lgkmcnt(2)
	v_dot4c_i32_i8_e32 v93, v88, v12
	v_mov_b32_e32 v94, 0
	v_cvt_f32_i32_e32 v90, v90
	v_dot4c_i32_i8_e32 v93, v89, v13
	s_waitcnt lgkmcnt(0)
	v_dot4c_i32_i8_e32 v94, v104, v8
	v_dot4c_i32_i8_e32 v93, v86, v14
	;; [unrolled: 1-line block ×5, first 2 shown]
	v_ashrrev_i32_e32 v218, 24, v92
	v_dot4c_i32_i8_e32 v94, v101, v11
	v_fma_f32 v95, v130, v90, 0
	v_bfe_i32 v217, v92, 16, 8
	v_mul_lo_u32 v90, v93, v218
	v_mad_u64_u32 v[90:91], s[24:25], v94, v217, v[90:91]
	v_cvt_f32_i32_e32 v90, v90
	v_add_u32_e32 v98, s22, v201
	v_add_u32_e32 v99, s21, v202
	v_mov_b32_e32 v103, 0
	v_fmac_f32_e32 v95, v131, v90
	v_fmac_f32_e32 v164, v208, v95
	ds_read2_b32 v[94:95], v99 offset0:6 offset1:7
	ds_read2_b32 v[96:97], v99 offset0:4 offset1:5
	ds_read2_b32 v[90:91], v99 offset0:2 offset1:3
	ds_read2_b32 v[92:93], v99 offset1:1
	ds_read_b32 v102, v98
	ds_read2_b32 v[106:107], v99 offset0:14 offset1:15
	ds_read2_b32 v[108:109], v99 offset0:12 offset1:13
	v_mov_b32_e32 v98, 0
	ds_read2_b32 v[116:117], v99 offset0:10 offset1:11
	ds_read2_b32 v[120:121], v99 offset0:8 offset1:9
	s_waitcnt lgkmcnt(7)
	v_dot4c_i32_i8_e32 v98, v96, v4
	v_mov_b32_e32 v99, 0
	v_dot4c_i32_i8_e32 v98, v97, v5
	s_waitcnt lgkmcnt(5)
	v_dot4c_i32_i8_e32 v99, v92, v0
	v_dot4c_i32_i8_e32 v98, v94, v6
	;; [unrolled: 1-line block ×4, first 2 shown]
	s_waitcnt lgkmcnt(4)
	v_bfe_i32 v219, v102, 8, 8
	v_dot4c_i32_i8_e32 v99, v90, v2
	v_dot4c_i32_i8_e32 v99, v91, v3
	v_mul_lo_u32 v98, v98, v219
	v_bfe_i32 v220, v102, 0, 8
	s_waitcnt lgkmcnt(2)
	v_dot4c_i32_i8_e32 v103, v108, v12
	v_mad_u64_u32 v[98:99], s[24:25], v99, v220, v[98:99]
	v_mov_b32_e32 v110, 0
	v_cvt_f32_i32_e32 v98, v98
	v_dot4c_i32_i8_e32 v103, v109, v13
	s_waitcnt lgkmcnt(0)
	v_dot4c_i32_i8_e32 v110, v120, v8
	v_dot4c_i32_i8_e32 v103, v106, v14
	;; [unrolled: 1-line block ×5, first 2 shown]
	v_ashrrev_i32_e32 v222, 24, v102
	v_dot4c_i32_i8_e32 v110, v117, v11
	v_fma_f32 v111, v130, v98, 0
	v_bfe_i32 v221, v102, 16, 8
	v_mul_lo_u32 v98, v103, v222
	v_mad_u64_u32 v[98:99], s[24:25], v110, v221, v[98:99]
	v_cvt_f32_i32_e32 v98, v98
	v_add_u32_e32 v114, s22, v203
	v_add_u32_e32 v124, s21, v204
	v_mov_b32_e32 v227, 0
	v_fmac_f32_e32 v111, v131, v98
	v_fmac_f32_e32 v161, v209, v111
	ds_read2_b32 v[110:111], v124 offset0:6 offset1:7
	ds_read2_b32 v[112:113], v124 offset0:4 offset1:5
	;; [unrolled: 1-line block ×3, first 2 shown]
	ds_read2_b32 v[102:103], v124 offset1:1
	ds_read_b32 v226, v114
	ds_read2_b32 v[114:115], v124 offset0:14 offset1:15
	ds_read2_b32 v[118:119], v124 offset0:12 offset1:13
	ds_read2_b32 v[122:123], v124 offset0:10 offset1:11
	ds_read2_b32 v[124:125], v124 offset0:8 offset1:9
	v_mov_b32_e32 v228, 0
	s_waitcnt lgkmcnt(4)
	v_bfe_i32 v223, v226, 8, 8
	v_bfe_i32 v224, v226, 0, 8
	s_waitcnt lgkmcnt(2)
	v_dot4c_i32_i8_e32 v227, v118, v12
	v_mov_b32_e32 v12, 0
	s_waitcnt lgkmcnt(0)
	v_dot4c_i32_i8_e32 v12, v124, v8
	v_mov_b32_e32 v8, 0
	v_dot4c_i32_i8_e32 v8, v112, v4
	v_dot4c_i32_i8_e32 v8, v113, v5
	v_mov_b32_e32 v5, 0
	v_dot4c_i32_i8_e32 v5, v102, v0
	v_dot4c_i32_i8_e32 v8, v110, v6
	;; [unrolled: 1-line block ×7, first 2 shown]
	v_mul_lo_u32 v4, v8, v223
	v_dot4c_i32_i8_e32 v227, v114, v14
	v_mad_u64_u32 v[0:1], s[22:23], v5, v224, v[4:5]
	v_cvt_f32_i32_e32 v0, v0
	v_dot4c_i32_i8_e32 v12, v125, v9
	v_dot4c_i32_i8_e32 v227, v115, v15
	;; [unrolled: 1-line block ×3, first 2 shown]
	v_bfe_i32 v225, v226, 16, 8
	v_ashrrev_i32_e32 v226, 24, v226
	v_dot4c_i32_i8_e32 v12, v123, v11
	v_fma_f32 v2, v130, v0, 0
	v_mul_lo_u32 v0, v227, v226
	v_mov_b32_e32 v229, 0
	v_mad_u64_u32 v[0:1], s[22:23], v12, v225, v[0:1]
	v_cvt_f32_i32_e32 v0, v0
	v_mov_b32_e32 v227, 0
	v_mov_b32_e32 v230, 0
	s_and_b64 vcc, exec, s[0:1]
	v_fmac_f32_e32 v2, v131, v0
	v_or_b32_e32 v0, s20, v172
	v_lshlrev_b32_e32 v12, 2, v0
	v_lshrrev_b32_e32 v130, 1, v0
	v_fmac_f32_e32 v152, v210, v2
	ds_read_b128 v[0:3], v12 offset:33280
	ds_read_b128 v[4:7], v12 offset:33296
	;; [unrolled: 1-line block ×4, first 2 shown]
	ds_read_b64 v[130:131], v130 offset:43584
	s_waitcnt lgkmcnt(4)
	v_dot4c_i32_i8_e32 v229, v68, v0
	s_waitcnt lgkmcnt(3)
	v_dot4c_i32_i8_e32 v228, v72, v4
	v_dot4c_i32_i8_e32 v228, v73, v5
	;; [unrolled: 1-line block ×7, first 2 shown]
	s_waitcnt lgkmcnt(1)
	v_dot4c_i32_i8_e32 v227, v128, v12
	v_mul_lo_u32 v228, v228, v211
	v_dot4c_i32_i8_e32 v227, v129, v13
	v_mad_u64_u32 v[228:229], s[22:23], v229, v212, v[228:229]
	v_cvt_f32_i32_e32 v228, v228
	v_dot4c_i32_i8_e32 v230, v84, v8
	v_dot4c_i32_i8_e32 v227, v126, v14
	;; [unrolled: 1-line block ×6, first 2 shown]
	s_waitcnt lgkmcnt(0)
	v_fma_f32 v231, v130, v228, 0
	v_mul_lo_u32 v228, v227, v214
	s_mov_b64 s[0:1], 0
	v_mad_u64_u32 v[228:229], s[22:23], v230, v213, v[228:229]
	v_cvt_f32_i32_e32 v227, v228
	v_mov_b32_e32 v228, 0
	v_dot4c_i32_i8_e32 v228, v80, v4
	v_mov_b32_e32 v229, 0
	v_dot4c_i32_i8_e32 v228, v81, v5
	v_dot4c_i32_i8_e32 v229, v76, v0
	;; [unrolled: 1-line block ×7, first 2 shown]
	v_fmac_f32_e32 v231, v131, v227
	v_mul_lo_u32 v228, v228, v215
	v_mov_b32_e32 v227, 0
	v_mad_u64_u32 v[228:229], s[22:23], v229, v216, v[228:229]
	v_dot4c_i32_i8_e32 v227, v88, v12
	v_mov_b32_e32 v230, 0
	v_cvt_f32_i32_e32 v228, v228
	v_dot4c_i32_i8_e32 v227, v89, v13
	v_dot4c_i32_i8_e32 v230, v104, v8
	;; [unrolled: 1-line block ×6, first 2 shown]
	v_fmac_f32_e32 v142, v207, v231
	v_dot4c_i32_i8_e32 v230, v101, v11
	v_fma_f32 v231, v130, v228, 0
	v_mul_lo_u32 v228, v227, v218
	s_nop 0
	v_mad_u64_u32 v[228:229], s[22:23], v230, v217, v[228:229]
	v_cvt_f32_i32_e32 v227, v228
	v_mov_b32_e32 v228, 0
	v_dot4c_i32_i8_e32 v228, v96, v4
	v_mov_b32_e32 v229, 0
	v_dot4c_i32_i8_e32 v228, v97, v5
	v_dot4c_i32_i8_e32 v229, v92, v0
	;; [unrolled: 1-line block ×7, first 2 shown]
	v_fmac_f32_e32 v231, v131, v227
	v_mul_lo_u32 v228, v228, v219
	v_mov_b32_e32 v227, 0
	v_mad_u64_u32 v[228:229], s[22:23], v229, v220, v[228:229]
	v_dot4c_i32_i8_e32 v227, v108, v12
	v_mov_b32_e32 v230, 0
	v_cvt_f32_i32_e32 v228, v228
	v_dot4c_i32_i8_e32 v227, v109, v13
	v_dot4c_i32_i8_e32 v230, v120, v8
	;; [unrolled: 1-line block ×6, first 2 shown]
	v_fmac_f32_e32 v140, v208, v231
	v_dot4c_i32_i8_e32 v230, v117, v11
	v_fma_f32 v231, v130, v228, 0
	v_mul_lo_u32 v228, v227, v222
	s_nop 0
	v_mad_u64_u32 v[228:229], s[22:23], v230, v221, v[228:229]
	v_cvt_f32_i32_e32 v227, v228
	v_mov_b32_e32 v228, 0
	v_mov_b32_e32 v229, 0
	;; [unrolled: 1-line block ×3, first 2 shown]
	v_fmac_f32_e32 v231, v131, v227
	v_mov_b32_e32 v227, 0
	v_dot4c_i32_i8_e32 v227, v118, v12
	v_mov_b32_e32 v12, 0
	v_dot4c_i32_i8_e32 v12, v124, v8
	v_mov_b32_e32 v8, 0
	v_dot4c_i32_i8_e32 v8, v112, v4
	v_dot4c_i32_i8_e32 v8, v113, v5
	v_mov_b32_e32 v5, 0
	v_dot4c_i32_i8_e32 v5, v102, v0
	v_dot4c_i32_i8_e32 v8, v110, v6
	;; [unrolled: 1-line block ×7, first 2 shown]
	v_mul_lo_u32 v4, v8, v223
	v_dot4c_i32_i8_e32 v227, v114, v14
	v_mad_u64_u32 v[0:1], s[22:23], v5, v224, v[4:5]
	v_cvt_f32_i32_e32 v0, v0
	v_dot4c_i32_i8_e32 v12, v125, v9
	v_dot4c_i32_i8_e32 v227, v115, v15
	;; [unrolled: 1-line block ×4, first 2 shown]
	v_fma_f32 v2, v130, v0, 0
	v_mul_lo_u32 v0, v227, v226
	v_mov_b32_e32 v227, 0
	v_mad_u64_u32 v[0:1], s[22:23], v12, v225, v[0:1]
	v_cvt_f32_i32_e32 v0, v0
	v_fmac_f32_e32 v139, v209, v231
	v_fmac_f32_e32 v2, v131, v0
	v_or_b32_e32 v0, s20, v175
	v_lshlrev_b32_e32 v12, 2, v0
	v_lshrrev_b32_e32 v130, 1, v0
	v_fmac_f32_e32 v137, v210, v2
	ds_read_b128 v[0:3], v12 offset:33280
	ds_read_b128 v[4:7], v12 offset:33296
	;; [unrolled: 1-line block ×4, first 2 shown]
	ds_read_b64 v[130:131], v130 offset:43584
	s_waitcnt lgkmcnt(4)
	v_dot4c_i32_i8_e32 v229, v68, v0
	s_waitcnt lgkmcnt(3)
	v_dot4c_i32_i8_e32 v228, v72, v4
	v_dot4c_i32_i8_e32 v228, v73, v5
	;; [unrolled: 1-line block ×7, first 2 shown]
	s_waitcnt lgkmcnt(1)
	v_dot4c_i32_i8_e32 v227, v128, v12
	v_mul_lo_u32 v228, v228, v211
	v_dot4c_i32_i8_e32 v227, v129, v13
	v_mad_u64_u32 v[228:229], s[22:23], v229, v212, v[228:229]
	v_cvt_f32_i32_e32 v228, v228
	v_dot4c_i32_i8_e32 v230, v84, v8
	v_dot4c_i32_i8_e32 v227, v126, v14
	;; [unrolled: 1-line block ×6, first 2 shown]
	s_waitcnt lgkmcnt(0)
	v_fma_f32 v231, v130, v228, 0
	v_mul_lo_u32 v228, v227, v214
	v_mad_u64_u32 v[228:229], s[22:23], v230, v213, v[228:229]
	v_cvt_f32_i32_e32 v227, v228
	v_mov_b32_e32 v228, 0
	v_dot4c_i32_i8_e32 v228, v80, v4
	v_mov_b32_e32 v229, 0
	v_dot4c_i32_i8_e32 v228, v81, v5
	v_dot4c_i32_i8_e32 v229, v76, v0
	;; [unrolled: 1-line block ×7, first 2 shown]
	v_fmac_f32_e32 v231, v131, v227
	v_mul_lo_u32 v228, v228, v215
	v_mov_b32_e32 v227, 0
	v_mad_u64_u32 v[228:229], s[22:23], v229, v216, v[228:229]
	v_dot4c_i32_i8_e32 v227, v88, v12
	v_mov_b32_e32 v230, 0
	v_cvt_f32_i32_e32 v228, v228
	v_dot4c_i32_i8_e32 v227, v89, v13
	v_dot4c_i32_i8_e32 v230, v104, v8
	;; [unrolled: 1-line block ×6, first 2 shown]
	v_fmac_f32_e32 v136, v207, v231
	v_dot4c_i32_i8_e32 v230, v101, v11
	v_fma_f32 v231, v130, v228, 0
	v_mul_lo_u32 v228, v227, v218
	s_nop 0
	v_mad_u64_u32 v[228:229], s[22:23], v230, v217, v[228:229]
	v_cvt_f32_i32_e32 v227, v228
	v_mov_b32_e32 v228, 0
	v_dot4c_i32_i8_e32 v228, v96, v4
	v_mov_b32_e32 v229, 0
	v_dot4c_i32_i8_e32 v228, v97, v5
	v_dot4c_i32_i8_e32 v229, v92, v0
	;; [unrolled: 1-line block ×7, first 2 shown]
	v_fmac_f32_e32 v231, v131, v227
	v_mul_lo_u32 v228, v228, v219
	v_mov_b32_e32 v227, 0
	v_mad_u64_u32 v[228:229], s[22:23], v229, v220, v[228:229]
	v_dot4c_i32_i8_e32 v227, v108, v12
	v_mov_b32_e32 v230, 0
	v_cvt_f32_i32_e32 v228, v228
	v_dot4c_i32_i8_e32 v227, v109, v13
	v_dot4c_i32_i8_e32 v230, v120, v8
	;; [unrolled: 1-line block ×6, first 2 shown]
	v_fmac_f32_e32 v135, v208, v231
	v_dot4c_i32_i8_e32 v230, v117, v11
	v_fma_f32 v231, v130, v228, 0
	v_mul_lo_u32 v228, v227, v222
	s_nop 0
	v_mad_u64_u32 v[228:229], s[22:23], v230, v221, v[228:229]
	v_cvt_f32_i32_e32 v227, v228
	v_mov_b32_e32 v228, 0
	v_mov_b32_e32 v229, 0
	;; [unrolled: 1-line block ×3, first 2 shown]
	v_fmac_f32_e32 v231, v131, v227
	v_mov_b32_e32 v227, 0
	v_dot4c_i32_i8_e32 v227, v118, v12
	v_mov_b32_e32 v12, 0
	v_dot4c_i32_i8_e32 v12, v124, v8
	;; [unrolled: 2-line block ×3, first 2 shown]
	v_dot4c_i32_i8_e32 v8, v113, v5
	v_mov_b32_e32 v5, 0
	v_dot4c_i32_i8_e32 v5, v102, v0
	v_dot4c_i32_i8_e32 v8, v110, v6
	v_dot4c_i32_i8_e32 v5, v103, v1
	v_dot4c_i32_i8_e32 v8, v111, v7
	v_dot4c_i32_i8_e32 v5, v98, v2
	v_dot4c_i32_i8_e32 v5, v99, v3
	v_dot4c_i32_i8_e32 v227, v119, v13
	v_mul_lo_u32 v4, v8, v223
	v_dot4c_i32_i8_e32 v227, v114, v14
	v_mad_u64_u32 v[0:1], s[22:23], v5, v224, v[4:5]
	v_cvt_f32_i32_e32 v0, v0
	v_dot4c_i32_i8_e32 v12, v125, v9
	v_dot4c_i32_i8_e32 v227, v115, v15
	v_dot4c_i32_i8_e32 v12, v122, v10
	v_dot4c_i32_i8_e32 v12, v123, v11
	v_fma_f32 v2, v130, v0, 0
	v_mul_lo_u32 v0, v227, v226
	v_mov_b32_e32 v227, 0
	v_mad_u64_u32 v[0:1], s[22:23], v12, v225, v[0:1]
	v_cvt_f32_i32_e32 v0, v0
	v_fmac_f32_e32 v133, v209, v231
	v_fmac_f32_e32 v2, v131, v0
	v_or_b32_e32 v0, s20, v178
	v_lshlrev_b32_e32 v12, 2, v0
	v_lshrrev_b32_e32 v130, 1, v0
	v_fmac_f32_e32 v65, v210, v2
	ds_read_b128 v[0:3], v12 offset:33280
	ds_read_b128 v[4:7], v12 offset:33296
	;; [unrolled: 1-line block ×4, first 2 shown]
	ds_read_b64 v[130:131], v130 offset:43584
	s_waitcnt lgkmcnt(4)
	v_dot4c_i32_i8_e32 v229, v68, v0
	s_waitcnt lgkmcnt(3)
	v_dot4c_i32_i8_e32 v228, v72, v4
	v_dot4c_i32_i8_e32 v228, v73, v5
	v_dot4c_i32_i8_e32 v228, v70, v6
	v_dot4c_i32_i8_e32 v229, v69, v1
	v_dot4c_i32_i8_e32 v228, v71, v7
	v_dot4c_i32_i8_e32 v229, v66, v2
	v_dot4c_i32_i8_e32 v229, v67, v3
	s_waitcnt lgkmcnt(1)
	v_dot4c_i32_i8_e32 v227, v128, v12
	v_mul_lo_u32 v228, v228, v211
	v_dot4c_i32_i8_e32 v227, v129, v13
	v_mad_u64_u32 v[228:229], s[22:23], v229, v212, v[228:229]
	v_cvt_f32_i32_e32 v228, v228
	v_dot4c_i32_i8_e32 v230, v84, v8
	v_dot4c_i32_i8_e32 v227, v126, v14
	;; [unrolled: 1-line block ×6, first 2 shown]
	s_waitcnt lgkmcnt(0)
	v_fma_f32 v231, v130, v228, 0
	v_mul_lo_u32 v228, v227, v214
	v_mad_u64_u32 v[228:229], s[22:23], v230, v213, v[228:229]
	v_cvt_f32_i32_e32 v227, v228
	v_mov_b32_e32 v228, 0
	v_dot4c_i32_i8_e32 v228, v80, v4
	v_mov_b32_e32 v229, 0
	v_dot4c_i32_i8_e32 v228, v81, v5
	v_dot4c_i32_i8_e32 v229, v76, v0
	;; [unrolled: 1-line block ×7, first 2 shown]
	v_fmac_f32_e32 v231, v131, v227
	v_mul_lo_u32 v228, v228, v215
	v_mov_b32_e32 v227, 0
	v_mad_u64_u32 v[228:229], s[22:23], v229, v216, v[228:229]
	v_dot4c_i32_i8_e32 v227, v88, v12
	v_mov_b32_e32 v230, 0
	v_cvt_f32_i32_e32 v228, v228
	v_dot4c_i32_i8_e32 v227, v89, v13
	v_dot4c_i32_i8_e32 v230, v104, v8
	;; [unrolled: 1-line block ×6, first 2 shown]
	v_fmac_f32_e32 v61, v207, v231
	v_dot4c_i32_i8_e32 v230, v101, v11
	v_fma_f32 v231, v130, v228, 0
	v_mul_lo_u32 v228, v227, v218
	s_nop 0
	v_mad_u64_u32 v[228:229], s[22:23], v230, v217, v[228:229]
	v_cvt_f32_i32_e32 v227, v228
	v_mov_b32_e32 v228, 0
	v_dot4c_i32_i8_e32 v228, v96, v4
	v_mov_b32_e32 v229, 0
	v_dot4c_i32_i8_e32 v228, v97, v5
	v_dot4c_i32_i8_e32 v229, v92, v0
	;; [unrolled: 1-line block ×7, first 2 shown]
	v_fmac_f32_e32 v231, v131, v227
	v_mul_lo_u32 v228, v228, v219
	v_mov_b32_e32 v227, 0
	v_mad_u64_u32 v[228:229], s[22:23], v229, v220, v[228:229]
	v_dot4c_i32_i8_e32 v227, v108, v12
	v_mov_b32_e32 v230, 0
	v_cvt_f32_i32_e32 v228, v228
	v_dot4c_i32_i8_e32 v227, v109, v13
	v_dot4c_i32_i8_e32 v230, v120, v8
	;; [unrolled: 1-line block ×6, first 2 shown]
	v_fmac_f32_e32 v59, v208, v231
	v_dot4c_i32_i8_e32 v230, v117, v11
	v_fma_f32 v231, v130, v228, 0
	v_mul_lo_u32 v228, v227, v222
	s_nop 0
	v_mad_u64_u32 v[228:229], s[22:23], v230, v221, v[228:229]
	v_cvt_f32_i32_e32 v227, v228
	v_mov_b32_e32 v228, 0
	v_mov_b32_e32 v229, 0
	;; [unrolled: 1-line block ×3, first 2 shown]
	v_fmac_f32_e32 v231, v131, v227
	v_mov_b32_e32 v227, 0
	v_dot4c_i32_i8_e32 v227, v118, v12
	v_mov_b32_e32 v12, 0
	v_dot4c_i32_i8_e32 v12, v124, v8
	v_mov_b32_e32 v8, 0
	v_dot4c_i32_i8_e32 v8, v112, v4
	v_dot4c_i32_i8_e32 v8, v113, v5
	v_mov_b32_e32 v5, 0
	v_dot4c_i32_i8_e32 v5, v102, v0
	v_dot4c_i32_i8_e32 v8, v110, v6
	;; [unrolled: 1-line block ×7, first 2 shown]
	v_mul_lo_u32 v4, v8, v223
	v_dot4c_i32_i8_e32 v227, v114, v14
	v_mad_u64_u32 v[0:1], s[22:23], v5, v224, v[4:5]
	v_cvt_f32_i32_e32 v0, v0
	v_dot4c_i32_i8_e32 v12, v125, v9
	v_dot4c_i32_i8_e32 v227, v115, v15
	;; [unrolled: 1-line block ×4, first 2 shown]
	v_fma_f32 v2, v130, v0, 0
	v_mul_lo_u32 v0, v227, v226
	v_mov_b32_e32 v227, 0
	v_mad_u64_u32 v[0:1], s[22:23], v12, v225, v[0:1]
	v_cvt_f32_i32_e32 v0, v0
	v_fmac_f32_e32 v55, v209, v231
	v_fmac_f32_e32 v2, v131, v0
	v_or_b32_e32 v0, s20, v181
	v_lshlrev_b32_e32 v12, 2, v0
	v_lshrrev_b32_e32 v130, 1, v0
	v_fmac_f32_e32 v53, v210, v2
	ds_read_b128 v[0:3], v12 offset:33280
	ds_read_b128 v[4:7], v12 offset:33296
	;; [unrolled: 1-line block ×4, first 2 shown]
	ds_read_b64 v[130:131], v130 offset:43584
	s_waitcnt lgkmcnt(4)
	v_dot4c_i32_i8_e32 v229, v68, v0
	s_waitcnt lgkmcnt(3)
	v_dot4c_i32_i8_e32 v228, v72, v4
	v_dot4c_i32_i8_e32 v228, v73, v5
	;; [unrolled: 1-line block ×7, first 2 shown]
	s_waitcnt lgkmcnt(1)
	v_dot4c_i32_i8_e32 v227, v128, v12
	v_mul_lo_u32 v228, v228, v211
	v_dot4c_i32_i8_e32 v227, v129, v13
	v_mad_u64_u32 v[228:229], s[22:23], v229, v212, v[228:229]
	v_cvt_f32_i32_e32 v228, v228
	v_dot4c_i32_i8_e32 v230, v84, v8
	v_dot4c_i32_i8_e32 v227, v126, v14
	;; [unrolled: 1-line block ×6, first 2 shown]
	s_waitcnt lgkmcnt(0)
	v_fma_f32 v231, v130, v228, 0
	v_mul_lo_u32 v228, v227, v214
	v_mad_u64_u32 v[228:229], s[22:23], v230, v213, v[228:229]
	v_cvt_f32_i32_e32 v227, v228
	v_mov_b32_e32 v228, 0
	v_dot4c_i32_i8_e32 v228, v80, v4
	v_mov_b32_e32 v229, 0
	v_dot4c_i32_i8_e32 v228, v81, v5
	v_dot4c_i32_i8_e32 v229, v76, v0
	;; [unrolled: 1-line block ×7, first 2 shown]
	v_fmac_f32_e32 v231, v131, v227
	v_mul_lo_u32 v228, v228, v215
	v_mov_b32_e32 v227, 0
	v_mad_u64_u32 v[228:229], s[22:23], v229, v216, v[228:229]
	v_dot4c_i32_i8_e32 v227, v88, v12
	v_mov_b32_e32 v230, 0
	v_cvt_f32_i32_e32 v228, v228
	v_dot4c_i32_i8_e32 v227, v89, v13
	v_dot4c_i32_i8_e32 v230, v104, v8
	;; [unrolled: 1-line block ×6, first 2 shown]
	v_fmac_f32_e32 v51, v207, v231
	v_dot4c_i32_i8_e32 v230, v101, v11
	v_fma_f32 v231, v130, v228, 0
	v_mul_lo_u32 v228, v227, v218
	s_nop 0
	v_mad_u64_u32 v[228:229], s[22:23], v230, v217, v[228:229]
	v_cvt_f32_i32_e32 v227, v228
	v_mov_b32_e32 v228, 0
	v_dot4c_i32_i8_e32 v228, v96, v4
	v_mov_b32_e32 v229, 0
	v_dot4c_i32_i8_e32 v228, v97, v5
	v_dot4c_i32_i8_e32 v229, v92, v0
	;; [unrolled: 1-line block ×7, first 2 shown]
	v_fmac_f32_e32 v231, v131, v227
	v_mul_lo_u32 v228, v228, v219
	v_mov_b32_e32 v227, 0
	v_mad_u64_u32 v[228:229], s[22:23], v229, v220, v[228:229]
	v_dot4c_i32_i8_e32 v227, v108, v12
	v_mov_b32_e32 v230, 0
	v_cvt_f32_i32_e32 v228, v228
	v_dot4c_i32_i8_e32 v227, v109, v13
	v_dot4c_i32_i8_e32 v230, v120, v8
	;; [unrolled: 1-line block ×6, first 2 shown]
	v_fmac_f32_e32 v49, v208, v231
	v_dot4c_i32_i8_e32 v230, v117, v11
	v_fma_f32 v231, v130, v228, 0
	v_mul_lo_u32 v228, v227, v222
	s_nop 0
	v_mad_u64_u32 v[228:229], s[22:23], v230, v221, v[228:229]
	v_cvt_f32_i32_e32 v227, v228
	v_mov_b32_e32 v228, 0
	v_mov_b32_e32 v229, 0
	;; [unrolled: 1-line block ×3, first 2 shown]
	v_fmac_f32_e32 v231, v131, v227
	v_mov_b32_e32 v227, 0
	v_dot4c_i32_i8_e32 v227, v118, v12
	v_mov_b32_e32 v12, 0
	v_dot4c_i32_i8_e32 v12, v124, v8
	;; [unrolled: 2-line block ×3, first 2 shown]
	v_dot4c_i32_i8_e32 v8, v113, v5
	v_mov_b32_e32 v5, 0
	v_dot4c_i32_i8_e32 v5, v102, v0
	v_dot4c_i32_i8_e32 v8, v110, v6
	;; [unrolled: 1-line block ×7, first 2 shown]
	v_mul_lo_u32 v4, v8, v223
	v_dot4c_i32_i8_e32 v227, v114, v14
	v_mad_u64_u32 v[0:1], s[22:23], v5, v224, v[4:5]
	v_cvt_f32_i32_e32 v0, v0
	v_dot4c_i32_i8_e32 v12, v125, v9
	v_dot4c_i32_i8_e32 v227, v115, v15
	;; [unrolled: 1-line block ×4, first 2 shown]
	v_fma_f32 v2, v130, v0, 0
	v_mul_lo_u32 v0, v227, v226
	v_mov_b32_e32 v227, 0
	v_mad_u64_u32 v[0:1], s[22:23], v12, v225, v[0:1]
	v_cvt_f32_i32_e32 v0, v0
	v_fmac_f32_e32 v47, v209, v231
	v_fmac_f32_e32 v2, v131, v0
	v_or_b32_e32 v0, s20, v184
	v_lshlrev_b32_e32 v12, 2, v0
	v_lshrrev_b32_e32 v130, 1, v0
	v_fmac_f32_e32 v45, v210, v2
	ds_read_b128 v[0:3], v12 offset:33280
	ds_read_b128 v[4:7], v12 offset:33296
	;; [unrolled: 1-line block ×4, first 2 shown]
	ds_read_b64 v[130:131], v130 offset:43584
	s_waitcnt lgkmcnt(4)
	v_dot4c_i32_i8_e32 v229, v68, v0
	s_waitcnt lgkmcnt(3)
	v_dot4c_i32_i8_e32 v228, v72, v4
	v_dot4c_i32_i8_e32 v228, v73, v5
	;; [unrolled: 1-line block ×7, first 2 shown]
	s_waitcnt lgkmcnt(1)
	v_dot4c_i32_i8_e32 v227, v128, v12
	v_mul_lo_u32 v228, v228, v211
	v_dot4c_i32_i8_e32 v227, v129, v13
	v_mad_u64_u32 v[228:229], s[22:23], v229, v212, v[228:229]
	v_cvt_f32_i32_e32 v228, v228
	v_dot4c_i32_i8_e32 v230, v84, v8
	v_dot4c_i32_i8_e32 v227, v126, v14
	v_dot4c_i32_i8_e32 v230, v85, v9
	v_dot4c_i32_i8_e32 v227, v127, v15
	v_dot4c_i32_i8_e32 v230, v82, v10
	v_dot4c_i32_i8_e32 v230, v83, v11
	s_waitcnt lgkmcnt(0)
	v_fma_f32 v231, v130, v228, 0
	v_mul_lo_u32 v228, v227, v214
	v_mad_u64_u32 v[228:229], s[22:23], v230, v213, v[228:229]
	v_cvt_f32_i32_e32 v227, v228
	v_mov_b32_e32 v228, 0
	v_dot4c_i32_i8_e32 v228, v80, v4
	v_mov_b32_e32 v229, 0
	v_dot4c_i32_i8_e32 v228, v81, v5
	v_dot4c_i32_i8_e32 v229, v76, v0
	;; [unrolled: 1-line block ×7, first 2 shown]
	v_fmac_f32_e32 v231, v131, v227
	v_mul_lo_u32 v228, v228, v215
	v_mov_b32_e32 v227, 0
	v_mad_u64_u32 v[228:229], s[22:23], v229, v216, v[228:229]
	v_dot4c_i32_i8_e32 v227, v88, v12
	v_mov_b32_e32 v230, 0
	v_cvt_f32_i32_e32 v228, v228
	v_dot4c_i32_i8_e32 v227, v89, v13
	v_dot4c_i32_i8_e32 v230, v104, v8
	;; [unrolled: 1-line block ×6, first 2 shown]
	v_fmac_f32_e32 v43, v207, v231
	v_dot4c_i32_i8_e32 v230, v101, v11
	v_fma_f32 v231, v130, v228, 0
	v_mul_lo_u32 v228, v227, v218
	s_nop 0
	v_mad_u64_u32 v[228:229], s[22:23], v230, v217, v[228:229]
	v_cvt_f32_i32_e32 v227, v228
	v_mov_b32_e32 v228, 0
	v_dot4c_i32_i8_e32 v228, v96, v4
	v_mov_b32_e32 v229, 0
	v_dot4c_i32_i8_e32 v228, v97, v5
	v_dot4c_i32_i8_e32 v229, v92, v0
	;; [unrolled: 1-line block ×7, first 2 shown]
	v_fmac_f32_e32 v231, v131, v227
	v_mul_lo_u32 v228, v228, v219
	v_mov_b32_e32 v227, 0
	v_mad_u64_u32 v[228:229], s[22:23], v229, v220, v[228:229]
	v_dot4c_i32_i8_e32 v227, v108, v12
	v_mov_b32_e32 v230, 0
	v_cvt_f32_i32_e32 v228, v228
	v_dot4c_i32_i8_e32 v227, v109, v13
	v_dot4c_i32_i8_e32 v230, v120, v8
	;; [unrolled: 1-line block ×6, first 2 shown]
	v_fmac_f32_e32 v41, v208, v231
	v_dot4c_i32_i8_e32 v230, v117, v11
	v_fma_f32 v231, v130, v228, 0
	v_mul_lo_u32 v228, v227, v222
	s_nop 0
	v_mad_u64_u32 v[228:229], s[22:23], v230, v221, v[228:229]
	v_cvt_f32_i32_e32 v227, v228
	v_mov_b32_e32 v228, 0
	v_mov_b32_e32 v229, 0
	;; [unrolled: 1-line block ×3, first 2 shown]
	v_fmac_f32_e32 v231, v131, v227
	v_mov_b32_e32 v227, 0
	v_dot4c_i32_i8_e32 v227, v118, v12
	v_mov_b32_e32 v12, 0
	v_dot4c_i32_i8_e32 v12, v124, v8
	;; [unrolled: 2-line block ×3, first 2 shown]
	v_dot4c_i32_i8_e32 v8, v113, v5
	v_mov_b32_e32 v5, 0
	v_dot4c_i32_i8_e32 v5, v102, v0
	v_dot4c_i32_i8_e32 v8, v110, v6
	v_dot4c_i32_i8_e32 v5, v103, v1
	v_dot4c_i32_i8_e32 v8, v111, v7
	v_dot4c_i32_i8_e32 v5, v98, v2
	v_dot4c_i32_i8_e32 v5, v99, v3
	v_dot4c_i32_i8_e32 v227, v119, v13
	v_mul_lo_u32 v4, v8, v223
	v_dot4c_i32_i8_e32 v227, v114, v14
	v_mad_u64_u32 v[0:1], s[22:23], v5, v224, v[4:5]
	v_cvt_f32_i32_e32 v0, v0
	v_dot4c_i32_i8_e32 v12, v125, v9
	v_dot4c_i32_i8_e32 v227, v115, v15
	;; [unrolled: 1-line block ×4, first 2 shown]
	v_fma_f32 v2, v130, v0, 0
	v_mul_lo_u32 v0, v227, v226
	v_mov_b32_e32 v227, 0
	v_mad_u64_u32 v[0:1], s[22:23], v12, v225, v[0:1]
	v_cvt_f32_i32_e32 v0, v0
	v_fmac_f32_e32 v39, v209, v231
	v_fmac_f32_e32 v2, v131, v0
	v_or_b32_e32 v0, s20, v187
	v_lshlrev_b32_e32 v12, 2, v0
	v_lshrrev_b32_e32 v130, 1, v0
	v_fmac_f32_e32 v37, v210, v2
	ds_read_b128 v[0:3], v12 offset:33280
	ds_read_b128 v[4:7], v12 offset:33296
	;; [unrolled: 1-line block ×4, first 2 shown]
	ds_read_b64 v[130:131], v130 offset:43584
	s_waitcnt lgkmcnt(4)
	v_dot4c_i32_i8_e32 v229, v68, v0
	s_waitcnt lgkmcnt(3)
	v_dot4c_i32_i8_e32 v228, v72, v4
	v_dot4c_i32_i8_e32 v228, v73, v5
	;; [unrolled: 1-line block ×7, first 2 shown]
	s_waitcnt lgkmcnt(1)
	v_dot4c_i32_i8_e32 v227, v128, v12
	v_mul_lo_u32 v228, v228, v211
	v_dot4c_i32_i8_e32 v227, v129, v13
	v_mad_u64_u32 v[228:229], s[22:23], v229, v212, v[228:229]
	v_cvt_f32_i32_e32 v228, v228
	v_dot4c_i32_i8_e32 v230, v84, v8
	v_dot4c_i32_i8_e32 v227, v126, v14
	;; [unrolled: 1-line block ×6, first 2 shown]
	s_waitcnt lgkmcnt(0)
	v_fma_f32 v231, v130, v228, 0
	v_mul_lo_u32 v228, v227, v214
	v_mad_u64_u32 v[228:229], s[22:23], v230, v213, v[228:229]
	v_cvt_f32_i32_e32 v227, v228
	v_mov_b32_e32 v228, 0
	v_dot4c_i32_i8_e32 v228, v80, v4
	v_mov_b32_e32 v229, 0
	v_dot4c_i32_i8_e32 v228, v81, v5
	v_dot4c_i32_i8_e32 v229, v76, v0
	;; [unrolled: 1-line block ×7, first 2 shown]
	v_fmac_f32_e32 v231, v131, v227
	v_mul_lo_u32 v228, v228, v215
	v_mov_b32_e32 v227, 0
	v_mad_u64_u32 v[228:229], s[22:23], v229, v216, v[228:229]
	v_dot4c_i32_i8_e32 v227, v88, v12
	v_mov_b32_e32 v230, 0
	v_cvt_f32_i32_e32 v228, v228
	v_dot4c_i32_i8_e32 v227, v89, v13
	v_dot4c_i32_i8_e32 v230, v104, v8
	;; [unrolled: 1-line block ×6, first 2 shown]
	v_fmac_f32_e32 v35, v207, v231
	v_dot4c_i32_i8_e32 v230, v101, v11
	v_fma_f32 v231, v130, v228, 0
	v_mul_lo_u32 v228, v227, v218
	s_nop 0
	v_mad_u64_u32 v[228:229], s[22:23], v230, v217, v[228:229]
	v_cvt_f32_i32_e32 v227, v228
	v_mov_b32_e32 v228, 0
	v_dot4c_i32_i8_e32 v228, v96, v4
	v_mov_b32_e32 v229, 0
	v_dot4c_i32_i8_e32 v228, v97, v5
	v_dot4c_i32_i8_e32 v229, v92, v0
	;; [unrolled: 1-line block ×7, first 2 shown]
	v_fmac_f32_e32 v231, v131, v227
	v_mul_lo_u32 v228, v228, v219
	v_mov_b32_e32 v227, 0
	v_mad_u64_u32 v[228:229], s[22:23], v229, v220, v[228:229]
	v_dot4c_i32_i8_e32 v227, v108, v12
	v_mov_b32_e32 v230, 0
	v_cvt_f32_i32_e32 v228, v228
	v_dot4c_i32_i8_e32 v227, v109, v13
	v_dot4c_i32_i8_e32 v230, v120, v8
	v_dot4c_i32_i8_e32 v227, v106, v14
	v_dot4c_i32_i8_e32 v230, v121, v9
	v_dot4c_i32_i8_e32 v227, v107, v15
	v_dot4c_i32_i8_e32 v230, v116, v10
	v_fmac_f32_e32 v33, v208, v231
	v_dot4c_i32_i8_e32 v230, v117, v11
	v_fma_f32 v231, v130, v228, 0
	v_mul_lo_u32 v228, v227, v222
	s_nop 0
	v_mad_u64_u32 v[228:229], s[22:23], v230, v221, v[228:229]
	v_cvt_f32_i32_e32 v227, v228
	v_fmac_f32_e32 v231, v131, v227
	v_mov_b32_e32 v227, 0
	v_dot4c_i32_i8_e32 v227, v118, v12
	v_mov_b32_e32 v12, 0
	v_dot4c_i32_i8_e32 v12, v124, v8
	;; [unrolled: 2-line block ×3, first 2 shown]
	v_dot4c_i32_i8_e32 v8, v113, v5
	v_mov_b32_e32 v5, 0
	v_dot4c_i32_i8_e32 v5, v102, v0
	v_dot4c_i32_i8_e32 v8, v110, v6
	;; [unrolled: 1-line block ×7, first 2 shown]
	v_mul_lo_u32 v4, v8, v223
	v_dot4c_i32_i8_e32 v227, v114, v14
	v_mad_u64_u32 v[0:1], s[22:23], v5, v224, v[4:5]
	v_cvt_f32_i32_e32 v0, v0
	v_dot4c_i32_i8_e32 v12, v125, v9
	v_dot4c_i32_i8_e32 v227, v115, v15
	;; [unrolled: 1-line block ×4, first 2 shown]
	v_fma_f32 v2, v130, v0, 0
	v_mul_lo_u32 v0, v227, v226
	v_mov_b32_e32 v227, 0
	v_mad_u64_u32 v[0:1], s[22:23], v12, v225, v[0:1]
	v_cvt_f32_i32_e32 v0, v0
	v_fmac_f32_e32 v31, v209, v231
	v_fmac_f32_e32 v2, v131, v0
	v_or_b32_e32 v0, s20, v190
	v_lshlrev_b32_e32 v12, 2, v0
	v_lshrrev_b32_e32 v130, 1, v0
	v_fmac_f32_e32 v29, v210, v2
	ds_read_b128 v[0:3], v12 offset:33280
	ds_read_b128 v[4:7], v12 offset:33296
	ds_read_b128 v[8:11], v12 offset:33312
	ds_read_b128 v[12:15], v12 offset:33328
	ds_read_b64 v[130:131], v130 offset:43584
	s_waitcnt lgkmcnt(1)
	v_dot4c_i32_i8_e32 v227, v128, v12
	v_dot4c_i32_i8_e32 v227, v129, v13
	;; [unrolled: 1-line block ×3, first 2 shown]
	v_mov_b32_e32 v126, 0
	v_dot4c_i32_i8_e32 v126, v84, v8
	v_dot4c_i32_i8_e32 v126, v85, v9
	;; [unrolled: 1-line block ×3, first 2 shown]
	v_mov_b32_e32 v82, 0
	v_dot4c_i32_i8_e32 v82, v72, v4
	v_dot4c_i32_i8_e32 v82, v73, v5
	;; [unrolled: 1-line block ×4, first 2 shown]
	v_mov_b32_e32 v71, 0
	v_dot4c_i32_i8_e32 v71, v68, v0
	v_dot4c_i32_i8_e32 v71, v69, v1
	;; [unrolled: 1-line block ×3, first 2 shown]
	v_mul_lo_u32 v70, v82, v211
	v_dot4c_i32_i8_e32 v71, v67, v3
	v_dot4c_i32_i8_e32 v227, v127, v15
	;; [unrolled: 1-line block ×3, first 2 shown]
	v_mov_b32_e32 v69, 0
	v_mad_u64_u32 v[66:67], s[20:21], v71, v212, v[70:71]
	v_cvt_f32_i32_e32 v66, v66
	v_dot4c_i32_i8_e32 v69, v104, v8
	v_dot4c_i32_i8_e32 v69, v105, v9
	;; [unrolled: 1-line block ×3, first 2 shown]
	s_waitcnt lgkmcnt(0)
	v_fma_f32 v68, v130, v66, 0
	v_mul_lo_u32 v66, v227, v214
	v_mad_u64_u32 v[66:67], s[20:21], v126, v213, v[66:67]
	v_cvt_f32_i32_e32 v66, v66
	v_mov_b32_e32 v67, 0
	v_dot4c_i32_i8_e32 v67, v76, v0
	v_dot4c_i32_i8_e32 v67, v77, v1
	v_fmac_f32_e32 v68, v131, v66
	v_mov_b32_e32 v66, 0
	v_dot4c_i32_i8_e32 v66, v80, v4
	v_dot4c_i32_i8_e32 v66, v81, v5
	v_dot4c_i32_i8_e32 v66, v78, v6
	v_dot4c_i32_i8_e32 v66, v79, v7
	v_dot4c_i32_i8_e32 v67, v74, v2
	v_dot4c_i32_i8_e32 v67, v75, v3
	v_fmac_f32_e32 v27, v207, v68
	v_mul_lo_u32 v66, v66, v215
	v_mov_b32_e32 v68, 0
	v_mad_u64_u32 v[66:67], s[20:21], v67, v216, v[66:67]
	v_dot4c_i32_i8_e32 v68, v88, v12
	v_cvt_f32_i32_e32 v66, v66
	v_dot4c_i32_i8_e32 v68, v89, v13
	v_dot4c_i32_i8_e32 v68, v86, v14
	;; [unrolled: 1-line block ×4, first 2 shown]
	v_fma_f32 v70, v130, v66, 0
	s_nop 0
	v_mul_lo_u32 v66, v68, v218
	v_mad_u64_u32 v[66:67], s[20:21], v69, v217, v[66:67]
	v_cvt_f32_i32_e32 v66, v66
	v_mov_b32_e32 v67, 0
	v_dot4c_i32_i8_e32 v67, v92, v0
	v_dot4c_i32_i8_e32 v67, v93, v1
	v_fmac_f32_e32 v70, v131, v66
	v_mov_b32_e32 v66, 0
	v_dot4c_i32_i8_e32 v66, v96, v4
	v_dot4c_i32_i8_e32 v66, v97, v5
	;; [unrolled: 1-line block ×6, first 2 shown]
	v_mov_b32_e32 v68, 0
	v_mul_lo_u32 v66, v66, v219
	v_dot4c_i32_i8_e32 v68, v108, v12
	v_mad_u64_u32 v[66:67], s[20:21], v67, v220, v[66:67]
	v_mov_b32_e32 v69, 0
	v_cvt_f32_i32_e32 v66, v66
	v_dot4c_i32_i8_e32 v68, v109, v13
	v_dot4c_i32_i8_e32 v69, v120, v8
	v_dot4c_i32_i8_e32 v68, v106, v14
	v_dot4c_i32_i8_e32 v69, v121, v9
	v_dot4c_i32_i8_e32 v68, v107, v15
	v_dot4c_i32_i8_e32 v69, v116, v10
	v_fmac_f32_e32 v25, v208, v70
	v_dot4c_i32_i8_e32 v69, v117, v11
	v_fma_f32 v70, v130, v66, 0
	v_mul_lo_u32 v66, v68, v222
	s_nop 0
	v_mad_u64_u32 v[66:67], s[20:21], v69, v221, v[66:67]
	v_cvt_f32_i32_e32 v66, v66
	v_fmac_f32_e32 v70, v131, v66
	v_mov_b32_e32 v66, 0
	v_dot4c_i32_i8_e32 v66, v118, v12
	v_mov_b32_e32 v12, 0
	v_dot4c_i32_i8_e32 v12, v124, v8
	;; [unrolled: 2-line block ×3, first 2 shown]
	v_dot4c_i32_i8_e32 v8, v113, v5
	v_mov_b32_e32 v5, 0
	v_dot4c_i32_i8_e32 v5, v102, v0
	v_dot4c_i32_i8_e32 v8, v110, v6
	;; [unrolled: 1-line block ×7, first 2 shown]
	v_mul_lo_u32 v4, v8, v223
	v_dot4c_i32_i8_e32 v66, v114, v14
	v_mad_u64_u32 v[0:1], s[20:21], v5, v224, v[4:5]
	v_cvt_f32_i32_e32 v0, v0
	v_dot4c_i32_i8_e32 v12, v125, v9
	v_dot4c_i32_i8_e32 v66, v115, v15
	;; [unrolled: 1-line block ×4, first 2 shown]
	v_fma_f32 v2, v130, v0, 0
	v_mul_lo_u32 v0, v66, v226
	v_fmac_f32_e32 v23, v209, v70
	v_mad_u64_u32 v[0:1], s[20:21], v12, v225, v[0:1]
	v_cvt_f32_i32_e32 v0, v0
	s_mov_b32 s21, 8
	v_fmac_f32_e32 v2, v131, v0
	v_fmac_f32_e32 v17, v210, v2
	s_cbranch_vccnz .LBB175_6
; %bb.7:                                ;   in Loop: Header=BB175_5 Depth=1
	v_add_u32_e32 v14, s19, v193
	v_add_u32_e32 v0, v14, v169
	v_add_u32_e32 v2, v14, v171
	v_add_u32_e32 v4, v14, v174
	v_add_u32_e32 v6, v14, v177
	v_add_u32_e32 v66, 4, v206
	v_mad_i64_i32 v[0:1], s[0:1], v0, 36, v[62:63]
	v_mad_i64_i32 v[2:3], s[0:1], v2, 36, v[62:63]
	;; [unrolled: 1-line block ×4, first 2 shown]
	v_add_u32_e32 v8, v14, v180
	v_add_u32_e32 v10, v14, v183
	;; [unrolled: 1-line block ×4, first 2 shown]
	v_mad_u64_u32 v[66:67], s[0:1], v66, 36, s[2:3]
	s_barrier
	v_mad_i64_i32 v[8:9], s[0:1], v8, 36, v[62:63]
	v_mad_i64_i32 v[10:11], s[0:1], v10, 36, v[62:63]
	;; [unrolled: 1-line block ×4, first 2 shown]
	global_load_dword v66, v[66:67], off
	s_nop 0
	global_load_dword v0, v[0:1], off offset:4
	s_nop 0
	global_load_dword v1, v[2:3], off offset:4
	;; [unrolled: 2-line block ×3, first 2 shown]
	global_load_dword v3, v[6:7], off offset:4
	s_nop 0
	global_load_dword v4, v[8:9], off offset:4
	global_load_dword v5, v[10:11], off offset:4
	;; [unrolled: 1-line block ×4, first 2 shown]
	s_mov_b32 s0, 16
	s_waitcnt vmcnt(8)
	v_cvt_f32_f16_e32 v8, v66
	s_waitcnt vmcnt(7)
	ds_write_b32 v170, v0
	s_waitcnt vmcnt(6)
	ds_write_b32 v173, v1
	;; [unrolled: 2-line block ×8, first 2 shown]
	ds_write_b32 v166, v8
	s_waitcnt lgkmcnt(0)
	s_barrier
	ds_read_b32 v206, v192
	ds_read_b32 v207, v194 offset:128
	ds_read_b32 v208, v195 offset:256
	;; [unrolled: 1-line block ×3, first 2 shown]
.LBB175_8:                              ;   Parent Loop BB175_5 Depth=1
                                        ; =>  This Inner Loop Header: Depth=2
	s_lshl_b32 s1, s0, 1
	s_and_b32 s1, s1, 16
	v_or_b32_e32 v0, s1, v160
	v_lshlrev_b32_e32 v12, 2, v0
	s_lshr_b32 s19, s0, 1
	s_lshl_b32 s20, s0, 3
	v_lshrrev_b32_e32 v66, 1, v0
	ds_read_b128 v[0:3], v12 offset:33280
	ds_read_b128 v[4:7], v12 offset:33296
	;; [unrolled: 1-line block ×4, first 2 shown]
	ds_read_b64 v[130:131], v66 offset:43584
	v_add_u32_e32 v74, s19, v197
	v_add_u32_e32 v75, s20, v198
	ds_read2_b32 v[70:71], v75 offset0:6 offset1:7
	ds_read2_b32 v[72:73], v75 offset0:4 offset1:5
	;; [unrolled: 1-line block ×3, first 2 shown]
	ds_read2_b32 v[68:69], v75 offset1:1
	ds_read_b32 v76, v74
	ds_read2_b32 v[126:127], v75 offset0:14 offset1:15
	ds_read2_b32 v[128:129], v75 offset0:12 offset1:13
	v_mov_b32_e32 v74, 0
	ds_read2_b32 v[82:83], v75 offset0:10 offset1:11
	ds_read2_b32 v[84:85], v75 offset0:8 offset1:9
	s_waitcnt lgkmcnt(7)
	v_dot4c_i32_i8_e32 v74, v72, v4
	v_mov_b32_e32 v75, 0
	v_dot4c_i32_i8_e32 v74, v73, v5
	s_waitcnt lgkmcnt(5)
	v_dot4c_i32_i8_e32 v75, v68, v0
	v_dot4c_i32_i8_e32 v74, v70, v6
	;; [unrolled: 1-line block ×4, first 2 shown]
	s_waitcnt lgkmcnt(4)
	v_bfe_i32 v210, v76, 8, 8
	v_dot4c_i32_i8_e32 v75, v66, v2
	v_dot4c_i32_i8_e32 v75, v67, v3
	v_mul_lo_u32 v74, v74, v210
	v_bfe_i32 v211, v76, 0, 8
	v_mov_b32_e32 v77, 0
	v_mad_u64_u32 v[74:75], s[22:23], v75, v211, v[74:75]
	s_waitcnt lgkmcnt(2)
	v_dot4c_i32_i8_e32 v77, v128, v12
	v_mov_b32_e32 v78, 0
	v_cvt_f32_i32_e32 v74, v74
	v_dot4c_i32_i8_e32 v77, v129, v13
	s_waitcnt lgkmcnt(0)
	v_dot4c_i32_i8_e32 v78, v84, v8
	v_dot4c_i32_i8_e32 v77, v126, v14
	;; [unrolled: 1-line block ×5, first 2 shown]
	v_ashrrev_i32_e32 v213, 24, v76
	v_dot4c_i32_i8_e32 v78, v83, v11
	v_fma_f32 v79, v130, v74, 0
	v_bfe_i32 v212, v76, 16, 8
	v_mul_lo_u32 v74, v77, v213
	v_mad_u64_u32 v[74:75], s[22:23], v78, v212, v[74:75]
	v_cvt_f32_i32_e32 v74, v74
	v_add_u32_e32 v86, s19, v199
	v_add_u32_e32 v90, s20, v200
	v_mov_b32_e32 v91, 0
	v_fmac_f32_e32 v79, v131, v74
	v_fmac_f32_e32 v168, v206, v79
	ds_read2_b32 v[78:79], v90 offset0:6 offset1:7
	ds_read2_b32 v[80:81], v90 offset0:4 offset1:5
	;; [unrolled: 1-line block ×3, first 2 shown]
	ds_read2_b32 v[76:77], v90 offset1:1
	ds_read_b32 v92, v86
	ds_read2_b32 v[86:87], v90 offset0:14 offset1:15
	ds_read2_b32 v[88:89], v90 offset0:12 offset1:13
	ds_read2_b32 v[100:101], v90 offset0:10 offset1:11
	ds_read2_b32 v[104:105], v90 offset0:8 offset1:9
	v_mov_b32_e32 v90, 0
	s_waitcnt lgkmcnt(7)
	v_dot4c_i32_i8_e32 v90, v80, v4
	v_dot4c_i32_i8_e32 v90, v81, v5
	s_waitcnt lgkmcnt(5)
	v_dot4c_i32_i8_e32 v91, v76, v0
	v_dot4c_i32_i8_e32 v90, v78, v6
	;; [unrolled: 1-line block ×4, first 2 shown]
	s_waitcnt lgkmcnt(4)
	v_bfe_i32 v214, v92, 8, 8
	v_dot4c_i32_i8_e32 v91, v74, v2
	v_dot4c_i32_i8_e32 v91, v75, v3
	v_mul_lo_u32 v90, v90, v214
	v_bfe_i32 v215, v92, 0, 8
	v_mov_b32_e32 v93, 0
	v_mad_u64_u32 v[90:91], s[22:23], v91, v215, v[90:91]
	s_waitcnt lgkmcnt(2)
	v_dot4c_i32_i8_e32 v93, v88, v12
	v_mov_b32_e32 v94, 0
	v_cvt_f32_i32_e32 v90, v90
	v_dot4c_i32_i8_e32 v93, v89, v13
	s_waitcnt lgkmcnt(0)
	v_dot4c_i32_i8_e32 v94, v104, v8
	v_dot4c_i32_i8_e32 v93, v86, v14
	;; [unrolled: 1-line block ×5, first 2 shown]
	v_ashrrev_i32_e32 v217, 24, v92
	v_dot4c_i32_i8_e32 v94, v101, v11
	v_fma_f32 v95, v130, v90, 0
	v_bfe_i32 v216, v92, 16, 8
	v_mul_lo_u32 v90, v93, v217
	v_mad_u64_u32 v[90:91], s[22:23], v94, v216, v[90:91]
	v_cvt_f32_i32_e32 v90, v90
	v_add_u32_e32 v98, s19, v201
	v_add_u32_e32 v99, s20, v202
	v_mov_b32_e32 v103, 0
	v_fmac_f32_e32 v95, v131, v90
	v_fmac_f32_e32 v164, v207, v95
	ds_read2_b32 v[94:95], v99 offset0:6 offset1:7
	ds_read2_b32 v[96:97], v99 offset0:4 offset1:5
	;; [unrolled: 1-line block ×3, first 2 shown]
	ds_read2_b32 v[92:93], v99 offset1:1
	ds_read_b32 v102, v98
	ds_read2_b32 v[106:107], v99 offset0:14 offset1:15
	ds_read2_b32 v[108:109], v99 offset0:12 offset1:13
	v_mov_b32_e32 v98, 0
	ds_read2_b32 v[116:117], v99 offset0:10 offset1:11
	ds_read2_b32 v[120:121], v99 offset0:8 offset1:9
	s_waitcnt lgkmcnt(7)
	v_dot4c_i32_i8_e32 v98, v96, v4
	v_mov_b32_e32 v99, 0
	v_dot4c_i32_i8_e32 v98, v97, v5
	s_waitcnt lgkmcnt(5)
	v_dot4c_i32_i8_e32 v99, v92, v0
	v_dot4c_i32_i8_e32 v98, v94, v6
	;; [unrolled: 1-line block ×4, first 2 shown]
	s_waitcnt lgkmcnt(4)
	v_bfe_i32 v218, v102, 8, 8
	v_dot4c_i32_i8_e32 v99, v90, v2
	v_dot4c_i32_i8_e32 v99, v91, v3
	v_mul_lo_u32 v98, v98, v218
	v_bfe_i32 v219, v102, 0, 8
	s_waitcnt lgkmcnt(2)
	v_dot4c_i32_i8_e32 v103, v108, v12
	v_mad_u64_u32 v[98:99], s[22:23], v99, v219, v[98:99]
	v_mov_b32_e32 v110, 0
	v_cvt_f32_i32_e32 v98, v98
	v_dot4c_i32_i8_e32 v103, v109, v13
	s_waitcnt lgkmcnt(0)
	v_dot4c_i32_i8_e32 v110, v120, v8
	v_dot4c_i32_i8_e32 v103, v106, v14
	;; [unrolled: 1-line block ×5, first 2 shown]
	v_ashrrev_i32_e32 v221, 24, v102
	v_dot4c_i32_i8_e32 v110, v117, v11
	v_fma_f32 v111, v130, v98, 0
	v_bfe_i32 v220, v102, 16, 8
	v_mul_lo_u32 v98, v103, v221
	v_mad_u64_u32 v[98:99], s[22:23], v110, v220, v[98:99]
	v_cvt_f32_i32_e32 v98, v98
	v_add_u32_e32 v114, s19, v203
	v_add_u32_e32 v124, s20, v204
	v_mov_b32_e32 v226, 0
	v_fmac_f32_e32 v111, v131, v98
	v_fmac_f32_e32 v161, v208, v111
	ds_read2_b32 v[110:111], v124 offset0:6 offset1:7
	ds_read2_b32 v[112:113], v124 offset0:4 offset1:5
	;; [unrolled: 1-line block ×3, first 2 shown]
	ds_read2_b32 v[102:103], v124 offset1:1
	ds_read_b32 v225, v114
	ds_read2_b32 v[114:115], v124 offset0:14 offset1:15
	ds_read2_b32 v[118:119], v124 offset0:12 offset1:13
	;; [unrolled: 1-line block ×4, first 2 shown]
	v_mov_b32_e32 v227, 0
	s_waitcnt lgkmcnt(4)
	v_bfe_i32 v222, v225, 8, 8
	v_bfe_i32 v223, v225, 0, 8
	s_waitcnt lgkmcnt(2)
	v_dot4c_i32_i8_e32 v226, v118, v12
	v_mov_b32_e32 v12, 0
	s_waitcnt lgkmcnt(0)
	v_dot4c_i32_i8_e32 v12, v124, v8
	v_mov_b32_e32 v8, 0
	v_dot4c_i32_i8_e32 v8, v112, v4
	v_dot4c_i32_i8_e32 v8, v113, v5
	v_mov_b32_e32 v5, 0
	v_dot4c_i32_i8_e32 v5, v102, v0
	v_dot4c_i32_i8_e32 v8, v110, v6
	;; [unrolled: 1-line block ×7, first 2 shown]
	v_mul_lo_u32 v4, v8, v222
	v_dot4c_i32_i8_e32 v226, v114, v14
	v_mad_u64_u32 v[0:1], s[20:21], v5, v223, v[4:5]
	v_cvt_f32_i32_e32 v0, v0
	v_dot4c_i32_i8_e32 v12, v125, v9
	v_dot4c_i32_i8_e32 v226, v115, v15
	;; [unrolled: 1-line block ×3, first 2 shown]
	v_bfe_i32 v224, v225, 16, 8
	v_ashrrev_i32_e32 v225, 24, v225
	v_dot4c_i32_i8_e32 v12, v123, v11
	v_fma_f32 v2, v130, v0, 0
	v_mul_lo_u32 v0, v226, v225
	v_mov_b32_e32 v226, 0
	v_mad_u64_u32 v[0:1], s[20:21], v12, v224, v[0:1]
	v_cvt_f32_i32_e32 v0, v0
	v_mov_b32_e32 v228, 0
	v_mov_b32_e32 v229, 0
	v_fmac_f32_e32 v2, v131, v0
	v_or_b32_e32 v0, s1, v172
	v_lshlrev_b32_e32 v12, 2, v0
	v_lshrrev_b32_e32 v130, 1, v0
	v_fmac_f32_e32 v152, v209, v2
	ds_read_b128 v[0:3], v12 offset:33280
	ds_read_b128 v[4:7], v12 offset:33296
	;; [unrolled: 1-line block ×4, first 2 shown]
	ds_read_b64 v[130:131], v130 offset:43584
	s_waitcnt lgkmcnt(4)
	v_dot4c_i32_i8_e32 v227, v68, v0
	s_waitcnt lgkmcnt(3)
	v_dot4c_i32_i8_e32 v226, v72, v4
	v_dot4c_i32_i8_e32 v226, v73, v5
	;; [unrolled: 1-line block ×7, first 2 shown]
	s_waitcnt lgkmcnt(1)
	v_dot4c_i32_i8_e32 v228, v128, v12
	v_mul_lo_u32 v226, v226, v210
	v_dot4c_i32_i8_e32 v228, v129, v13
	v_mad_u64_u32 v[226:227], s[20:21], v227, v211, v[226:227]
	v_cvt_f32_i32_e32 v226, v226
	v_dot4c_i32_i8_e32 v229, v84, v8
	v_dot4c_i32_i8_e32 v228, v126, v14
	;; [unrolled: 1-line block ×6, first 2 shown]
	s_waitcnt lgkmcnt(0)
	v_fma_f32 v230, v130, v226, 0
	v_mul_lo_u32 v226, v228, v213
	v_mov_b32_e32 v228, 0
	v_mad_u64_u32 v[226:227], s[20:21], v229, v212, v[226:227]
	v_cvt_f32_i32_e32 v226, v226
	v_mov_b32_e32 v227, 0
	v_dot4c_i32_i8_e32 v227, v76, v0
	v_dot4c_i32_i8_e32 v227, v77, v1
	v_fmac_f32_e32 v230, v131, v226
	v_mov_b32_e32 v226, 0
	v_dot4c_i32_i8_e32 v226, v80, v4
	v_dot4c_i32_i8_e32 v226, v81, v5
	;; [unrolled: 1-line block ×7, first 2 shown]
	v_mul_lo_u32 v226, v226, v214
	v_mov_b32_e32 v229, 0
	v_mad_u64_u32 v[226:227], s[20:21], v227, v215, v[226:227]
	v_cvt_f32_i32_e32 v226, v226
	v_dot4c_i32_i8_e32 v228, v89, v13
	v_dot4c_i32_i8_e32 v229, v104, v8
	;; [unrolled: 1-line block ×6, first 2 shown]
	v_fmac_f32_e32 v142, v206, v230
	v_dot4c_i32_i8_e32 v229, v101, v11
	v_fma_f32 v230, v130, v226, 0
	v_mul_lo_u32 v226, v228, v217
	v_mov_b32_e32 v228, 0
	v_mad_u64_u32 v[226:227], s[20:21], v229, v216, v[226:227]
	v_cvt_f32_i32_e32 v226, v226
	v_mov_b32_e32 v227, 0
	v_dot4c_i32_i8_e32 v227, v92, v0
	v_dot4c_i32_i8_e32 v227, v93, v1
	v_fmac_f32_e32 v230, v131, v226
	v_mov_b32_e32 v226, 0
	v_dot4c_i32_i8_e32 v226, v96, v4
	v_dot4c_i32_i8_e32 v226, v97, v5
	;; [unrolled: 1-line block ×7, first 2 shown]
	v_mul_lo_u32 v226, v226, v218
	v_mov_b32_e32 v229, 0
	v_mad_u64_u32 v[226:227], s[20:21], v227, v219, v[226:227]
	v_cvt_f32_i32_e32 v226, v226
	v_dot4c_i32_i8_e32 v228, v109, v13
	v_dot4c_i32_i8_e32 v229, v120, v8
	;; [unrolled: 1-line block ×6, first 2 shown]
	v_fmac_f32_e32 v140, v207, v230
	v_dot4c_i32_i8_e32 v229, v117, v11
	v_fma_f32 v230, v130, v226, 0
	v_mul_lo_u32 v226, v228, v221
	v_mov_b32_e32 v228, 0
	v_mad_u64_u32 v[226:227], s[20:21], v229, v220, v[226:227]
	v_cvt_f32_i32_e32 v226, v226
	v_mov_b32_e32 v227, 0
	v_mov_b32_e32 v229, 0
	v_fmac_f32_e32 v230, v131, v226
	v_mov_b32_e32 v226, 0
	v_dot4c_i32_i8_e32 v226, v118, v12
	v_mov_b32_e32 v12, 0
	v_dot4c_i32_i8_e32 v12, v124, v8
	;; [unrolled: 2-line block ×3, first 2 shown]
	v_dot4c_i32_i8_e32 v8, v113, v5
	v_mov_b32_e32 v5, 0
	v_dot4c_i32_i8_e32 v5, v102, v0
	v_dot4c_i32_i8_e32 v8, v110, v6
	v_dot4c_i32_i8_e32 v5, v103, v1
	v_dot4c_i32_i8_e32 v8, v111, v7
	v_dot4c_i32_i8_e32 v5, v98, v2
	v_dot4c_i32_i8_e32 v5, v99, v3
	v_dot4c_i32_i8_e32 v226, v119, v13
	v_mul_lo_u32 v4, v8, v222
	v_dot4c_i32_i8_e32 v226, v114, v14
	v_mad_u64_u32 v[0:1], s[20:21], v5, v223, v[4:5]
	v_cvt_f32_i32_e32 v0, v0
	v_dot4c_i32_i8_e32 v12, v125, v9
	v_dot4c_i32_i8_e32 v226, v115, v15
	;; [unrolled: 1-line block ×4, first 2 shown]
	v_fma_f32 v2, v130, v0, 0
	v_mul_lo_u32 v0, v226, v225
	v_mov_b32_e32 v226, 0
	v_mad_u64_u32 v[0:1], s[20:21], v12, v224, v[0:1]
	v_cvt_f32_i32_e32 v0, v0
	v_fmac_f32_e32 v139, v208, v230
	v_fmac_f32_e32 v2, v131, v0
	v_or_b32_e32 v0, s1, v175
	v_lshlrev_b32_e32 v12, 2, v0
	v_lshrrev_b32_e32 v130, 1, v0
	v_fmac_f32_e32 v137, v209, v2
	ds_read_b128 v[0:3], v12 offset:33280
	ds_read_b128 v[4:7], v12 offset:33296
	;; [unrolled: 1-line block ×4, first 2 shown]
	ds_read_b64 v[130:131], v130 offset:43584
	s_waitcnt lgkmcnt(4)
	v_dot4c_i32_i8_e32 v227, v68, v0
	s_waitcnt lgkmcnt(3)
	v_dot4c_i32_i8_e32 v226, v72, v4
	v_dot4c_i32_i8_e32 v226, v73, v5
	v_dot4c_i32_i8_e32 v226, v70, v6
	v_dot4c_i32_i8_e32 v227, v69, v1
	v_dot4c_i32_i8_e32 v226, v71, v7
	v_dot4c_i32_i8_e32 v227, v66, v2
	v_dot4c_i32_i8_e32 v227, v67, v3
	s_waitcnt lgkmcnt(1)
	v_dot4c_i32_i8_e32 v228, v128, v12
	v_mul_lo_u32 v226, v226, v210
	v_dot4c_i32_i8_e32 v228, v129, v13
	v_mad_u64_u32 v[226:227], s[20:21], v227, v211, v[226:227]
	v_cvt_f32_i32_e32 v226, v226
	v_dot4c_i32_i8_e32 v229, v84, v8
	v_dot4c_i32_i8_e32 v228, v126, v14
	;; [unrolled: 1-line block ×6, first 2 shown]
	s_waitcnt lgkmcnt(0)
	v_fma_f32 v230, v130, v226, 0
	v_mul_lo_u32 v226, v228, v213
	v_mov_b32_e32 v228, 0
	v_mad_u64_u32 v[226:227], s[20:21], v229, v212, v[226:227]
	v_cvt_f32_i32_e32 v226, v226
	v_mov_b32_e32 v227, 0
	v_dot4c_i32_i8_e32 v227, v76, v0
	v_dot4c_i32_i8_e32 v227, v77, v1
	v_fmac_f32_e32 v230, v131, v226
	v_mov_b32_e32 v226, 0
	v_dot4c_i32_i8_e32 v226, v80, v4
	v_dot4c_i32_i8_e32 v226, v81, v5
	;; [unrolled: 1-line block ×7, first 2 shown]
	v_mul_lo_u32 v226, v226, v214
	v_mov_b32_e32 v229, 0
	v_mad_u64_u32 v[226:227], s[20:21], v227, v215, v[226:227]
	v_cvt_f32_i32_e32 v226, v226
	v_dot4c_i32_i8_e32 v228, v89, v13
	v_dot4c_i32_i8_e32 v229, v104, v8
	;; [unrolled: 1-line block ×6, first 2 shown]
	v_fmac_f32_e32 v136, v206, v230
	v_dot4c_i32_i8_e32 v229, v101, v11
	v_fma_f32 v230, v130, v226, 0
	v_mul_lo_u32 v226, v228, v217
	v_mov_b32_e32 v228, 0
	v_mad_u64_u32 v[226:227], s[20:21], v229, v216, v[226:227]
	v_cvt_f32_i32_e32 v226, v226
	v_mov_b32_e32 v227, 0
	v_dot4c_i32_i8_e32 v227, v92, v0
	v_dot4c_i32_i8_e32 v227, v93, v1
	v_fmac_f32_e32 v230, v131, v226
	v_mov_b32_e32 v226, 0
	v_dot4c_i32_i8_e32 v226, v96, v4
	v_dot4c_i32_i8_e32 v226, v97, v5
	v_dot4c_i32_i8_e32 v226, v94, v6
	v_dot4c_i32_i8_e32 v226, v95, v7
	v_dot4c_i32_i8_e32 v227, v90, v2
	v_dot4c_i32_i8_e32 v227, v91, v3
	v_dot4c_i32_i8_e32 v228, v108, v12
	v_mul_lo_u32 v226, v226, v218
	v_mov_b32_e32 v229, 0
	v_mad_u64_u32 v[226:227], s[20:21], v227, v219, v[226:227]
	v_cvt_f32_i32_e32 v226, v226
	v_dot4c_i32_i8_e32 v228, v109, v13
	v_dot4c_i32_i8_e32 v229, v120, v8
	;; [unrolled: 1-line block ×6, first 2 shown]
	v_fmac_f32_e32 v135, v207, v230
	v_dot4c_i32_i8_e32 v229, v117, v11
	v_fma_f32 v230, v130, v226, 0
	v_mul_lo_u32 v226, v228, v221
	v_mov_b32_e32 v228, 0
	v_mad_u64_u32 v[226:227], s[20:21], v229, v220, v[226:227]
	v_cvt_f32_i32_e32 v226, v226
	v_mov_b32_e32 v227, 0
	v_mov_b32_e32 v229, 0
	v_fmac_f32_e32 v230, v131, v226
	v_mov_b32_e32 v226, 0
	v_dot4c_i32_i8_e32 v226, v118, v12
	v_mov_b32_e32 v12, 0
	v_dot4c_i32_i8_e32 v12, v124, v8
	;; [unrolled: 2-line block ×3, first 2 shown]
	v_dot4c_i32_i8_e32 v8, v113, v5
	v_mov_b32_e32 v5, 0
	v_dot4c_i32_i8_e32 v5, v102, v0
	v_dot4c_i32_i8_e32 v8, v110, v6
	v_dot4c_i32_i8_e32 v5, v103, v1
	v_dot4c_i32_i8_e32 v8, v111, v7
	v_dot4c_i32_i8_e32 v5, v98, v2
	v_dot4c_i32_i8_e32 v5, v99, v3
	v_dot4c_i32_i8_e32 v226, v119, v13
	v_mul_lo_u32 v4, v8, v222
	v_dot4c_i32_i8_e32 v226, v114, v14
	v_mad_u64_u32 v[0:1], s[20:21], v5, v223, v[4:5]
	v_cvt_f32_i32_e32 v0, v0
	v_dot4c_i32_i8_e32 v12, v125, v9
	v_dot4c_i32_i8_e32 v226, v115, v15
	;; [unrolled: 1-line block ×4, first 2 shown]
	v_fma_f32 v2, v130, v0, 0
	v_mul_lo_u32 v0, v226, v225
	v_mov_b32_e32 v226, 0
	v_mad_u64_u32 v[0:1], s[20:21], v12, v224, v[0:1]
	v_cvt_f32_i32_e32 v0, v0
	v_fmac_f32_e32 v133, v208, v230
	v_fmac_f32_e32 v2, v131, v0
	v_or_b32_e32 v0, s1, v178
	v_lshlrev_b32_e32 v12, 2, v0
	v_lshrrev_b32_e32 v130, 1, v0
	v_fmac_f32_e32 v65, v209, v2
	ds_read_b128 v[0:3], v12 offset:33280
	ds_read_b128 v[4:7], v12 offset:33296
	ds_read_b128 v[8:11], v12 offset:33312
	ds_read_b128 v[12:15], v12 offset:33328
	ds_read_b64 v[130:131], v130 offset:43584
	s_waitcnt lgkmcnt(4)
	v_dot4c_i32_i8_e32 v227, v68, v0
	s_waitcnt lgkmcnt(3)
	v_dot4c_i32_i8_e32 v226, v72, v4
	v_dot4c_i32_i8_e32 v226, v73, v5
	;; [unrolled: 1-line block ×7, first 2 shown]
	s_waitcnt lgkmcnt(1)
	v_dot4c_i32_i8_e32 v228, v128, v12
	v_mul_lo_u32 v226, v226, v210
	v_dot4c_i32_i8_e32 v228, v129, v13
	v_mad_u64_u32 v[226:227], s[20:21], v227, v211, v[226:227]
	v_cvt_f32_i32_e32 v226, v226
	v_dot4c_i32_i8_e32 v229, v84, v8
	v_dot4c_i32_i8_e32 v228, v126, v14
	;; [unrolled: 1-line block ×6, first 2 shown]
	s_waitcnt lgkmcnt(0)
	v_fma_f32 v230, v130, v226, 0
	v_mul_lo_u32 v226, v228, v213
	v_mov_b32_e32 v228, 0
	v_mad_u64_u32 v[226:227], s[20:21], v229, v212, v[226:227]
	v_cvt_f32_i32_e32 v226, v226
	v_mov_b32_e32 v227, 0
	v_dot4c_i32_i8_e32 v227, v76, v0
	v_dot4c_i32_i8_e32 v227, v77, v1
	v_fmac_f32_e32 v230, v131, v226
	v_mov_b32_e32 v226, 0
	v_dot4c_i32_i8_e32 v226, v80, v4
	v_dot4c_i32_i8_e32 v226, v81, v5
	;; [unrolled: 1-line block ×7, first 2 shown]
	v_mul_lo_u32 v226, v226, v214
	v_mov_b32_e32 v229, 0
	v_mad_u64_u32 v[226:227], s[20:21], v227, v215, v[226:227]
	v_cvt_f32_i32_e32 v226, v226
	v_dot4c_i32_i8_e32 v228, v89, v13
	v_dot4c_i32_i8_e32 v229, v104, v8
	;; [unrolled: 1-line block ×6, first 2 shown]
	v_fmac_f32_e32 v61, v206, v230
	v_dot4c_i32_i8_e32 v229, v101, v11
	v_fma_f32 v230, v130, v226, 0
	v_mul_lo_u32 v226, v228, v217
	v_mov_b32_e32 v228, 0
	v_mad_u64_u32 v[226:227], s[20:21], v229, v216, v[226:227]
	v_cvt_f32_i32_e32 v226, v226
	v_mov_b32_e32 v227, 0
	v_dot4c_i32_i8_e32 v227, v92, v0
	v_dot4c_i32_i8_e32 v227, v93, v1
	v_fmac_f32_e32 v230, v131, v226
	v_mov_b32_e32 v226, 0
	v_dot4c_i32_i8_e32 v226, v96, v4
	v_dot4c_i32_i8_e32 v226, v97, v5
	;; [unrolled: 1-line block ×7, first 2 shown]
	v_mul_lo_u32 v226, v226, v218
	v_mov_b32_e32 v229, 0
	v_mad_u64_u32 v[226:227], s[20:21], v227, v219, v[226:227]
	v_cvt_f32_i32_e32 v226, v226
	v_dot4c_i32_i8_e32 v228, v109, v13
	v_dot4c_i32_i8_e32 v229, v120, v8
	;; [unrolled: 1-line block ×6, first 2 shown]
	v_fmac_f32_e32 v59, v207, v230
	v_dot4c_i32_i8_e32 v229, v117, v11
	v_fma_f32 v230, v130, v226, 0
	v_mul_lo_u32 v226, v228, v221
	v_mov_b32_e32 v228, 0
	v_mad_u64_u32 v[226:227], s[20:21], v229, v220, v[226:227]
	v_cvt_f32_i32_e32 v226, v226
	v_mov_b32_e32 v227, 0
	v_mov_b32_e32 v229, 0
	v_fmac_f32_e32 v230, v131, v226
	v_mov_b32_e32 v226, 0
	v_dot4c_i32_i8_e32 v226, v118, v12
	v_mov_b32_e32 v12, 0
	v_dot4c_i32_i8_e32 v12, v124, v8
	;; [unrolled: 2-line block ×3, first 2 shown]
	v_dot4c_i32_i8_e32 v8, v113, v5
	v_mov_b32_e32 v5, 0
	v_dot4c_i32_i8_e32 v5, v102, v0
	v_dot4c_i32_i8_e32 v8, v110, v6
	v_dot4c_i32_i8_e32 v5, v103, v1
	v_dot4c_i32_i8_e32 v8, v111, v7
	v_dot4c_i32_i8_e32 v5, v98, v2
	v_dot4c_i32_i8_e32 v5, v99, v3
	v_dot4c_i32_i8_e32 v226, v119, v13
	v_mul_lo_u32 v4, v8, v222
	v_dot4c_i32_i8_e32 v226, v114, v14
	v_mad_u64_u32 v[0:1], s[20:21], v5, v223, v[4:5]
	v_cvt_f32_i32_e32 v0, v0
	v_dot4c_i32_i8_e32 v12, v125, v9
	v_dot4c_i32_i8_e32 v226, v115, v15
	v_dot4c_i32_i8_e32 v12, v122, v10
	v_dot4c_i32_i8_e32 v12, v123, v11
	v_fma_f32 v2, v130, v0, 0
	v_mul_lo_u32 v0, v226, v225
	v_mov_b32_e32 v226, 0
	v_mad_u64_u32 v[0:1], s[20:21], v12, v224, v[0:1]
	v_cvt_f32_i32_e32 v0, v0
	v_fmac_f32_e32 v55, v208, v230
	v_fmac_f32_e32 v2, v131, v0
	v_or_b32_e32 v0, s1, v181
	v_lshlrev_b32_e32 v12, 2, v0
	v_lshrrev_b32_e32 v130, 1, v0
	v_fmac_f32_e32 v53, v209, v2
	ds_read_b128 v[0:3], v12 offset:33280
	ds_read_b128 v[4:7], v12 offset:33296
	;; [unrolled: 1-line block ×4, first 2 shown]
	ds_read_b64 v[130:131], v130 offset:43584
	s_waitcnt lgkmcnt(4)
	v_dot4c_i32_i8_e32 v227, v68, v0
	s_waitcnt lgkmcnt(3)
	v_dot4c_i32_i8_e32 v226, v72, v4
	v_dot4c_i32_i8_e32 v226, v73, v5
	v_dot4c_i32_i8_e32 v226, v70, v6
	v_dot4c_i32_i8_e32 v227, v69, v1
	v_dot4c_i32_i8_e32 v226, v71, v7
	v_dot4c_i32_i8_e32 v227, v66, v2
	v_dot4c_i32_i8_e32 v227, v67, v3
	s_waitcnt lgkmcnt(1)
	v_dot4c_i32_i8_e32 v228, v128, v12
	v_mul_lo_u32 v226, v226, v210
	v_dot4c_i32_i8_e32 v228, v129, v13
	v_mad_u64_u32 v[226:227], s[20:21], v227, v211, v[226:227]
	v_cvt_f32_i32_e32 v226, v226
	v_dot4c_i32_i8_e32 v229, v84, v8
	v_dot4c_i32_i8_e32 v228, v126, v14
	v_dot4c_i32_i8_e32 v229, v85, v9
	v_dot4c_i32_i8_e32 v228, v127, v15
	v_dot4c_i32_i8_e32 v229, v82, v10
	v_dot4c_i32_i8_e32 v229, v83, v11
	s_waitcnt lgkmcnt(0)
	v_fma_f32 v230, v130, v226, 0
	v_mul_lo_u32 v226, v228, v213
	v_mov_b32_e32 v228, 0
	v_mad_u64_u32 v[226:227], s[20:21], v229, v212, v[226:227]
	v_cvt_f32_i32_e32 v226, v226
	v_mov_b32_e32 v227, 0
	v_dot4c_i32_i8_e32 v227, v76, v0
	v_dot4c_i32_i8_e32 v227, v77, v1
	v_fmac_f32_e32 v230, v131, v226
	v_mov_b32_e32 v226, 0
	v_dot4c_i32_i8_e32 v226, v80, v4
	v_dot4c_i32_i8_e32 v226, v81, v5
	;; [unrolled: 1-line block ×7, first 2 shown]
	v_mul_lo_u32 v226, v226, v214
	v_mov_b32_e32 v229, 0
	v_mad_u64_u32 v[226:227], s[20:21], v227, v215, v[226:227]
	v_cvt_f32_i32_e32 v226, v226
	v_dot4c_i32_i8_e32 v228, v89, v13
	v_dot4c_i32_i8_e32 v229, v104, v8
	;; [unrolled: 1-line block ×6, first 2 shown]
	v_fmac_f32_e32 v51, v206, v230
	v_dot4c_i32_i8_e32 v229, v101, v11
	v_fma_f32 v230, v130, v226, 0
	v_mul_lo_u32 v226, v228, v217
	v_mov_b32_e32 v228, 0
	v_mad_u64_u32 v[226:227], s[20:21], v229, v216, v[226:227]
	v_cvt_f32_i32_e32 v226, v226
	v_mov_b32_e32 v227, 0
	v_dot4c_i32_i8_e32 v227, v92, v0
	v_dot4c_i32_i8_e32 v227, v93, v1
	v_fmac_f32_e32 v230, v131, v226
	v_mov_b32_e32 v226, 0
	v_dot4c_i32_i8_e32 v226, v96, v4
	v_dot4c_i32_i8_e32 v226, v97, v5
	;; [unrolled: 1-line block ×7, first 2 shown]
	v_mul_lo_u32 v226, v226, v218
	v_mov_b32_e32 v229, 0
	v_mad_u64_u32 v[226:227], s[20:21], v227, v219, v[226:227]
	v_cvt_f32_i32_e32 v226, v226
	v_dot4c_i32_i8_e32 v228, v109, v13
	v_dot4c_i32_i8_e32 v229, v120, v8
	;; [unrolled: 1-line block ×6, first 2 shown]
	v_fmac_f32_e32 v49, v207, v230
	v_dot4c_i32_i8_e32 v229, v117, v11
	v_fma_f32 v230, v130, v226, 0
	v_mul_lo_u32 v226, v228, v221
	v_mov_b32_e32 v228, 0
	v_mad_u64_u32 v[226:227], s[20:21], v229, v220, v[226:227]
	v_cvt_f32_i32_e32 v226, v226
	v_mov_b32_e32 v227, 0
	v_mov_b32_e32 v229, 0
	v_fmac_f32_e32 v230, v131, v226
	v_mov_b32_e32 v226, 0
	v_dot4c_i32_i8_e32 v226, v118, v12
	v_mov_b32_e32 v12, 0
	v_dot4c_i32_i8_e32 v12, v124, v8
	;; [unrolled: 2-line block ×3, first 2 shown]
	v_dot4c_i32_i8_e32 v8, v113, v5
	v_mov_b32_e32 v5, 0
	v_dot4c_i32_i8_e32 v5, v102, v0
	v_dot4c_i32_i8_e32 v8, v110, v6
	v_dot4c_i32_i8_e32 v5, v103, v1
	v_dot4c_i32_i8_e32 v8, v111, v7
	v_dot4c_i32_i8_e32 v5, v98, v2
	v_dot4c_i32_i8_e32 v5, v99, v3
	v_dot4c_i32_i8_e32 v226, v119, v13
	v_mul_lo_u32 v4, v8, v222
	v_dot4c_i32_i8_e32 v226, v114, v14
	v_mad_u64_u32 v[0:1], s[20:21], v5, v223, v[4:5]
	v_cvt_f32_i32_e32 v0, v0
	v_dot4c_i32_i8_e32 v12, v125, v9
	v_dot4c_i32_i8_e32 v226, v115, v15
	v_dot4c_i32_i8_e32 v12, v122, v10
	v_dot4c_i32_i8_e32 v12, v123, v11
	v_fma_f32 v2, v130, v0, 0
	v_mul_lo_u32 v0, v226, v225
	v_mov_b32_e32 v226, 0
	v_mad_u64_u32 v[0:1], s[20:21], v12, v224, v[0:1]
	v_cvt_f32_i32_e32 v0, v0
	v_fmac_f32_e32 v47, v208, v230
	v_fmac_f32_e32 v2, v131, v0
	v_or_b32_e32 v0, s1, v184
	v_lshlrev_b32_e32 v12, 2, v0
	v_lshrrev_b32_e32 v130, 1, v0
	v_fmac_f32_e32 v45, v209, v2
	ds_read_b128 v[0:3], v12 offset:33280
	ds_read_b128 v[4:7], v12 offset:33296
	;; [unrolled: 1-line block ×4, first 2 shown]
	ds_read_b64 v[130:131], v130 offset:43584
	s_waitcnt lgkmcnt(4)
	v_dot4c_i32_i8_e32 v227, v68, v0
	s_waitcnt lgkmcnt(3)
	v_dot4c_i32_i8_e32 v226, v72, v4
	v_dot4c_i32_i8_e32 v226, v73, v5
	;; [unrolled: 1-line block ×7, first 2 shown]
	s_waitcnt lgkmcnt(1)
	v_dot4c_i32_i8_e32 v228, v128, v12
	v_mul_lo_u32 v226, v226, v210
	v_dot4c_i32_i8_e32 v228, v129, v13
	v_mad_u64_u32 v[226:227], s[20:21], v227, v211, v[226:227]
	v_cvt_f32_i32_e32 v226, v226
	v_dot4c_i32_i8_e32 v229, v84, v8
	v_dot4c_i32_i8_e32 v228, v126, v14
	;; [unrolled: 1-line block ×6, first 2 shown]
	s_waitcnt lgkmcnt(0)
	v_fma_f32 v230, v130, v226, 0
	v_mul_lo_u32 v226, v228, v213
	v_mov_b32_e32 v228, 0
	v_mad_u64_u32 v[226:227], s[20:21], v229, v212, v[226:227]
	v_cvt_f32_i32_e32 v226, v226
	v_mov_b32_e32 v227, 0
	v_dot4c_i32_i8_e32 v227, v76, v0
	v_dot4c_i32_i8_e32 v227, v77, v1
	v_fmac_f32_e32 v230, v131, v226
	v_mov_b32_e32 v226, 0
	v_dot4c_i32_i8_e32 v226, v80, v4
	v_dot4c_i32_i8_e32 v226, v81, v5
	;; [unrolled: 1-line block ×7, first 2 shown]
	v_mul_lo_u32 v226, v226, v214
	v_mov_b32_e32 v229, 0
	v_mad_u64_u32 v[226:227], s[20:21], v227, v215, v[226:227]
	v_cvt_f32_i32_e32 v226, v226
	v_dot4c_i32_i8_e32 v228, v89, v13
	v_dot4c_i32_i8_e32 v229, v104, v8
	;; [unrolled: 1-line block ×6, first 2 shown]
	v_fmac_f32_e32 v43, v206, v230
	v_dot4c_i32_i8_e32 v229, v101, v11
	v_fma_f32 v230, v130, v226, 0
	v_mul_lo_u32 v226, v228, v217
	v_mov_b32_e32 v228, 0
	v_mad_u64_u32 v[226:227], s[20:21], v229, v216, v[226:227]
	v_cvt_f32_i32_e32 v226, v226
	v_mov_b32_e32 v227, 0
	v_dot4c_i32_i8_e32 v227, v92, v0
	v_dot4c_i32_i8_e32 v227, v93, v1
	v_fmac_f32_e32 v230, v131, v226
	v_mov_b32_e32 v226, 0
	v_dot4c_i32_i8_e32 v226, v96, v4
	v_dot4c_i32_i8_e32 v226, v97, v5
	;; [unrolled: 1-line block ×7, first 2 shown]
	v_mul_lo_u32 v226, v226, v218
	v_mov_b32_e32 v229, 0
	v_mad_u64_u32 v[226:227], s[20:21], v227, v219, v[226:227]
	v_cvt_f32_i32_e32 v226, v226
	v_dot4c_i32_i8_e32 v228, v109, v13
	v_dot4c_i32_i8_e32 v229, v120, v8
	v_dot4c_i32_i8_e32 v228, v106, v14
	v_dot4c_i32_i8_e32 v229, v121, v9
	v_dot4c_i32_i8_e32 v228, v107, v15
	v_dot4c_i32_i8_e32 v229, v116, v10
	v_fmac_f32_e32 v41, v207, v230
	v_dot4c_i32_i8_e32 v229, v117, v11
	v_fma_f32 v230, v130, v226, 0
	v_mul_lo_u32 v226, v228, v221
	v_mov_b32_e32 v228, 0
	v_mad_u64_u32 v[226:227], s[20:21], v229, v220, v[226:227]
	v_cvt_f32_i32_e32 v226, v226
	v_mov_b32_e32 v227, 0
	v_mov_b32_e32 v229, 0
	v_fmac_f32_e32 v230, v131, v226
	v_mov_b32_e32 v226, 0
	v_dot4c_i32_i8_e32 v226, v118, v12
	v_mov_b32_e32 v12, 0
	v_dot4c_i32_i8_e32 v12, v124, v8
	;; [unrolled: 2-line block ×3, first 2 shown]
	v_dot4c_i32_i8_e32 v8, v113, v5
	v_mov_b32_e32 v5, 0
	v_dot4c_i32_i8_e32 v5, v102, v0
	v_dot4c_i32_i8_e32 v8, v110, v6
	;; [unrolled: 1-line block ×7, first 2 shown]
	v_mul_lo_u32 v4, v8, v222
	v_dot4c_i32_i8_e32 v226, v114, v14
	v_mad_u64_u32 v[0:1], s[20:21], v5, v223, v[4:5]
	v_cvt_f32_i32_e32 v0, v0
	v_dot4c_i32_i8_e32 v12, v125, v9
	v_dot4c_i32_i8_e32 v226, v115, v15
	;; [unrolled: 1-line block ×4, first 2 shown]
	v_fma_f32 v2, v130, v0, 0
	v_mul_lo_u32 v0, v226, v225
	v_mov_b32_e32 v226, 0
	v_mad_u64_u32 v[0:1], s[20:21], v12, v224, v[0:1]
	v_cvt_f32_i32_e32 v0, v0
	v_fmac_f32_e32 v39, v208, v230
	v_fmac_f32_e32 v2, v131, v0
	v_or_b32_e32 v0, s1, v187
	v_lshlrev_b32_e32 v12, 2, v0
	v_lshrrev_b32_e32 v130, 1, v0
	v_fmac_f32_e32 v37, v209, v2
	ds_read_b128 v[0:3], v12 offset:33280
	ds_read_b128 v[4:7], v12 offset:33296
	;; [unrolled: 1-line block ×4, first 2 shown]
	ds_read_b64 v[130:131], v130 offset:43584
	s_waitcnt lgkmcnt(4)
	v_dot4c_i32_i8_e32 v227, v68, v0
	s_waitcnt lgkmcnt(3)
	v_dot4c_i32_i8_e32 v226, v72, v4
	v_dot4c_i32_i8_e32 v226, v73, v5
	;; [unrolled: 1-line block ×7, first 2 shown]
	s_waitcnt lgkmcnt(1)
	v_dot4c_i32_i8_e32 v228, v128, v12
	v_mul_lo_u32 v226, v226, v210
	v_dot4c_i32_i8_e32 v228, v129, v13
	v_mad_u64_u32 v[226:227], s[20:21], v227, v211, v[226:227]
	v_cvt_f32_i32_e32 v226, v226
	v_dot4c_i32_i8_e32 v229, v84, v8
	v_dot4c_i32_i8_e32 v228, v126, v14
	;; [unrolled: 1-line block ×6, first 2 shown]
	s_waitcnt lgkmcnt(0)
	v_fma_f32 v230, v130, v226, 0
	v_mul_lo_u32 v226, v228, v213
	v_mov_b32_e32 v228, 0
	v_mad_u64_u32 v[226:227], s[20:21], v229, v212, v[226:227]
	v_cvt_f32_i32_e32 v226, v226
	v_mov_b32_e32 v227, 0
	v_dot4c_i32_i8_e32 v227, v76, v0
	v_dot4c_i32_i8_e32 v227, v77, v1
	v_fmac_f32_e32 v230, v131, v226
	v_mov_b32_e32 v226, 0
	v_dot4c_i32_i8_e32 v226, v80, v4
	v_dot4c_i32_i8_e32 v226, v81, v5
	;; [unrolled: 1-line block ×7, first 2 shown]
	v_mul_lo_u32 v226, v226, v214
	v_mov_b32_e32 v229, 0
	v_mad_u64_u32 v[226:227], s[20:21], v227, v215, v[226:227]
	v_cvt_f32_i32_e32 v226, v226
	v_dot4c_i32_i8_e32 v228, v89, v13
	v_dot4c_i32_i8_e32 v229, v104, v8
	;; [unrolled: 1-line block ×6, first 2 shown]
	v_fmac_f32_e32 v35, v206, v230
	v_dot4c_i32_i8_e32 v229, v101, v11
	v_fma_f32 v230, v130, v226, 0
	v_mul_lo_u32 v226, v228, v217
	v_mov_b32_e32 v228, 0
	v_mad_u64_u32 v[226:227], s[20:21], v229, v216, v[226:227]
	v_cvt_f32_i32_e32 v226, v226
	v_mov_b32_e32 v227, 0
	v_dot4c_i32_i8_e32 v227, v92, v0
	v_dot4c_i32_i8_e32 v227, v93, v1
	v_fmac_f32_e32 v230, v131, v226
	v_mov_b32_e32 v226, 0
	v_dot4c_i32_i8_e32 v226, v96, v4
	v_dot4c_i32_i8_e32 v226, v97, v5
	;; [unrolled: 1-line block ×7, first 2 shown]
	v_mul_lo_u32 v226, v226, v218
	v_mov_b32_e32 v229, 0
	v_mad_u64_u32 v[226:227], s[20:21], v227, v219, v[226:227]
	v_cvt_f32_i32_e32 v226, v226
	v_dot4c_i32_i8_e32 v228, v109, v13
	v_dot4c_i32_i8_e32 v229, v120, v8
	;; [unrolled: 1-line block ×6, first 2 shown]
	v_fmac_f32_e32 v33, v207, v230
	v_dot4c_i32_i8_e32 v229, v117, v11
	v_fma_f32 v230, v130, v226, 0
	v_mul_lo_u32 v226, v228, v221
	s_nop 0
	v_mad_u64_u32 v[226:227], s[20:21], v229, v220, v[226:227]
	v_cvt_f32_i32_e32 v226, v226
	v_fmac_f32_e32 v230, v131, v226
	v_mov_b32_e32 v226, 0
	v_dot4c_i32_i8_e32 v226, v118, v12
	v_mov_b32_e32 v12, 0
	v_dot4c_i32_i8_e32 v12, v124, v8
	;; [unrolled: 2-line block ×3, first 2 shown]
	v_dot4c_i32_i8_e32 v8, v113, v5
	v_mov_b32_e32 v5, 0
	v_dot4c_i32_i8_e32 v5, v102, v0
	v_dot4c_i32_i8_e32 v8, v110, v6
	;; [unrolled: 1-line block ×7, first 2 shown]
	v_mul_lo_u32 v4, v8, v222
	v_dot4c_i32_i8_e32 v226, v114, v14
	v_mad_u64_u32 v[0:1], s[20:21], v5, v223, v[4:5]
	v_cvt_f32_i32_e32 v0, v0
	v_dot4c_i32_i8_e32 v12, v125, v9
	v_dot4c_i32_i8_e32 v226, v115, v15
	;; [unrolled: 1-line block ×4, first 2 shown]
	v_fma_f32 v2, v130, v0, 0
	v_mul_lo_u32 v0, v226, v225
	v_mov_b32_e32 v226, 0
	v_mad_u64_u32 v[0:1], s[20:21], v12, v224, v[0:1]
	v_cvt_f32_i32_e32 v0, v0
	v_fmac_f32_e32 v31, v208, v230
	v_fmac_f32_e32 v2, v131, v0
	v_or_b32_e32 v0, s1, v190
	v_lshlrev_b32_e32 v12, 2, v0
	v_lshrrev_b32_e32 v130, 1, v0
	v_fmac_f32_e32 v29, v209, v2
	ds_read_b128 v[0:3], v12 offset:33280
	ds_read_b128 v[4:7], v12 offset:33296
	;; [unrolled: 1-line block ×4, first 2 shown]
	ds_read_b64 v[130:131], v130 offset:43584
	s_add_i32 s1, s0, 8
	s_cmp_lt_u32 s0, 24
	s_mov_b32 s0, s1
	s_waitcnt lgkmcnt(1)
	v_dot4c_i32_i8_e32 v226, v128, v12
	v_dot4c_i32_i8_e32 v226, v129, v13
	;; [unrolled: 1-line block ×3, first 2 shown]
	v_mov_b32_e32 v126, 0
	v_dot4c_i32_i8_e32 v126, v84, v8
	v_dot4c_i32_i8_e32 v126, v85, v9
	;; [unrolled: 1-line block ×3, first 2 shown]
	v_mov_b32_e32 v82, 0
	v_dot4c_i32_i8_e32 v82, v72, v4
	v_dot4c_i32_i8_e32 v82, v73, v5
	;; [unrolled: 1-line block ×4, first 2 shown]
	v_mov_b32_e32 v71, 0
	v_dot4c_i32_i8_e32 v71, v68, v0
	v_dot4c_i32_i8_e32 v71, v69, v1
	;; [unrolled: 1-line block ×3, first 2 shown]
	v_mul_lo_u32 v70, v82, v210
	v_dot4c_i32_i8_e32 v71, v67, v3
	v_dot4c_i32_i8_e32 v226, v127, v15
	;; [unrolled: 1-line block ×3, first 2 shown]
	v_mov_b32_e32 v69, 0
	v_mad_u64_u32 v[66:67], s[20:21], v71, v211, v[70:71]
	v_cvt_f32_i32_e32 v66, v66
	v_dot4c_i32_i8_e32 v69, v104, v8
	v_dot4c_i32_i8_e32 v69, v105, v9
	;; [unrolled: 1-line block ×3, first 2 shown]
	s_waitcnt lgkmcnt(0)
	v_fma_f32 v68, v130, v66, 0
	v_mul_lo_u32 v66, v226, v213
	v_mad_u64_u32 v[66:67], s[20:21], v126, v212, v[66:67]
	v_cvt_f32_i32_e32 v66, v66
	v_mov_b32_e32 v67, 0
	v_dot4c_i32_i8_e32 v67, v76, v0
	v_dot4c_i32_i8_e32 v67, v77, v1
	v_fmac_f32_e32 v68, v131, v66
	v_mov_b32_e32 v66, 0
	v_dot4c_i32_i8_e32 v66, v80, v4
	v_dot4c_i32_i8_e32 v66, v81, v5
	;; [unrolled: 1-line block ×6, first 2 shown]
	v_fmac_f32_e32 v27, v206, v68
	v_mul_lo_u32 v66, v66, v214
	v_mov_b32_e32 v68, 0
	v_mad_u64_u32 v[66:67], s[20:21], v67, v215, v[66:67]
	v_dot4c_i32_i8_e32 v68, v88, v12
	v_cvt_f32_i32_e32 v66, v66
	v_dot4c_i32_i8_e32 v68, v89, v13
	v_dot4c_i32_i8_e32 v68, v86, v14
	;; [unrolled: 1-line block ×4, first 2 shown]
	v_fma_f32 v70, v130, v66, 0
	s_nop 0
	v_mul_lo_u32 v66, v68, v217
	v_mad_u64_u32 v[66:67], s[20:21], v69, v216, v[66:67]
	v_cvt_f32_i32_e32 v66, v66
	v_mov_b32_e32 v67, 0
	v_dot4c_i32_i8_e32 v67, v92, v0
	v_dot4c_i32_i8_e32 v67, v93, v1
	v_fmac_f32_e32 v70, v131, v66
	v_mov_b32_e32 v66, 0
	v_dot4c_i32_i8_e32 v66, v96, v4
	v_dot4c_i32_i8_e32 v66, v97, v5
	;; [unrolled: 1-line block ×6, first 2 shown]
	v_mov_b32_e32 v68, 0
	v_mul_lo_u32 v66, v66, v218
	v_dot4c_i32_i8_e32 v68, v108, v12
	v_mad_u64_u32 v[66:67], s[20:21], v67, v219, v[66:67]
	v_mov_b32_e32 v69, 0
	v_cvt_f32_i32_e32 v66, v66
	v_dot4c_i32_i8_e32 v68, v109, v13
	v_dot4c_i32_i8_e32 v69, v120, v8
	;; [unrolled: 1-line block ×6, first 2 shown]
	v_fmac_f32_e32 v25, v207, v70
	v_dot4c_i32_i8_e32 v69, v117, v11
	v_fma_f32 v70, v130, v66, 0
	v_mul_lo_u32 v66, v68, v221
	s_nop 0
	v_mad_u64_u32 v[66:67], s[20:21], v69, v220, v[66:67]
	v_cvt_f32_i32_e32 v66, v66
	v_fmac_f32_e32 v70, v131, v66
	v_mov_b32_e32 v66, 0
	v_dot4c_i32_i8_e32 v66, v118, v12
	v_mov_b32_e32 v12, 0
	v_dot4c_i32_i8_e32 v12, v124, v8
	v_mov_b32_e32 v8, 0
	v_dot4c_i32_i8_e32 v8, v112, v4
	v_dot4c_i32_i8_e32 v8, v113, v5
	v_mov_b32_e32 v5, 0
	v_dot4c_i32_i8_e32 v5, v102, v0
	v_dot4c_i32_i8_e32 v8, v110, v6
	;; [unrolled: 1-line block ×7, first 2 shown]
	v_mul_lo_u32 v4, v8, v222
	v_dot4c_i32_i8_e32 v66, v114, v14
	v_mad_u64_u32 v[0:1], s[20:21], v5, v223, v[4:5]
	v_cvt_f32_i32_e32 v0, v0
	v_dot4c_i32_i8_e32 v12, v125, v9
	v_dot4c_i32_i8_e32 v66, v115, v15
	;; [unrolled: 1-line block ×4, first 2 shown]
	v_fma_f32 v2, v130, v0, 0
	v_mul_lo_u32 v0, v66, v225
	v_fmac_f32_e32 v23, v208, v70
	v_mad_u64_u32 v[0:1], s[20:21], v12, v224, v[0:1]
	v_cvt_f32_i32_e32 v0, v0
	v_fmac_f32_e32 v2, v131, v0
	v_fmac_f32_e32 v17, v209, v2
	s_cbranch_scc1 .LBB175_8
; %bb.9:                                ;   in Loop: Header=BB175_5 Depth=1
	s_add_i32 s14, s14, 1
	s_cmp_eq_u32 s14, s4
	s_barrier
	s_cbranch_scc0 .LBB175_5
; %bb.10:
	v_mov_b32_e32 v1, v134
.LBB175_11:
	v_cmp_gt_u32_e32 vcc, s8, v138
	s_and_saveexec_b64 s[0:1], vcc
	s_cbranch_execz .LBB175_62
; %bb.12:
	v_add_u32_e32 v0, s6, v132
	v_mul_lo_u32 v5, v138, s10
	v_cmp_gt_u32_e32 vcc, s10, v0
	s_and_saveexec_b64 s[2:3], vcc
	s_cbranch_execz .LBB175_14
; %bb.13:
	v_bfe_u32 v2, v168, 16, 1
	s_movk_i32 s0, 0x7fff
	v_add3_u32 v2, v168, v2, s0
	v_lshrrev_b32_e32 v2, 16, v2
	v_mov_b32_e32 v3, 0x7fc0
	v_cmp_o_f32_e64 s[0:1], v168, v168
	s_nop 1
	v_cndmask_b32_e64 v4, v3, v2, s[0:1]
	v_add_u32_e32 v2, v0, v5
	v_mov_b32_e32 v3, 0
	s_waitcnt lgkmcnt(0)
	v_lshl_add_u64 v[2:3], v[2:3], 1, s[12:13]
	global_store_short v[2:3], v4, off
.LBB175_14:
	s_or_b64 exec, exec, s[2:3]
	v_add_u32_e32 v2, 32, v0
	v_cmp_gt_u32_e64 s[0:1], s10, v2
	s_and_saveexec_b64 s[4:5], s[0:1]
	s_cbranch_execz .LBB175_16
; %bb.15:
	v_bfe_u32 v3, v164, 16, 1
	s_movk_i32 s2, 0x7fff
	v_add3_u32 v3, v164, v3, s2
	v_lshrrev_b32_e32 v3, 16, v3
	v_mov_b32_e32 v4, 0x7fc0
	v_cmp_o_f32_e64 s[2:3], v164, v164
	v_add_u32_e32 v6, v2, v5
	v_mov_b32_e32 v7, 0
	v_cndmask_b32_e64 v3, v4, v3, s[2:3]
	s_waitcnt lgkmcnt(0)
	v_lshl_add_u64 v[6:7], v[6:7], 1, s[12:13]
	global_store_short v[6:7], v3, off
.LBB175_16:
	s_or_b64 exec, exec, s[4:5]
	v_add_u32_e32 v3, 64, v0
	v_cmp_gt_u32_e64 s[2:3], s10, v3
	s_and_saveexec_b64 s[6:7], s[2:3]
	s_cbranch_execz .LBB175_18
; %bb.17:
	v_bfe_u32 v4, v161, 16, 1
	s_movk_i32 s4, 0x7fff
	v_add3_u32 v4, v161, v4, s4
	v_lshrrev_b32_e32 v4, 16, v4
	v_mov_b32_e32 v6, 0x7fc0
	v_cmp_o_f32_e64 s[4:5], v161, v161
	v_mov_b32_e32 v7, 0
	s_nop 0
	v_cndmask_b32_e64 v4, v6, v4, s[4:5]
	v_add_u32_e32 v6, v3, v5
	s_waitcnt lgkmcnt(0)
	v_lshl_add_u64 v[6:7], v[6:7], 1, s[12:13]
	global_store_short v[6:7], v4, off
.LBB175_18:
	s_or_b64 exec, exec, s[6:7]
	v_add_u32_e32 v4, 0x60, v0
	v_cmp_gt_u32_e64 s[4:5], s10, v4
	s_and_saveexec_b64 s[14:15], s[4:5]
	s_cbranch_execz .LBB175_20
; %bb.19:
	v_bfe_u32 v6, v152, 16, 1
	s_movk_i32 s6, 0x7fff
	v_add3_u32 v6, v152, v6, s6
	v_lshrrev_b32_e32 v6, 16, v6
	v_mov_b32_e32 v7, 0x7fc0
	v_cmp_o_f32_e64 s[6:7], v152, v152
	s_nop 1
	v_cndmask_b32_e64 v8, v7, v6, s[6:7]
	v_add_u32_e32 v6, v4, v5
	v_mov_b32_e32 v7, 0
	s_waitcnt lgkmcnt(0)
	v_lshl_add_u64 v[6:7], v[6:7], 1, s[12:13]
	global_store_short v[6:7], v8, off
.LBB175_20:
	s_or_b64 exec, exec, s[14:15]
	v_add3_u32 v5, v1, s11, 8
	v_cmp_gt_u32_e64 s[6:7], s8, v5
	s_and_b64 exec, exec, s[6:7]
	s_cbranch_execz .LBB175_62
; %bb.21:
	v_mul_lo_u32 v5, v5, s10
	s_and_saveexec_b64 s[14:15], vcc
	s_cbranch_execnz .LBB175_63
; %bb.22:
	s_or_b64 exec, exec, s[14:15]
	s_and_saveexec_b64 s[14:15], s[0:1]
	s_cbranch_execnz .LBB175_64
.LBB175_23:
	s_or_b64 exec, exec, s[14:15]
	s_and_saveexec_b64 s[14:15], s[2:3]
	s_cbranch_execnz .LBB175_65
.LBB175_24:
	s_or_b64 exec, exec, s[14:15]
	s_and_saveexec_b64 s[14:15], s[4:5]
	s_cbranch_execz .LBB175_26
.LBB175_25:
	v_bfe_u32 v6, v137, 16, 1
	s_movk_i32 s6, 0x7fff
	v_add3_u32 v6, v137, v6, s6
	v_lshrrev_b32_e32 v6, 16, v6
	v_mov_b32_e32 v7, 0x7fc0
	v_cmp_o_f32_e64 s[6:7], v137, v137
	s_nop 1
	v_cndmask_b32_e64 v8, v7, v6, s[6:7]
	v_add_u32_e32 v6, v5, v4
	v_mov_b32_e32 v7, 0
	s_waitcnt lgkmcnt(0)
	v_lshl_add_u64 v[6:7], v[6:7], 1, s[12:13]
	global_store_short v[6:7], v8, off
.LBB175_26:
	s_or_b64 exec, exec, s[14:15]
	v_add3_u32 v5, v1, s11, 16
	v_cmp_gt_u32_e64 s[6:7], s8, v5
	s_and_b64 exec, exec, s[6:7]
	s_cbranch_execz .LBB175_62
; %bb.27:
	v_mul_lo_u32 v5, v5, s10
	s_and_saveexec_b64 s[14:15], vcc
	s_cbranch_execnz .LBB175_66
; %bb.28:
	s_or_b64 exec, exec, s[14:15]
	s_and_saveexec_b64 s[14:15], s[0:1]
	s_cbranch_execnz .LBB175_67
.LBB175_29:
	s_or_b64 exec, exec, s[14:15]
	s_and_saveexec_b64 s[14:15], s[2:3]
	s_cbranch_execnz .LBB175_68
.LBB175_30:
	s_or_b64 exec, exec, s[14:15]
	s_and_saveexec_b64 s[14:15], s[4:5]
	s_cbranch_execz .LBB175_32
.LBB175_31:
	v_bfe_u32 v6, v65, 16, 1
	s_movk_i32 s6, 0x7fff
	v_add3_u32 v6, v65, v6, s6
	v_lshrrev_b32_e32 v6, 16, v6
	v_mov_b32_e32 v7, 0x7fc0
	v_cmp_o_f32_e64 s[6:7], v65, v65
	s_nop 1
	v_cndmask_b32_e64 v8, v7, v6, s[6:7]
	v_add_u32_e32 v6, v5, v4
	v_mov_b32_e32 v7, 0
	s_waitcnt lgkmcnt(0)
	v_lshl_add_u64 v[6:7], v[6:7], 1, s[12:13]
	global_store_short v[6:7], v8, off
.LBB175_32:
	s_or_b64 exec, exec, s[14:15]
	v_add3_u32 v5, v1, s11, 24
	v_cmp_gt_u32_e64 s[6:7], s8, v5
	s_and_b64 exec, exec, s[6:7]
	s_cbranch_execz .LBB175_62
; %bb.33:
	v_mul_lo_u32 v5, v5, s10
	s_and_saveexec_b64 s[14:15], vcc
	s_cbranch_execnz .LBB175_69
; %bb.34:
	s_or_b64 exec, exec, s[14:15]
	s_and_saveexec_b64 s[14:15], s[0:1]
	s_cbranch_execnz .LBB175_70
.LBB175_35:
	s_or_b64 exec, exec, s[14:15]
	s_and_saveexec_b64 s[14:15], s[2:3]
	s_cbranch_execnz .LBB175_71
.LBB175_36:
	s_or_b64 exec, exec, s[14:15]
	s_and_saveexec_b64 s[14:15], s[4:5]
	s_cbranch_execz .LBB175_38
.LBB175_37:
	v_bfe_u32 v6, v53, 16, 1
	s_movk_i32 s6, 0x7fff
	v_add3_u32 v6, v53, v6, s6
	v_lshrrev_b32_e32 v6, 16, v6
	v_mov_b32_e32 v7, 0x7fc0
	v_cmp_o_f32_e64 s[6:7], v53, v53
	s_nop 1
	v_cndmask_b32_e64 v8, v7, v6, s[6:7]
	v_add_u32_e32 v6, v5, v4
	v_mov_b32_e32 v7, 0
	s_waitcnt lgkmcnt(0)
	v_lshl_add_u64 v[6:7], v[6:7], 1, s[12:13]
	global_store_short v[6:7], v8, off
.LBB175_38:
	s_or_b64 exec, exec, s[14:15]
	v_add3_u32 v5, v1, s11, 32
	v_cmp_gt_u32_e64 s[6:7], s8, v5
	s_and_b64 exec, exec, s[6:7]
	s_cbranch_execz .LBB175_62
; %bb.39:
	v_mul_lo_u32 v5, v5, s10
	s_and_saveexec_b64 s[14:15], vcc
	s_cbranch_execnz .LBB175_72
; %bb.40:
	s_or_b64 exec, exec, s[14:15]
	s_and_saveexec_b64 s[14:15], s[0:1]
	s_cbranch_execnz .LBB175_73
.LBB175_41:
	s_or_b64 exec, exec, s[14:15]
	s_and_saveexec_b64 s[14:15], s[2:3]
	s_cbranch_execnz .LBB175_74
.LBB175_42:
	s_or_b64 exec, exec, s[14:15]
	s_and_saveexec_b64 s[14:15], s[4:5]
	s_cbranch_execz .LBB175_44
.LBB175_43:
	v_bfe_u32 v6, v45, 16, 1
	s_movk_i32 s6, 0x7fff
	v_add3_u32 v6, v45, v6, s6
	v_lshrrev_b32_e32 v6, 16, v6
	v_mov_b32_e32 v7, 0x7fc0
	v_cmp_o_f32_e64 s[6:7], v45, v45
	s_nop 1
	v_cndmask_b32_e64 v8, v7, v6, s[6:7]
	v_add_u32_e32 v6, v5, v4
	v_mov_b32_e32 v7, 0
	s_waitcnt lgkmcnt(0)
	v_lshl_add_u64 v[6:7], v[6:7], 1, s[12:13]
	global_store_short v[6:7], v8, off
.LBB175_44:
	s_or_b64 exec, exec, s[14:15]
	v_add3_u32 v5, v1, s11, 40
	v_cmp_gt_u32_e64 s[6:7], s8, v5
	s_and_b64 exec, exec, s[6:7]
	s_cbranch_execz .LBB175_62
; %bb.45:
	v_mul_lo_u32 v5, v5, s10
	s_and_saveexec_b64 s[14:15], vcc
	s_cbranch_execnz .LBB175_75
; %bb.46:
	s_or_b64 exec, exec, s[14:15]
	s_and_saveexec_b64 s[14:15], s[0:1]
	s_cbranch_execnz .LBB175_76
.LBB175_47:
	s_or_b64 exec, exec, s[14:15]
	s_and_saveexec_b64 s[14:15], s[2:3]
	s_cbranch_execnz .LBB175_77
.LBB175_48:
	s_or_b64 exec, exec, s[14:15]
	s_and_saveexec_b64 s[14:15], s[4:5]
	s_cbranch_execz .LBB175_50
.LBB175_49:
	v_bfe_u32 v6, v37, 16, 1
	s_movk_i32 s6, 0x7fff
	v_add3_u32 v6, v37, v6, s6
	v_lshrrev_b32_e32 v6, 16, v6
	v_mov_b32_e32 v7, 0x7fc0
	v_cmp_o_f32_e64 s[6:7], v37, v37
	s_nop 1
	v_cndmask_b32_e64 v8, v7, v6, s[6:7]
	v_add_u32_e32 v6, v5, v4
	v_mov_b32_e32 v7, 0
	s_waitcnt lgkmcnt(0)
	v_lshl_add_u64 v[6:7], v[6:7], 1, s[12:13]
	global_store_short v[6:7], v8, off
.LBB175_50:
	s_or_b64 exec, exec, s[14:15]
	v_add3_u32 v5, v1, s11, 48
	v_cmp_gt_u32_e64 s[6:7], s8, v5
	s_and_b64 exec, exec, s[6:7]
	s_cbranch_execz .LBB175_62
; %bb.51:
	v_mul_lo_u32 v5, v5, s10
	s_and_saveexec_b64 s[14:15], vcc
	s_cbranch_execnz .LBB175_78
; %bb.52:
	s_or_b64 exec, exec, s[14:15]
	s_and_saveexec_b64 s[14:15], s[0:1]
	s_cbranch_execnz .LBB175_79
.LBB175_53:
	s_or_b64 exec, exec, s[14:15]
	s_and_saveexec_b64 s[14:15], s[2:3]
	s_cbranch_execnz .LBB175_80
.LBB175_54:
	s_or_b64 exec, exec, s[14:15]
	s_and_saveexec_b64 s[14:15], s[4:5]
	s_cbranch_execz .LBB175_56
.LBB175_55:
	v_bfe_u32 v6, v29, 16, 1
	s_movk_i32 s6, 0x7fff
	v_add3_u32 v6, v29, v6, s6
	v_lshrrev_b32_e32 v6, 16, v6
	v_mov_b32_e32 v7, 0x7fc0
	v_cmp_o_f32_e64 s[6:7], v29, v29
	s_nop 1
	v_cndmask_b32_e64 v8, v7, v6, s[6:7]
	v_add_u32_e32 v6, v5, v4
	v_mov_b32_e32 v7, 0
	s_waitcnt lgkmcnt(0)
	v_lshl_add_u64 v[6:7], v[6:7], 1, s[12:13]
	global_store_short v[6:7], v8, off
.LBB175_56:
	s_or_b64 exec, exec, s[14:15]
	v_add3_u32 v1, v1, s11, 56
	v_cmp_gt_u32_e64 s[6:7], s8, v1
	s_and_b64 exec, exec, s[6:7]
	s_cbranch_execz .LBB175_62
; %bb.57:
	v_mul_lo_u32 v1, v1, s10
	s_and_saveexec_b64 s[6:7], vcc
	s_cbranch_execnz .LBB175_81
; %bb.58:
	s_or_b64 exec, exec, s[6:7]
	s_and_saveexec_b64 s[6:7], s[0:1]
	s_cbranch_execnz .LBB175_82
.LBB175_59:
	s_or_b64 exec, exec, s[6:7]
	s_and_saveexec_b64 s[0:1], s[2:3]
	s_cbranch_execnz .LBB175_83
.LBB175_60:
	s_or_b64 exec, exec, s[0:1]
	s_and_b64 exec, exec, s[4:5]
	s_cbranch_execz .LBB175_62
.LBB175_61:
	v_bfe_u32 v0, v17, 16, 1
	s_movk_i32 s0, 0x7fff
	v_add3_u32 v0, v17, v0, s0
	v_lshrrev_b32_e32 v0, 16, v0
	v_mov_b32_e32 v2, 0x7fc0
	v_cmp_o_f32_e32 vcc, v17, v17
	s_nop 1
	v_cndmask_b32_e32 v2, v2, v0, vcc
	v_add_u32_e32 v0, v1, v4
	v_mov_b32_e32 v1, 0
	s_waitcnt lgkmcnt(0)
	v_lshl_add_u64 v[0:1], v[0:1], 1, s[12:13]
	global_store_short v[0:1], v2, off
.LBB175_62:
	s_endpgm
.LBB175_63:
	v_bfe_u32 v6, v142, 16, 1
	s_movk_i32 s6, 0x7fff
	v_add3_u32 v6, v142, v6, s6
	v_lshrrev_b32_e32 v6, 16, v6
	v_mov_b32_e32 v7, 0x7fc0
	v_cmp_o_f32_e64 s[6:7], v142, v142
	s_nop 1
	v_cndmask_b32_e64 v8, v7, v6, s[6:7]
	v_add_u32_e32 v6, v5, v0
	v_mov_b32_e32 v7, 0
	s_waitcnt lgkmcnt(0)
	v_lshl_add_u64 v[6:7], v[6:7], 1, s[12:13]
	global_store_short v[6:7], v8, off
	s_or_b64 exec, exec, s[14:15]
	s_and_saveexec_b64 s[14:15], s[0:1]
	s_cbranch_execz .LBB175_23
.LBB175_64:
	v_bfe_u32 v6, v140, 16, 1
	s_movk_i32 s6, 0x7fff
	v_add3_u32 v6, v140, v6, s6
	v_lshrrev_b32_e32 v6, 16, v6
	v_mov_b32_e32 v7, 0x7fc0
	v_cmp_o_f32_e64 s[6:7], v140, v140
	s_nop 1
	v_cndmask_b32_e64 v8, v7, v6, s[6:7]
	v_add_u32_e32 v6, v5, v2
	v_mov_b32_e32 v7, 0
	s_waitcnt lgkmcnt(0)
	v_lshl_add_u64 v[6:7], v[6:7], 1, s[12:13]
	global_store_short v[6:7], v8, off
	s_or_b64 exec, exec, s[14:15]
	s_and_saveexec_b64 s[14:15], s[2:3]
	s_cbranch_execz .LBB175_24
.LBB175_65:
	v_bfe_u32 v6, v139, 16, 1
	s_movk_i32 s6, 0x7fff
	v_add3_u32 v6, v139, v6, s6
	v_lshrrev_b32_e32 v6, 16, v6
	v_mov_b32_e32 v7, 0x7fc0
	v_cmp_o_f32_e64 s[6:7], v139, v139
	s_nop 1
	v_cndmask_b32_e64 v8, v7, v6, s[6:7]
	v_add_u32_e32 v6, v5, v3
	v_mov_b32_e32 v7, 0
	s_waitcnt lgkmcnt(0)
	v_lshl_add_u64 v[6:7], v[6:7], 1, s[12:13]
	global_store_short v[6:7], v8, off
	s_or_b64 exec, exec, s[14:15]
	s_and_saveexec_b64 s[14:15], s[4:5]
	s_cbranch_execnz .LBB175_25
	s_branch .LBB175_26
.LBB175_66:
	v_bfe_u32 v6, v136, 16, 1
	s_movk_i32 s6, 0x7fff
	v_add3_u32 v6, v136, v6, s6
	v_lshrrev_b32_e32 v6, 16, v6
	v_mov_b32_e32 v7, 0x7fc0
	v_cmp_o_f32_e64 s[6:7], v136, v136
	s_nop 1
	v_cndmask_b32_e64 v8, v7, v6, s[6:7]
	v_add_u32_e32 v6, v5, v0
	v_mov_b32_e32 v7, 0
	s_waitcnt lgkmcnt(0)
	v_lshl_add_u64 v[6:7], v[6:7], 1, s[12:13]
	global_store_short v[6:7], v8, off
	s_or_b64 exec, exec, s[14:15]
	s_and_saveexec_b64 s[14:15], s[0:1]
	s_cbranch_execz .LBB175_29
.LBB175_67:
	v_bfe_u32 v6, v135, 16, 1
	s_movk_i32 s6, 0x7fff
	v_add3_u32 v6, v135, v6, s6
	v_lshrrev_b32_e32 v6, 16, v6
	v_mov_b32_e32 v7, 0x7fc0
	v_cmp_o_f32_e64 s[6:7], v135, v135
	s_nop 1
	v_cndmask_b32_e64 v8, v7, v6, s[6:7]
	v_add_u32_e32 v6, v5, v2
	v_mov_b32_e32 v7, 0
	s_waitcnt lgkmcnt(0)
	v_lshl_add_u64 v[6:7], v[6:7], 1, s[12:13]
	global_store_short v[6:7], v8, off
	s_or_b64 exec, exec, s[14:15]
	s_and_saveexec_b64 s[14:15], s[2:3]
	s_cbranch_execz .LBB175_30
.LBB175_68:
	v_bfe_u32 v6, v133, 16, 1
	s_movk_i32 s6, 0x7fff
	v_add3_u32 v6, v133, v6, s6
	v_lshrrev_b32_e32 v6, 16, v6
	v_mov_b32_e32 v7, 0x7fc0
	v_cmp_o_f32_e64 s[6:7], v133, v133
	s_nop 1
	v_cndmask_b32_e64 v8, v7, v6, s[6:7]
	v_add_u32_e32 v6, v5, v3
	v_mov_b32_e32 v7, 0
	s_waitcnt lgkmcnt(0)
	v_lshl_add_u64 v[6:7], v[6:7], 1, s[12:13]
	global_store_short v[6:7], v8, off
	s_or_b64 exec, exec, s[14:15]
	s_and_saveexec_b64 s[14:15], s[4:5]
	s_cbranch_execnz .LBB175_31
	s_branch .LBB175_32
.LBB175_69:
	v_bfe_u32 v6, v61, 16, 1
	s_movk_i32 s6, 0x7fff
	v_add3_u32 v6, v61, v6, s6
	v_lshrrev_b32_e32 v6, 16, v6
	v_mov_b32_e32 v7, 0x7fc0
	v_cmp_o_f32_e64 s[6:7], v61, v61
	s_nop 1
	v_cndmask_b32_e64 v8, v7, v6, s[6:7]
	v_add_u32_e32 v6, v5, v0
	v_mov_b32_e32 v7, 0
	s_waitcnt lgkmcnt(0)
	v_lshl_add_u64 v[6:7], v[6:7], 1, s[12:13]
	global_store_short v[6:7], v8, off
	s_or_b64 exec, exec, s[14:15]
	s_and_saveexec_b64 s[14:15], s[0:1]
	s_cbranch_execz .LBB175_35
.LBB175_70:
	v_bfe_u32 v6, v59, 16, 1
	s_movk_i32 s6, 0x7fff
	v_add3_u32 v6, v59, v6, s6
	v_lshrrev_b32_e32 v6, 16, v6
	v_mov_b32_e32 v7, 0x7fc0
	v_cmp_o_f32_e64 s[6:7], v59, v59
	s_nop 1
	v_cndmask_b32_e64 v8, v7, v6, s[6:7]
	v_add_u32_e32 v6, v5, v2
	v_mov_b32_e32 v7, 0
	s_waitcnt lgkmcnt(0)
	v_lshl_add_u64 v[6:7], v[6:7], 1, s[12:13]
	global_store_short v[6:7], v8, off
	s_or_b64 exec, exec, s[14:15]
	s_and_saveexec_b64 s[14:15], s[2:3]
	s_cbranch_execz .LBB175_36
.LBB175_71:
	v_bfe_u32 v6, v55, 16, 1
	s_movk_i32 s6, 0x7fff
	v_add3_u32 v6, v55, v6, s6
	v_lshrrev_b32_e32 v6, 16, v6
	v_mov_b32_e32 v7, 0x7fc0
	v_cmp_o_f32_e64 s[6:7], v55, v55
	s_nop 1
	v_cndmask_b32_e64 v8, v7, v6, s[6:7]
	v_add_u32_e32 v6, v5, v3
	v_mov_b32_e32 v7, 0
	s_waitcnt lgkmcnt(0)
	v_lshl_add_u64 v[6:7], v[6:7], 1, s[12:13]
	global_store_short v[6:7], v8, off
	s_or_b64 exec, exec, s[14:15]
	s_and_saveexec_b64 s[14:15], s[4:5]
	s_cbranch_execnz .LBB175_37
	s_branch .LBB175_38
.LBB175_72:
	v_bfe_u32 v6, v51, 16, 1
	s_movk_i32 s6, 0x7fff
	v_add3_u32 v6, v51, v6, s6
	v_lshrrev_b32_e32 v6, 16, v6
	v_mov_b32_e32 v7, 0x7fc0
	v_cmp_o_f32_e64 s[6:7], v51, v51
	s_nop 1
	v_cndmask_b32_e64 v8, v7, v6, s[6:7]
	v_add_u32_e32 v6, v5, v0
	v_mov_b32_e32 v7, 0
	s_waitcnt lgkmcnt(0)
	v_lshl_add_u64 v[6:7], v[6:7], 1, s[12:13]
	global_store_short v[6:7], v8, off
	s_or_b64 exec, exec, s[14:15]
	s_and_saveexec_b64 s[14:15], s[0:1]
	s_cbranch_execz .LBB175_41
.LBB175_73:
	v_bfe_u32 v6, v49, 16, 1
	s_movk_i32 s6, 0x7fff
	v_add3_u32 v6, v49, v6, s6
	v_lshrrev_b32_e32 v6, 16, v6
	v_mov_b32_e32 v7, 0x7fc0
	v_cmp_o_f32_e64 s[6:7], v49, v49
	s_nop 1
	v_cndmask_b32_e64 v8, v7, v6, s[6:7]
	v_add_u32_e32 v6, v5, v2
	v_mov_b32_e32 v7, 0
	s_waitcnt lgkmcnt(0)
	v_lshl_add_u64 v[6:7], v[6:7], 1, s[12:13]
	global_store_short v[6:7], v8, off
	s_or_b64 exec, exec, s[14:15]
	s_and_saveexec_b64 s[14:15], s[2:3]
	s_cbranch_execz .LBB175_42
.LBB175_74:
	v_bfe_u32 v6, v47, 16, 1
	s_movk_i32 s6, 0x7fff
	v_add3_u32 v6, v47, v6, s6
	v_lshrrev_b32_e32 v6, 16, v6
	v_mov_b32_e32 v7, 0x7fc0
	v_cmp_o_f32_e64 s[6:7], v47, v47
	s_nop 1
	v_cndmask_b32_e64 v8, v7, v6, s[6:7]
	v_add_u32_e32 v6, v5, v3
	v_mov_b32_e32 v7, 0
	s_waitcnt lgkmcnt(0)
	v_lshl_add_u64 v[6:7], v[6:7], 1, s[12:13]
	global_store_short v[6:7], v8, off
	s_or_b64 exec, exec, s[14:15]
	s_and_saveexec_b64 s[14:15], s[4:5]
	s_cbranch_execnz .LBB175_43
	s_branch .LBB175_44
.LBB175_75:
	v_bfe_u32 v6, v43, 16, 1
	s_movk_i32 s6, 0x7fff
	v_add3_u32 v6, v43, v6, s6
	v_lshrrev_b32_e32 v6, 16, v6
	v_mov_b32_e32 v7, 0x7fc0
	v_cmp_o_f32_e64 s[6:7], v43, v43
	s_nop 1
	v_cndmask_b32_e64 v8, v7, v6, s[6:7]
	v_add_u32_e32 v6, v5, v0
	v_mov_b32_e32 v7, 0
	s_waitcnt lgkmcnt(0)
	v_lshl_add_u64 v[6:7], v[6:7], 1, s[12:13]
	global_store_short v[6:7], v8, off
	s_or_b64 exec, exec, s[14:15]
	s_and_saveexec_b64 s[14:15], s[0:1]
	s_cbranch_execz .LBB175_47
.LBB175_76:
	v_bfe_u32 v6, v41, 16, 1
	s_movk_i32 s6, 0x7fff
	v_add3_u32 v6, v41, v6, s6
	v_lshrrev_b32_e32 v6, 16, v6
	v_mov_b32_e32 v7, 0x7fc0
	v_cmp_o_f32_e64 s[6:7], v41, v41
	s_nop 1
	v_cndmask_b32_e64 v8, v7, v6, s[6:7]
	v_add_u32_e32 v6, v5, v2
	v_mov_b32_e32 v7, 0
	s_waitcnt lgkmcnt(0)
	v_lshl_add_u64 v[6:7], v[6:7], 1, s[12:13]
	global_store_short v[6:7], v8, off
	s_or_b64 exec, exec, s[14:15]
	s_and_saveexec_b64 s[14:15], s[2:3]
	s_cbranch_execz .LBB175_48
.LBB175_77:
	v_bfe_u32 v6, v39, 16, 1
	s_movk_i32 s6, 0x7fff
	v_add3_u32 v6, v39, v6, s6
	v_lshrrev_b32_e32 v6, 16, v6
	v_mov_b32_e32 v7, 0x7fc0
	v_cmp_o_f32_e64 s[6:7], v39, v39
	s_nop 1
	v_cndmask_b32_e64 v8, v7, v6, s[6:7]
	v_add_u32_e32 v6, v5, v3
	v_mov_b32_e32 v7, 0
	s_waitcnt lgkmcnt(0)
	v_lshl_add_u64 v[6:7], v[6:7], 1, s[12:13]
	global_store_short v[6:7], v8, off
	s_or_b64 exec, exec, s[14:15]
	s_and_saveexec_b64 s[14:15], s[4:5]
	s_cbranch_execnz .LBB175_49
	s_branch .LBB175_50
.LBB175_78:
	v_bfe_u32 v6, v35, 16, 1
	s_movk_i32 s6, 0x7fff
	v_add3_u32 v6, v35, v6, s6
	v_lshrrev_b32_e32 v6, 16, v6
	v_mov_b32_e32 v7, 0x7fc0
	v_cmp_o_f32_e64 s[6:7], v35, v35
	s_nop 1
	v_cndmask_b32_e64 v8, v7, v6, s[6:7]
	v_add_u32_e32 v6, v5, v0
	v_mov_b32_e32 v7, 0
	s_waitcnt lgkmcnt(0)
	v_lshl_add_u64 v[6:7], v[6:7], 1, s[12:13]
	global_store_short v[6:7], v8, off
	s_or_b64 exec, exec, s[14:15]
	s_and_saveexec_b64 s[14:15], s[0:1]
	s_cbranch_execz .LBB175_53
.LBB175_79:
	v_bfe_u32 v6, v33, 16, 1
	s_movk_i32 s6, 0x7fff
	v_add3_u32 v6, v33, v6, s6
	v_lshrrev_b32_e32 v6, 16, v6
	v_mov_b32_e32 v7, 0x7fc0
	v_cmp_o_f32_e64 s[6:7], v33, v33
	s_nop 1
	v_cndmask_b32_e64 v8, v7, v6, s[6:7]
	v_add_u32_e32 v6, v5, v2
	v_mov_b32_e32 v7, 0
	s_waitcnt lgkmcnt(0)
	v_lshl_add_u64 v[6:7], v[6:7], 1, s[12:13]
	global_store_short v[6:7], v8, off
	s_or_b64 exec, exec, s[14:15]
	s_and_saveexec_b64 s[14:15], s[2:3]
	s_cbranch_execz .LBB175_54
.LBB175_80:
	v_bfe_u32 v6, v31, 16, 1
	s_movk_i32 s6, 0x7fff
	v_add3_u32 v6, v31, v6, s6
	v_lshrrev_b32_e32 v6, 16, v6
	v_mov_b32_e32 v7, 0x7fc0
	v_cmp_o_f32_e64 s[6:7], v31, v31
	s_nop 1
	v_cndmask_b32_e64 v8, v7, v6, s[6:7]
	v_add_u32_e32 v6, v5, v3
	v_mov_b32_e32 v7, 0
	s_waitcnt lgkmcnt(0)
	v_lshl_add_u64 v[6:7], v[6:7], 1, s[12:13]
	global_store_short v[6:7], v8, off
	s_or_b64 exec, exec, s[14:15]
	s_and_saveexec_b64 s[14:15], s[4:5]
	s_cbranch_execnz .LBB175_55
	s_branch .LBB175_56
.LBB175_81:
	v_bfe_u32 v5, v27, 16, 1
	s_movk_i32 s8, 0x7fff
	v_add3_u32 v5, v27, v5, s8
	v_lshrrev_b32_e32 v5, 16, v5
	v_mov_b32_e32 v6, 0x7fc0
	v_cmp_o_f32_e32 vcc, v27, v27
	v_mov_b32_e32 v7, 0
	s_nop 0
	v_cndmask_b32_e32 v5, v6, v5, vcc
	v_add_u32_e32 v6, v1, v0
	s_waitcnt lgkmcnt(0)
	v_lshl_add_u64 v[6:7], v[6:7], 1, s[12:13]
	global_store_short v[6:7], v5, off
	s_or_b64 exec, exec, s[6:7]
	s_and_saveexec_b64 s[6:7], s[0:1]
	s_cbranch_execz .LBB175_59
.LBB175_82:
	v_bfe_u32 v0, v25, 16, 1
	s_movk_i32 s0, 0x7fff
	v_add3_u32 v0, v25, v0, s0
	v_lshrrev_b32_e32 v0, 16, v0
	v_mov_b32_e32 v5, 0x7fc0
	v_cmp_o_f32_e32 vcc, v25, v25
	v_add_u32_e32 v6, v1, v2
	v_mov_b32_e32 v7, 0
	v_cndmask_b32_e32 v0, v5, v0, vcc
	s_waitcnt lgkmcnt(0)
	v_lshl_add_u64 v[6:7], v[6:7], 1, s[12:13]
	global_store_short v[6:7], v0, off
	s_or_b64 exec, exec, s[6:7]
	s_and_saveexec_b64 s[0:1], s[2:3]
	s_cbranch_execz .LBB175_60
.LBB175_83:
	v_bfe_u32 v0, v23, 16, 1
	s_movk_i32 s2, 0x7fff
	v_add3_u32 v0, v23, v0, s2
	v_lshrrev_b32_e32 v0, 16, v0
	v_mov_b32_e32 v2, 0x7fc0
	v_cmp_o_f32_e32 vcc, v23, v23
	s_nop 1
	v_cndmask_b32_e32 v0, v2, v0, vcc
	v_add_u32_e32 v2, v1, v3
	v_mov_b32_e32 v3, 0
	s_waitcnt lgkmcnt(0)
	v_lshl_add_u64 v[2:3], v[2:3], 1, s[12:13]
	global_store_short v[2:3], v0, off
	s_or_b64 exec, exec, s[0:1]
	s_and_b64 exec, exec, s[4:5]
	s_cbranch_execnz .LBB175_61
	s_branch .LBB175_62
	.section	.rodata,"a",@progbits
	.p2align	6, 0x0
	.amdhsa_kernel _ZL12mul_mat_q6_KIN3c108BFloat16ELb0EEvPKvS3_PT_iiiii
		.amdhsa_group_segment_fixed_size 45136
		.amdhsa_private_segment_fixed_size 0
		.amdhsa_kernarg_size 44
		.amdhsa_user_sgpr_count 2
		.amdhsa_user_sgpr_dispatch_ptr 0
		.amdhsa_user_sgpr_queue_ptr 0
		.amdhsa_user_sgpr_kernarg_segment_ptr 1
		.amdhsa_user_sgpr_dispatch_id 0
		.amdhsa_user_sgpr_kernarg_preload_length 0
		.amdhsa_user_sgpr_kernarg_preload_offset 0
		.amdhsa_user_sgpr_private_segment_size 0
		.amdhsa_uses_dynamic_stack 0
		.amdhsa_enable_private_segment 0
		.amdhsa_system_sgpr_workgroup_id_x 1
		.amdhsa_system_sgpr_workgroup_id_y 1
		.amdhsa_system_sgpr_workgroup_id_z 0
		.amdhsa_system_sgpr_workgroup_info 0
		.amdhsa_system_vgpr_workitem_id 1
		.amdhsa_next_free_vgpr 232
		.amdhsa_next_free_sgpr 26
		.amdhsa_accum_offset 232
		.amdhsa_reserve_vcc 1
		.amdhsa_float_round_mode_32 0
		.amdhsa_float_round_mode_16_64 0
		.amdhsa_float_denorm_mode_32 3
		.amdhsa_float_denorm_mode_16_64 3
		.amdhsa_dx10_clamp 1
		.amdhsa_ieee_mode 1
		.amdhsa_fp16_overflow 0
		.amdhsa_tg_split 0
		.amdhsa_exception_fp_ieee_invalid_op 0
		.amdhsa_exception_fp_denorm_src 0
		.amdhsa_exception_fp_ieee_div_zero 0
		.amdhsa_exception_fp_ieee_overflow 0
		.amdhsa_exception_fp_ieee_underflow 0
		.amdhsa_exception_fp_ieee_inexact 0
		.amdhsa_exception_int_div_zero 0
	.end_amdhsa_kernel
	.section	.text._ZL12mul_mat_q6_KIN3c108BFloat16ELb0EEvPKvS3_PT_iiiii,"axG",@progbits,_ZL12mul_mat_q6_KIN3c108BFloat16ELb0EEvPKvS3_PT_iiiii,comdat
.Lfunc_end175:
	.size	_ZL12mul_mat_q6_KIN3c108BFloat16ELb0EEvPKvS3_PT_iiiii, .Lfunc_end175-_ZL12mul_mat_q6_KIN3c108BFloat16ELb0EEvPKvS3_PT_iiiii
                                        ; -- End function
	.section	.AMDGPU.csdata,"",@progbits
; Kernel info:
; codeLenInByte = 20968
; NumSgprs: 32
; NumVgprs: 232
; NumAgprs: 0
; TotalNumVgprs: 232
; ScratchSize: 0
; MemoryBound: 0
; FloatMode: 240
; IeeeMode: 1
; LDSByteSize: 45136 bytes/workgroup (compile time only)
; SGPRBlocks: 3
; VGPRBlocks: 28
; NumSGPRsForWavesPerEU: 32
; NumVGPRsForWavesPerEU: 232
; AccumOffset: 232
; Occupancy: 1
; WaveLimiterHint : 0
; COMPUTE_PGM_RSRC2:SCRATCH_EN: 0
; COMPUTE_PGM_RSRC2:USER_SGPR: 2
; COMPUTE_PGM_RSRC2:TRAP_HANDLER: 0
; COMPUTE_PGM_RSRC2:TGID_X_EN: 1
; COMPUTE_PGM_RSRC2:TGID_Y_EN: 1
; COMPUTE_PGM_RSRC2:TGID_Z_EN: 0
; COMPUTE_PGM_RSRC2:TIDIG_COMP_CNT: 1
; COMPUTE_PGM_RSRC3_GFX90A:ACCUM_OFFSET: 57
; COMPUTE_PGM_RSRC3_GFX90A:TG_SPLIT: 0
	.section	.text._ZL12mul_mat_q6_KIN3c108BFloat16ELb1EEvPKvS3_PT_iiiii,"axG",@progbits,_ZL12mul_mat_q6_KIN3c108BFloat16ELb1EEvPKvS3_PT_iiiii,comdat
	.globl	_ZL12mul_mat_q6_KIN3c108BFloat16ELb1EEvPKvS3_PT_iiiii ; -- Begin function _ZL12mul_mat_q6_KIN3c108BFloat16ELb1EEvPKvS3_PT_iiiii
	.p2align	8
	.type	_ZL12mul_mat_q6_KIN3c108BFloat16ELb1EEvPKvS3_PT_iiiii,@function
_ZL12mul_mat_q6_KIN3c108BFloat16ELb1EEvPKvS3_PT_iiiii: ; @_ZL12mul_mat_q6_KIN3c108BFloat16ELb1EEvPKvS3_PT_iiiii
; %bb.0:
	s_load_dwordx4 s[8:11], s[0:1], 0x18
	s_load_dword s14, s[0:1], 0x28
	s_lshl_b32 s15, s3, 6
	v_bfe_u32 v63, v0, 10, 10
	s_waitcnt lgkmcnt(0)
	s_cmpk_gt_i32 s8, 0xff
	s_cbranch_scc1 .LBB176_2
; %bb.1:
	v_bfe_u32 v1, v0, 10, 10
	v_and_b32_e32 v59, 0x3ff, v0
	v_add_u32_e32 v75, s15, v1
	s_mov_b64 s[4:5], 0
	s_mov_b32 s3, 0
	s_branch .LBB176_3
.LBB176_2:
	s_mov_b64 s[4:5], -1
                                        ; implicit-def: $sgpr3
                                        ; implicit-def: $vgpr1
                                        ; implicit-def: $vgpr59
                                        ; implicit-def: $vgpr75
.LBB176_3:
	s_load_dwordx2 s[12:13], s[0:1], 0x10
	s_lshl_b32 s6, s2, 7
	s_andn2_b64 vcc, exec, s[4:5]
	v_mov_b32_e32 v17, s3
	v_mov_b32_e32 v29, s3
	;; [unrolled: 1-line block ×32, first 2 shown]
	s_cbranch_vccnz .LBB176_11
; %bb.4:
	v_and_b32_e32 v59, 0x3ff, v0
	s_ashr_i32 s4, s8, 31
	v_and_b32_e32 v6, 31, v59
	s_load_dwordx4 s[0:3], s[0:1], 0x0
	s_lshr_b32 s4, s4, 24
	v_and_b32_e32 v0, 7, v59
	v_cmp_lt_u32_e32 vcc, 15, v6
	s_add_i32 s4, s8, s4
	s_ashr_i32 s5, s11, 31
	v_lshlrev_b32_e32 v0, 2, v0
	v_cndmask_b32_e64 v1, 0, 1, vcc
	s_ashr_i32 s4, s4, 8
	s_lshr_b32 s5, s5, 27
	v_lshl_or_b32 v20, v1, 5, v0
	v_add_u16_e32 v0, -16, v6
	v_cmp_gt_u32_e32 vcc, 16, v6
	s_add_i32 s5, s11, s5
	s_mul_i32 s7, s4, s6
	v_cndmask_b32_e32 v0, v0, v6, vcc
	s_ashr_i32 s11, s5, 5
	s_mul_hi_i32 s8, s7, 0xd2
	s_mulk_i32 s7, 0xd2
	v_cmp_lt_u16_e32 vcc, 7, v0
	s_waitcnt lgkmcnt(0)
	s_add_u32 s7, s0, s7
	s_addc_u32 s8, s1, s8
	v_cndmask_b32_e64 v0, 0, 1, vcc
	s_not_b32 s0, s6
	v_lshlrev_b32_e32 v79, 1, v0
	v_and_b32_e32 v0, 15, v59
	s_add_i32 s1, s0, s9
	v_lshlrev_b32_e32 v0, 2, v0
	v_min_i32_e32 v2, s1, v63
	v_lshl_or_b32 v0, v1, 7, v0
	s_movk_i32 s0, 0x104
	v_add_u32_e32 v7, 8, v63
	v_mad_u64_u32 v[24:25], s[16:17], v2, s0, v[0:1]
	v_min_i32_e32 v1, s1, v7
	v_add_u32_e32 v8, 16, v63
	v_mul_lo_u32 v26, v1, s4
	v_mad_u64_u32 v[28:29], s[16:17], v1, s0, v[0:1]
	v_min_i32_e32 v1, s1, v8
	v_add_u32_e32 v9, 24, v63
	v_mul_lo_u32 v30, v1, s4
	;; [unrolled: 4-line block ×6, first 2 shown]
	v_mad_u64_u32 v[48:49], s[16:17], v1, s0, v[0:1]
	v_min_i32_e32 v1, s1, v13
	v_mul_lo_u32 v50, v1, s4
	v_mad_u64_u32 v[52:53], s[16:17], v1, s0, v[0:1]
	v_add_u32_e32 v1, 64, v63
	v_min_i32_e32 v1, s1, v1
	v_mul_lo_u32 v54, v1, s4
	v_mad_u64_u32 v[56:57], s[16:17], v1, s0, v[0:1]
	v_add_u32_e32 v1, 0x48, v63
	v_min_i32_e32 v1, s1, v1
	v_mul_lo_u32 v58, v1, s4
	v_mad_u64_u32 v[60:61], s[16:17], v1, s0, v[0:1]
	v_add_u32_e32 v1, 0x50, v63
	v_min_i32_e32 v1, s1, v1
	v_mul_lo_u32 v62, v1, s4
	v_mad_u64_u32 v[64:65], s[16:17], v1, s0, v[0:1]
	v_add_u32_e32 v1, 0x58, v63
	v_min_i32_e32 v1, s1, v1
	v_mul_lo_u32 v66, v1, s4
	v_mad_u64_u32 v[68:69], s[16:17], v1, s0, v[0:1]
	v_add_u32_e32 v1, 0x60, v63
	v_min_i32_e32 v1, s1, v1
	v_mul_lo_u32 v70, v1, s4
	v_mad_u64_u32 v[72:73], s[16:17], v1, s0, v[0:1]
	v_add_u32_e32 v1, 0x68, v63
	v_min_i32_e32 v1, s1, v1
	v_mul_lo_u32 v74, v1, s4
	v_mad_u64_u32 v[76:77], s[16:17], v1, s0, v[0:1]
	v_add_u32_e32 v1, 0x70, v63
	v_min_i32_e32 v1, s1, v1
	v_mul_lo_u32 v78, v1, s4
	v_mad_u64_u32 v[80:81], s[16:17], v1, s0, v[0:1]
	v_add_u32_e32 v1, 0x78, v63
	v_min_i32_e32 v1, s1, v1
	v_lshlrev_b32_e32 v87, 5, v63
	v_mad_u64_u32 v[84:85], s[16:17], v1, s0, v[0:1]
	v_add_u32_e32 v0, v87, v59
	v_and_b32_e32 v0, 0x7f, v0
	v_min_i32_e32 v0, s1, v0
	v_mul_lo_u32 v82, v1, s4
	v_ashrrev_i32_e32 v1, 31, v0
	v_lshrrev_b32_e32 v1, 27, v1
	v_add_u32_e32 v1, v0, v1
	v_ashrrev_i32_e32 v1, 5, v1
	v_mul_lo_u32 v86, v0, s4
	v_lshlrev_b32_e32 v1, 2, v1
	v_lshlrev_b32_e32 v0, 2, v0
	s_mov_b32 s18, 0xae40
	v_add3_u32 v91, v1, v0, s18
	v_lshrrev_b32_e32 v0, 2, v59
	v_lshl_add_u32 v1, v63, 3, v0
	v_mul_lo_u32 v22, v2, s4
	v_and_b32_e32 v2, 0x7f, v1
	v_min_i32_e32 v3, s1, v2
	v_ashrrev_i32_e32 v4, 31, v3
	v_lshrrev_b32_e32 v4, 29, v4
	v_add_u32_e32 v4, v3, v4
	v_xor_b32_e32 v2, 64, v2
	v_and_b32_e32 v0, 3, v59
	v_ashrrev_i32_e32 v4, 3, v4
	v_min_i32_e32 v2, s1, v2
	v_mov_b32_e32 v19, 0
	v_lshlrev_b32_e32 v88, 2, v0
	v_mul_lo_u32 v90, v3, s4
	v_lshlrev_b32_e32 v4, 2, v4
	s_mov_b32 s19, 0xa200
	v_lshlrev_b32_e32 v15, 4, v3
	v_ashrrev_i32_e32 v3, 31, v2
	v_lshlrev_b32_e32 v25, 2, v59
	v_add3_u32 v14, v4, v88, s19
	v_lshrrev_b32_e32 v3, 29, v3
	v_and_b32_e32 v4, 28, v25
	v_mov_b32_e32 v5, v19
	v_and_b32_e32 v1, 63, v1
	v_add_u32_e32 v3, v2, v3
	s_add_i32 s1, s10, -1
	v_lshl_add_u64 v[94:95], s[2:3], 0, v[4:5]
	v_or_b32_e32 v4, s15, v1
	v_ashrrev_i32_e32 v3, 3, v3
	v_min_i32_e32 v4, s1, v4
	v_lshlrev_b32_e32 v3, 2, v3
	v_add_u32_e32 v75, s15, v63
	v_mad_u64_u32 v[96:97], s[16:17], v4, s11, v[0:1]
	v_lshl_or_b32 v0, v1, 4, v88
	v_mul_lo_u32 v92, v2, s4
	v_add3_u32 v17, v3, v88, s19
	v_lshlrev_b32_e32 v23, 4, v2
	v_cvt_f64_i32_e32 v[2:3], s1
	v_add_u32_e32 v164, 0xaa40, v0
	v_cvt_f64_u32_e32 v[0:1], v75
	v_min_f64 v[0:1], v[0:1], v[2:3]
	v_cvt_i32_f64_e32 v0, v[0:1]
	v_mul_lo_u32 v166, s11, v0
	v_or_b32_e32 v0, v87, v6
	v_mov_b32_e32 v4, 0x8200
	v_lshl_add_u32 v168, v0, 2, v4
	v_add_u32_e32 v0, 8, v75
	v_cvt_f64_u32_e32 v[0:1], v0
	v_min_f64 v[0:1], v[0:1], v[2:3]
	v_cvt_i32_f64_e32 v0, v[0:1]
	v_lshlrev_b32_e32 v170, 5, v7
	v_mul_lo_u32 v169, s11, v0
	v_or_b32_e32 v0, v170, v6
	v_lshl_add_u32 v171, v0, 2, v4
	v_add_u32_e32 v0, 16, v75
	v_cvt_f64_u32_e32 v[0:1], v0
	v_min_f64 v[0:1], v[0:1], v[2:3]
	v_cvt_i32_f64_e32 v0, v[0:1]
	v_lshlrev_b32_e32 v173, 5, v8
	v_mul_lo_u32 v172, s11, v0
	v_or_b32_e32 v0, v173, v6
	v_lshl_add_u32 v174, v0, 2, v4
	v_add_u32_e32 v0, 24, v75
	v_cvt_f64_u32_e32 v[0:1], v0
	v_min_f64 v[0:1], v[0:1], v[2:3]
	v_cvt_i32_f64_e32 v0, v[0:1]
	v_lshlrev_b32_e32 v176, 5, v9
	v_mul_lo_u32 v175, s11, v0
	v_or_b32_e32 v0, v176, v6
	v_lshl_add_u32 v177, v0, 2, v4
	v_add_u32_e32 v0, 32, v75
	v_cvt_f64_u32_e32 v[0:1], v0
	v_min_f64 v[0:1], v[0:1], v[2:3]
	v_cvt_i32_f64_e32 v0, v[0:1]
	v_lshlrev_b32_e32 v179, 5, v10
	v_mul_lo_u32 v178, s11, v0
	v_or_b32_e32 v0, v179, v6
	v_lshl_add_u32 v180, v0, 2, v4
	v_add_u32_e32 v0, 40, v75
	v_cvt_f64_u32_e32 v[0:1], v0
	v_min_f64 v[0:1], v[0:1], v[2:3]
	v_cvt_i32_f64_e32 v0, v[0:1]
	v_lshlrev_b32_e32 v182, 5, v11
	v_mul_lo_u32 v181, s11, v0
	v_or_b32_e32 v0, v182, v6
	v_lshl_add_u32 v183, v0, 2, v4
	v_add_u32_e32 v0, 48, v75
	v_cvt_f64_u32_e32 v[0:1], v0
	v_min_f64 v[0:1], v[0:1], v[2:3]
	v_cvt_i32_f64_e32 v0, v[0:1]
	v_lshlrev_b32_e32 v185, 5, v12
	v_mul_lo_u32 v184, s11, v0
	v_or_b32_e32 v0, v185, v6
	v_lshl_add_u32 v186, v0, 2, v4
	v_add_u32_e32 v0, 56, v75
	v_cvt_f64_u32_e32 v[0:1], v0
	v_min_f64 v[0:1], v[0:1], v[2:3]
	v_cvt_i32_f64_e32 v0, v[0:1]
	v_lshlrev_b32_e32 v188, 5, v13
	v_lshrrev_b32_e32 v16, 5, v59
	v_mul_lo_u32 v187, s11, v0
	v_or_b32_e32 v0, v188, v6
	v_lshl_add_u32 v189, v0, 2, v4
	v_lshlrev_b32_e32 v0, 2, v16
	v_add3_u32 v190, v0, v25, s18
	v_add_u32_e32 v0, 32, v59
	v_lshrrev_b32_e32 v191, 3, v0
	v_and_b32_e32 v1, 60, v191
	v_add3_u32 v192, v25, v1, s18
	v_add_u32_e32 v1, 64, v59
	v_lshrrev_b32_e32 v2, 3, v1
	v_and_b32_e32 v2, 60, v2
	v_add3_u32 v193, v25, v2, s18
	v_add_u32_e32 v2, 0x60, v59
	v_lshrrev_b32_e32 v3, 3, v2
	v_lshrrev_b32_e32 v165, 3, v59
	v_and_b32_e32 v3, 60, v3
	v_add3_u32 v194, v25, v3, s18
	v_lshlrev_b32_e32 v3, 2, v165
	v_lshlrev_b32_e32 v4, 4, v59
	v_add3_u32 v195, v4, v3, s19
	v_lshlrev_b32_e32 v3, 2, v191
	v_lshlrev_b32_e32 v0, 4, v0
	v_add3_u32 v197, v3, v0, s19
	v_mov_b32_e32 v0, 0x2080
	v_mad_u32_u24 v198, v59, s0, v0
	v_lshrrev_b32_e32 v0, 1, v1
	v_and_b32_e32 v0, 0xfc, v0
	v_lshlrev_b32_e32 v1, 4, v1
	v_add3_u32 v199, v1, v0, s19
	v_mov_b32_e32 v0, 0x4100
	v_mad_u32_u24 v200, v59, s0, v0
	v_lshrrev_b32_e32 v0, 1, v2
	v_and_b32_e32 v0, 0xfc, v0
	v_lshlrev_b32_e32 v1, 4, v2
	v_add3_u32 v201, v1, v0, s19
	v_mov_b32_e32 v0, 0x6180
	s_movk_i32 s5, 0xd2
	s_mov_b32 s9, 0
	v_lshlrev_b32_e32 v18, 2, v6
	v_mov_b32_e32 v21, v19
	v_mov_b32_e32 v89, v19
	v_mul_u32_u24_e32 v196, 0x104, v59
	v_mad_u32_u24 v202, v59, s0, v0
	s_mov_b32 s11, 0xf0f0f0f
	s_mov_b32 s16, 0x30303030
	s_movk_i32 s17, 0x3f00
	s_movk_i32 s18, 0xe000
	v_add_u32_e32 v203, v14, v15
	v_add_u32_e32 v204, v17, v23
	v_mov_b32_e32 v205, 8
	v_mov_b32_e32 v167, v19
	;; [unrolled: 1-line block ×33, first 2 shown]
.LBB176_5:                              ; =>This Loop Header: Depth=1
                                        ;     Child Loop BB176_6 Depth 2
                                        ;     Child Loop BB176_8 Depth 2
	s_mul_i32 s0, s9, 0xd2
	s_mul_hi_u32 s1, s9, 0xd2
	s_add_u32 s0, s7, s0
	s_addc_u32 s1, s8, s1
	v_mov_b64_e32 v[0:1], s[0:1]
	v_mad_u64_u32 v[2:3], s[20:21], v16, s5, v[0:1]
	v_mad_i64_i32 v[4:5], s[20:21], v22, s5, v[2:3]
	v_lshl_add_u64 v[6:7], v[4:5], 0, v[18:19]
	v_lshl_add_u64 v[4:5], v[4:5], 0, v[20:21]
	v_mad_i64_i32 v[8:9], s[20:21], v26, s5, v[2:3]
	global_load_dword v12, v[6:7], off
	v_lshl_add_u64 v[10:11], v[8:9], 0, v[18:19]
	v_lshl_add_u64 v[8:9], v[8:9], 0, v[20:21]
	v_mad_i64_i32 v[6:7], s[20:21], v30, s5, v[2:3]
	global_load_dword v13, v[4:5], off offset:128
	global_load_dword v14, v[10:11], off
	v_lshl_add_u64 v[4:5], v[6:7], 0, v[18:19]
	global_load_dword v15, v[8:9], off offset:128
	global_load_dword v98, v[4:5], off
	v_lshl_add_u64 v[4:5], v[6:7], 0, v[20:21]
	global_load_dword v99, v[4:5], off offset:128
	v_mad_i64_i32 v[4:5], s[20:21], v34, s5, v[2:3]
	v_lshl_add_u64 v[8:9], v[4:5], 0, v[18:19]
	v_lshl_add_u64 v[4:5], v[4:5], 0, v[20:21]
	global_load_dword v8, v[8:9], off
	s_nop 0
	global_load_dword v9, v[4:5], off offset:128
	v_mad_i64_i32 v[6:7], s[20:21], v38, s5, v[2:3]
	v_lshl_add_u64 v[10:11], v[6:7], 0, v[18:19]
	s_lshl_b32 s19, s9, 3
	v_mad_i64_i32 v[0:1], s[20:21], v86, s5, v[0:1]
	v_add_u32_e32 v206, s19, v96
	s_waitcnt vmcnt(7)
	v_and_b32_e32 v4, 0xf0f0f0f, v12
	v_lshrrev_b32_e32 v5, 4, v12
	s_waitcnt vmcnt(6)
	v_ashrrev_i32_e32 v12, v79, v13
	v_lshlrev_b32_e32 v101, 4, v12
	s_waitcnt vmcnt(4)
	v_ashrrev_i32_e32 v15, v79, v15
	v_and_b32_e32 v12, 0x30303030, v12
	v_and_b32_e32 v13, 0xf0f0f0f, v14
	v_lshrrev_b32_e32 v14, 4, v14
	v_lshlrev_b32_e32 v102, 4, v15
	v_and_b32_e32 v15, 0x30303030, v15
	v_and_or_b32 v4, v101, s16, v4
	v_and_or_b32 v5, v5, s11, v12
	;; [unrolled: 1-line block ×4, first 2 shown]
	v_and_b32_e32 v14, 0x3f00, v4
	v_lshlrev_b16_e32 v15, 8, v4
	v_and_b32_sdwa v101, v4, s17 dst_sel:DWORD dst_unused:UNUSED_PAD src0_sel:WORD_1 src1_sel:DWORD
	v_lshlrev_b16_sdwa v4, v205, v4 dst_sel:DWORD dst_unused:UNUSED_PAD src0_sel:DWORD src1_sel:WORD_1
	v_and_b32_e32 v102, 0x3f00, v5
	v_lshlrev_b16_e32 v103, 8, v5
	v_and_b32_sdwa v104, v5, s17 dst_sel:DWORD dst_unused:UNUSED_PAD src0_sel:WORD_1 src1_sel:DWORD
	v_lshlrev_b16_sdwa v5, v205, v5 dst_sel:DWORD dst_unused:UNUSED_PAD src0_sel:DWORD src1_sel:WORD_1
	;; [unrolled: 4-line block ×4, first 2 shown]
	v_add_u16_e32 v15, 0xe000, v15
	v_add_u16_e32 v4, 0xe000, v4
	;; [unrolled: 1-line block ×8, first 2 shown]
	v_or_b32_sdwa v14, v14, v15 dst_sel:DWORD dst_unused:UNUSED_PAD src0_sel:DWORD src1_sel:BYTE_1
	v_or_b32_sdwa v4, v101, v4 dst_sel:DWORD dst_unused:UNUSED_PAD src0_sel:DWORD src1_sel:BYTE_1
	;; [unrolled: 1-line block ×8, first 2 shown]
	v_add_u16_e32 v14, 0xe000, v14
	v_add_u16_sdwa v4, v4, s18 dst_sel:WORD_1 dst_unused:UNUSED_PAD src0_sel:DWORD src1_sel:DWORD
	v_add_u16_e32 v15, 0xe000, v15
	v_add_u16_sdwa v5, v5, s18 dst_sel:WORD_1 dst_unused:UNUSED_PAD src0_sel:DWORD src1_sel:DWORD
	;; [unrolled: 2-line block ×4, first 2 shown]
	v_or_b32_e32 v4, v14, v4
	v_or_b32_e32 v5, v15, v5
	;; [unrolled: 1-line block ×4, first 2 shown]
	ds_write2_b32 v24, v4, v5 offset1:16
	ds_write2_b32 v28, v12, v13 offset1:16
	v_lshl_add_u64 v[4:5], v[6:7], 0, v[20:21]
	global_load_dword v10, v[10:11], off
	s_waitcnt vmcnt(4)
	v_and_b32_e32 v100, 0xf0f0f0f, v98
	global_load_dword v11, v[4:5], off offset:128
	s_waitcnt vmcnt(4)
	v_ashrrev_i32_e32 v5, v79, v99
	v_lshlrev_b32_e32 v6, 4, v5
	v_and_or_b32 v6, v6, s16, v100
	v_lshlrev_b16_e32 v12, 8, v6
	v_and_b32_e32 v7, 0x3f00, v6
	v_add_u16_e32 v12, 0xe000, v12
	v_or_b32_sdwa v7, v7, v12 dst_sel:DWORD dst_unused:UNUSED_PAD src0_sel:DWORD src1_sel:BYTE_1
	v_and_b32_sdwa v12, v6, s17 dst_sel:DWORD dst_unused:UNUSED_PAD src0_sel:WORD_1 src1_sel:DWORD
	v_lshlrev_b16_sdwa v6, v205, v6 dst_sel:DWORD dst_unused:UNUSED_PAD src0_sel:DWORD src1_sel:WORD_1
	v_add_u16_e32 v6, 0xe000, v6
	v_lshrrev_b32_e32 v4, 4, v98
	v_and_b32_e32 v5, 0x30303030, v5
	v_or_b32_sdwa v6, v12, v6 dst_sel:DWORD dst_unused:UNUSED_PAD src0_sel:DWORD src1_sel:BYTE_1
	v_add_u16_e32 v7, 0xe000, v7
	v_add_u16_sdwa v6, v6, s18 dst_sel:WORD_1 dst_unused:UNUSED_PAD src0_sel:DWORD src1_sel:DWORD
	v_and_or_b32 v4, v4, s11, v5
	v_or_b32_e32 v12, v7, v6
	v_lshlrev_b16_e32 v6, 8, v4
	v_and_b32_e32 v5, 0x3f00, v4
	v_add_u16_e32 v6, 0xe000, v6
	v_or_b32_sdwa v5, v5, v6 dst_sel:DWORD dst_unused:UNUSED_PAD src0_sel:DWORD src1_sel:BYTE_1
	v_add_u16_e32 v13, 0xe000, v5
	v_and_b32_sdwa v14, v4, s17 dst_sel:DWORD dst_unused:UNUSED_PAD src0_sel:WORD_1 src1_sel:DWORD
	v_lshlrev_b16_sdwa v15, v205, v4 dst_sel:DWORD dst_unused:UNUSED_PAD src0_sel:DWORD src1_sel:WORD_1
	v_mad_i64_i32 v[4:5], s[20:21], v42, s5, v[2:3]
	v_lshl_add_u64 v[6:7], v[4:5], 0, v[18:19]
	v_lshl_add_u64 v[4:5], v[4:5], 0, v[20:21]
	global_load_dword v98, v[6:7], off
	global_load_dword v99, v[4:5], off offset:128
	v_add_u16_e32 v4, 0xe000, v15
	v_or_b32_sdwa v4, v14, v4 dst_sel:DWORD dst_unused:UNUSED_PAD src0_sel:DWORD src1_sel:BYTE_1
	v_add_u16_sdwa v4, v4, s18 dst_sel:WORD_1 dst_unused:UNUSED_PAD src0_sel:DWORD src1_sel:DWORD
	s_waitcnt vmcnt(4)
	v_ashrrev_i32_e32 v6, v79, v9
	v_or_b32_e32 v4, v13, v4
	ds_write2_b32 v32, v12, v4 offset1:16
	v_and_b32_e32 v4, 0xf0f0f0f, v8
	v_lshlrev_b32_e32 v7, 4, v6
	v_and_or_b32 v4, v7, s16, v4
	v_lshrrev_b32_e32 v5, 4, v8
	v_lshlrev_b16_e32 v8, 8, v4
	v_and_b32_e32 v7, 0x3f00, v4
	v_add_u16_e32 v8, 0xe000, v8
	v_or_b32_sdwa v7, v7, v8 dst_sel:DWORD dst_unused:UNUSED_PAD src0_sel:DWORD src1_sel:BYTE_1
	v_and_b32_sdwa v8, v4, s17 dst_sel:DWORD dst_unused:UNUSED_PAD src0_sel:WORD_1 src1_sel:DWORD
	v_lshlrev_b16_sdwa v4, v205, v4 dst_sel:DWORD dst_unused:UNUSED_PAD src0_sel:DWORD src1_sel:WORD_1
	v_add_u16_e32 v4, 0xe000, v4
	v_or_b32_sdwa v4, v8, v4 dst_sel:DWORD dst_unused:UNUSED_PAD src0_sel:DWORD src1_sel:BYTE_1
	v_and_b32_e32 v6, 0x30303030, v6
	v_add_u16_e32 v7, 0xe000, v7
	v_add_u16_sdwa v4, v4, s18 dst_sel:WORD_1 dst_unused:UNUSED_PAD src0_sel:DWORD src1_sel:DWORD
	v_and_or_b32 v9, v5, s11, v6
	v_or_b32_e32 v8, v7, v4
	v_mad_i64_i32 v[4:5], s[20:21], v46, s5, v[2:3]
	v_lshl_add_u64 v[6:7], v[4:5], 0, v[18:19]
	global_load_dword v13, v[6:7], off
	v_lshlrev_b16_e32 v6, 8, v9
	v_and_b32_e32 v12, 0x3f00, v9
	v_add_u16_e32 v6, 0xe000, v6
	v_lshl_add_u64 v[4:5], v[4:5], 0, v[20:21]
	v_or_b32_sdwa v6, v12, v6 dst_sel:DWORD dst_unused:UNUSED_PAD src0_sel:DWORD src1_sel:BYTE_1
	global_load_dword v12, v[4:5], off offset:128
	v_and_b32_sdwa v7, v9, s17 dst_sel:DWORD dst_unused:UNUSED_PAD src0_sel:WORD_1 src1_sel:DWORD
	v_lshlrev_b16_sdwa v9, v205, v9 dst_sel:DWORD dst_unused:UNUSED_PAD src0_sel:DWORD src1_sel:WORD_1
	v_add_u16_e32 v4, 0xe000, v9
	v_or_b32_sdwa v4, v7, v4 dst_sel:DWORD dst_unused:UNUSED_PAD src0_sel:DWORD src1_sel:BYTE_1
	v_add_u16_e32 v6, 0xe000, v6
	v_add_u16_sdwa v4, v4, s18 dst_sel:WORD_1 dst_unused:UNUSED_PAD src0_sel:DWORD src1_sel:DWORD
	s_nop 0
	v_or_b32_e32 v4, v6, v4
	ds_write2_b32 v36, v8, v4 offset1:16
	v_mad_i64_i32 v[4:5], s[20:21], v50, s5, v[2:3]
	v_lshl_add_u64 v[6:7], v[4:5], 0, v[18:19]
	v_lshl_add_u64 v[4:5], v[4:5], 0, v[20:21]
	global_load_dword v8, v[6:7], off
	global_load_dword v9, v[4:5], off offset:128
	s_waitcnt vmcnt(7)
	v_and_b32_e32 v4, 0xf0f0f0f, v10
	v_lshrrev_b32_e32 v5, 4, v10
	s_waitcnt vmcnt(6)
	v_ashrrev_i32_e32 v6, v79, v11
	v_lshlrev_b32_e32 v7, 4, v6
	v_and_or_b32 v4, v7, s16, v4
	v_lshlrev_b16_e32 v10, 8, v4
	v_and_b32_e32 v7, 0x3f00, v4
	v_add_u16_e32 v10, 0xe000, v10
	v_or_b32_sdwa v7, v7, v10 dst_sel:DWORD dst_unused:UNUSED_PAD src0_sel:DWORD src1_sel:BYTE_1
	v_and_b32_sdwa v10, v4, s17 dst_sel:DWORD dst_unused:UNUSED_PAD src0_sel:WORD_1 src1_sel:DWORD
	v_lshlrev_b16_sdwa v4, v205, v4 dst_sel:DWORD dst_unused:UNUSED_PAD src0_sel:DWORD src1_sel:WORD_1
	v_add_u16_e32 v4, 0xe000, v4
	v_and_b32_e32 v6, 0x30303030, v6
	v_or_b32_sdwa v4, v10, v4 dst_sel:DWORD dst_unused:UNUSED_PAD src0_sel:DWORD src1_sel:BYTE_1
	v_add_u16_e32 v7, 0xe000, v7
	v_add_u16_sdwa v4, v4, s18 dst_sel:WORD_1 dst_unused:UNUSED_PAD src0_sel:DWORD src1_sel:DWORD
	v_and_or_b32 v5, v5, s11, v6
	v_or_b32_e32 v4, v7, v4
	v_lshlrev_b16_e32 v7, 8, v5
	v_and_b32_e32 v6, 0x3f00, v5
	v_add_u16_e32 v7, 0xe000, v7
	v_or_b32_sdwa v6, v6, v7 dst_sel:DWORD dst_unused:UNUSED_PAD src0_sel:DWORD src1_sel:BYTE_1
	v_and_b32_sdwa v7, v5, s17 dst_sel:DWORD dst_unused:UNUSED_PAD src0_sel:WORD_1 src1_sel:DWORD
	v_lshlrev_b16_sdwa v5, v205, v5 dst_sel:DWORD dst_unused:UNUSED_PAD src0_sel:DWORD src1_sel:WORD_1
	v_add_u16_e32 v5, 0xe000, v5
	v_or_b32_sdwa v5, v7, v5 dst_sel:DWORD dst_unused:UNUSED_PAD src0_sel:DWORD src1_sel:BYTE_1
	v_add_u16_e32 v6, 0xe000, v6
	v_add_u16_sdwa v5, v5, s18 dst_sel:WORD_1 dst_unused:UNUSED_PAD src0_sel:DWORD src1_sel:DWORD
	s_nop 0
	v_or_b32_e32 v5, v6, v5
	ds_write2_b32 v40, v4, v5 offset1:16
	s_waitcnt vmcnt(5)
	v_and_b32_e32 v4, 0xf0f0f0f, v98
	s_waitcnt vmcnt(4)
	v_ashrrev_i32_e32 v6, v79, v99
	v_lshlrev_b32_e32 v7, 4, v6
	v_and_or_b32 v4, v7, s16, v4
	v_lshlrev_b16_e32 v10, 8, v4
	v_and_b32_e32 v7, 0x3f00, v4
	v_add_u16_e32 v10, 0xe000, v10
	v_or_b32_sdwa v7, v7, v10 dst_sel:DWORD dst_unused:UNUSED_PAD src0_sel:DWORD src1_sel:BYTE_1
	v_and_b32_sdwa v10, v4, s17 dst_sel:DWORD dst_unused:UNUSED_PAD src0_sel:WORD_1 src1_sel:DWORD
	v_lshlrev_b16_sdwa v4, v205, v4 dst_sel:DWORD dst_unused:UNUSED_PAD src0_sel:DWORD src1_sel:WORD_1
	v_add_u16_e32 v4, 0xe000, v4
	v_lshrrev_b32_e32 v5, 4, v98
	v_and_b32_e32 v6, 0x30303030, v6
	v_or_b32_sdwa v4, v10, v4 dst_sel:DWORD dst_unused:UNUSED_PAD src0_sel:DWORD src1_sel:BYTE_1
	v_add_u16_e32 v7, 0xe000, v7
	v_add_u16_sdwa v4, v4, s18 dst_sel:WORD_1 dst_unused:UNUSED_PAD src0_sel:DWORD src1_sel:DWORD
	v_and_or_b32 v5, v5, s11, v6
	v_or_b32_e32 v4, v7, v4
	v_lshlrev_b16_e32 v7, 8, v5
	v_and_b32_e32 v6, 0x3f00, v5
	v_add_u16_e32 v7, 0xe000, v7
	v_or_b32_sdwa v6, v6, v7 dst_sel:DWORD dst_unused:UNUSED_PAD src0_sel:DWORD src1_sel:BYTE_1
	v_and_b32_sdwa v7, v5, s17 dst_sel:DWORD dst_unused:UNUSED_PAD src0_sel:WORD_1 src1_sel:DWORD
	v_lshlrev_b16_sdwa v5, v205, v5 dst_sel:DWORD dst_unused:UNUSED_PAD src0_sel:DWORD src1_sel:WORD_1
	v_add_u16_e32 v5, 0xe000, v5
	v_or_b32_sdwa v5, v7, v5 dst_sel:DWORD dst_unused:UNUSED_PAD src0_sel:DWORD src1_sel:BYTE_1
	v_add_u16_e32 v6, 0xe000, v6
	v_add_u16_sdwa v5, v5, s18 dst_sel:WORD_1 dst_unused:UNUSED_PAD src0_sel:DWORD src1_sel:DWORD
	s_waitcnt vmcnt(3)
	v_and_b32_e32 v10, 0xf0f0f0f, v13
	v_or_b32_e32 v5, v6, v5
	ds_write2_b32 v44, v4, v5 offset1:16
	v_mad_i64_i32 v[4:5], s[20:21], v54, s5, v[2:3]
	v_lshl_add_u64 v[6:7], v[4:5], 0, v[18:19]
	v_lshl_add_u64 v[4:5], v[4:5], 0, v[20:21]
	global_load_dword v11, v[6:7], off
	global_load_dword v14, v[4:5], off offset:128
	s_waitcnt vmcnt(4)
	v_ashrrev_i32_e32 v5, v79, v12
	v_lshlrev_b32_e32 v6, 4, v5
	v_and_or_b32 v6, v6, s16, v10
	v_lshlrev_b16_e32 v10, 8, v6
	v_and_b32_e32 v7, 0x3f00, v6
	v_add_u16_e32 v10, 0xe000, v10
	v_or_b32_sdwa v7, v7, v10 dst_sel:DWORD dst_unused:UNUSED_PAD src0_sel:DWORD src1_sel:BYTE_1
	v_and_b32_sdwa v10, v6, s17 dst_sel:DWORD dst_unused:UNUSED_PAD src0_sel:WORD_1 src1_sel:DWORD
	v_lshlrev_b16_sdwa v6, v205, v6 dst_sel:DWORD dst_unused:UNUSED_PAD src0_sel:DWORD src1_sel:WORD_1
	v_add_u16_e32 v6, 0xe000, v6
	v_lshrrev_b32_e32 v4, 4, v13
	v_and_b32_e32 v5, 0x30303030, v5
	v_or_b32_sdwa v6, v10, v6 dst_sel:DWORD dst_unused:UNUSED_PAD src0_sel:DWORD src1_sel:BYTE_1
	v_add_u16_e32 v7, 0xe000, v7
	v_add_u16_sdwa v6, v6, s18 dst_sel:WORD_1 dst_unused:UNUSED_PAD src0_sel:DWORD src1_sel:DWORD
	v_and_or_b32 v4, v4, s11, v5
	v_or_b32_e32 v10, v7, v6
	v_lshlrev_b16_e32 v6, 8, v4
	v_and_b32_e32 v5, 0x3f00, v4
	v_add_u16_e32 v6, 0xe000, v6
	v_or_b32_sdwa v5, v5, v6 dst_sel:DWORD dst_unused:UNUSED_PAD src0_sel:DWORD src1_sel:BYTE_1
	v_add_u16_e32 v12, 0xe000, v5
	v_and_b32_sdwa v13, v4, s17 dst_sel:DWORD dst_unused:UNUSED_PAD src0_sel:WORD_1 src1_sel:DWORD
	v_lshlrev_b16_sdwa v15, v205, v4 dst_sel:DWORD dst_unused:UNUSED_PAD src0_sel:DWORD src1_sel:WORD_1
	v_mad_i64_i32 v[4:5], s[20:21], v58, s5, v[2:3]
	v_lshl_add_u64 v[6:7], v[4:5], 0, v[18:19]
	v_lshl_add_u64 v[4:5], v[4:5], 0, v[20:21]
	global_load_dword v98, v[6:7], off
	global_load_dword v99, v[4:5], off offset:128
	v_add_u16_e32 v4, 0xe000, v15
	v_or_b32_sdwa v4, v13, v4 dst_sel:DWORD dst_unused:UNUSED_PAD src0_sel:DWORD src1_sel:BYTE_1
	v_add_u16_sdwa v4, v4, s18 dst_sel:WORD_1 dst_unused:UNUSED_PAD src0_sel:DWORD src1_sel:DWORD
	s_waitcnt vmcnt(4)
	v_ashrrev_i32_e32 v6, v79, v9
	v_or_b32_e32 v4, v12, v4
	ds_write2_b32 v48, v10, v4 offset1:16
	v_and_b32_e32 v4, 0xf0f0f0f, v8
	v_lshlrev_b32_e32 v7, 4, v6
	v_and_or_b32 v4, v7, s16, v4
	v_lshrrev_b32_e32 v5, 4, v8
	v_lshlrev_b16_e32 v8, 8, v4
	v_and_b32_e32 v7, 0x3f00, v4
	v_add_u16_e32 v8, 0xe000, v8
	v_or_b32_sdwa v7, v7, v8 dst_sel:DWORD dst_unused:UNUSED_PAD src0_sel:DWORD src1_sel:BYTE_1
	v_and_b32_sdwa v8, v4, s17 dst_sel:DWORD dst_unused:UNUSED_PAD src0_sel:WORD_1 src1_sel:DWORD
	v_lshlrev_b16_sdwa v4, v205, v4 dst_sel:DWORD dst_unused:UNUSED_PAD src0_sel:DWORD src1_sel:WORD_1
	v_add_u16_e32 v4, 0xe000, v4
	v_or_b32_sdwa v4, v8, v4 dst_sel:DWORD dst_unused:UNUSED_PAD src0_sel:DWORD src1_sel:BYTE_1
	v_and_b32_e32 v6, 0x30303030, v6
	v_add_u16_e32 v7, 0xe000, v7
	v_add_u16_sdwa v4, v4, s18 dst_sel:WORD_1 dst_unused:UNUSED_PAD src0_sel:DWORD src1_sel:DWORD
	v_and_or_b32 v9, v5, s11, v6
	v_or_b32_e32 v8, v7, v4
	v_mad_i64_i32 v[4:5], s[20:21], v62, s5, v[2:3]
	v_lshl_add_u64 v[6:7], v[4:5], 0, v[18:19]
	global_load_dword v12, v[6:7], off
	v_lshlrev_b16_e32 v6, 8, v9
	v_and_b32_e32 v10, 0x3f00, v9
	v_add_u16_e32 v6, 0xe000, v6
	v_lshl_add_u64 v[4:5], v[4:5], 0, v[20:21]
	v_or_b32_sdwa v6, v10, v6 dst_sel:DWORD dst_unused:UNUSED_PAD src0_sel:DWORD src1_sel:BYTE_1
	global_load_dword v10, v[4:5], off offset:128
	v_and_b32_sdwa v7, v9, s17 dst_sel:DWORD dst_unused:UNUSED_PAD src0_sel:WORD_1 src1_sel:DWORD
	v_lshlrev_b16_sdwa v9, v205, v9 dst_sel:DWORD dst_unused:UNUSED_PAD src0_sel:DWORD src1_sel:WORD_1
	v_add_u16_e32 v4, 0xe000, v9
	v_or_b32_sdwa v4, v7, v4 dst_sel:DWORD dst_unused:UNUSED_PAD src0_sel:DWORD src1_sel:BYTE_1
	v_add_u16_e32 v6, 0xe000, v6
	v_add_u16_sdwa v4, v4, s18 dst_sel:WORD_1 dst_unused:UNUSED_PAD src0_sel:DWORD src1_sel:DWORD
	s_nop 0
	v_or_b32_e32 v4, v6, v4
	ds_write2_b32 v52, v8, v4 offset1:16
	v_mad_i64_i32 v[4:5], s[20:21], v66, s5, v[2:3]
	v_lshl_add_u64 v[6:7], v[4:5], 0, v[18:19]
	v_lshl_add_u64 v[4:5], v[4:5], 0, v[20:21]
	global_load_dword v8, v[6:7], off
	global_load_dword v9, v[4:5], off offset:128
	s_waitcnt vmcnt(7)
	v_and_b32_e32 v4, 0xf0f0f0f, v11
	s_waitcnt vmcnt(6)
	v_ashrrev_i32_e32 v6, v79, v14
	v_lshlrev_b32_e32 v7, 4, v6
	v_and_or_b32 v4, v7, s16, v4
	v_lshrrev_b32_e32 v5, 4, v11
	v_lshlrev_b16_e32 v11, 8, v4
	v_and_b32_e32 v7, 0x3f00, v4
	v_add_u16_e32 v11, 0xe000, v11
	v_or_b32_sdwa v7, v7, v11 dst_sel:DWORD dst_unused:UNUSED_PAD src0_sel:DWORD src1_sel:BYTE_1
	v_and_b32_sdwa v11, v4, s17 dst_sel:DWORD dst_unused:UNUSED_PAD src0_sel:WORD_1 src1_sel:DWORD
	v_lshlrev_b16_sdwa v4, v205, v4 dst_sel:DWORD dst_unused:UNUSED_PAD src0_sel:DWORD src1_sel:WORD_1
	v_add_u16_e32 v4, 0xe000, v4
	v_and_b32_e32 v6, 0x30303030, v6
	v_or_b32_sdwa v4, v11, v4 dst_sel:DWORD dst_unused:UNUSED_PAD src0_sel:DWORD src1_sel:BYTE_1
	v_add_u16_e32 v7, 0xe000, v7
	v_add_u16_sdwa v4, v4, s18 dst_sel:WORD_1 dst_unused:UNUSED_PAD src0_sel:DWORD src1_sel:DWORD
	v_and_or_b32 v5, v5, s11, v6
	v_or_b32_e32 v4, v7, v4
	v_lshlrev_b16_e32 v7, 8, v5
	v_and_b32_e32 v6, 0x3f00, v5
	v_add_u16_e32 v7, 0xe000, v7
	v_or_b32_sdwa v6, v6, v7 dst_sel:DWORD dst_unused:UNUSED_PAD src0_sel:DWORD src1_sel:BYTE_1
	v_and_b32_sdwa v7, v5, s17 dst_sel:DWORD dst_unused:UNUSED_PAD src0_sel:WORD_1 src1_sel:DWORD
	v_lshlrev_b16_sdwa v5, v205, v5 dst_sel:DWORD dst_unused:UNUSED_PAD src0_sel:DWORD src1_sel:WORD_1
	v_add_u16_e32 v5, 0xe000, v5
	v_or_b32_sdwa v5, v7, v5 dst_sel:DWORD dst_unused:UNUSED_PAD src0_sel:DWORD src1_sel:BYTE_1
	v_add_u16_e32 v6, 0xe000, v6
	v_add_u16_sdwa v5, v5, s18 dst_sel:WORD_1 dst_unused:UNUSED_PAD src0_sel:DWORD src1_sel:DWORD
	s_nop 0
	v_or_b32_e32 v5, v6, v5
	ds_write2_b32 v56, v4, v5 offset1:16
	s_waitcnt vmcnt(4)
	v_ashrrev_i32_e32 v6, v79, v99
	v_and_b32_e32 v4, 0xf0f0f0f, v98
	v_lshlrev_b32_e32 v7, 4, v6
	v_and_or_b32 v4, v7, s16, v4
	v_lshlrev_b16_e32 v11, 8, v4
	v_and_b32_e32 v7, 0x3f00, v4
	v_add_u16_e32 v11, 0xe000, v11
	v_or_b32_sdwa v7, v7, v11 dst_sel:DWORD dst_unused:UNUSED_PAD src0_sel:DWORD src1_sel:BYTE_1
	v_and_b32_sdwa v11, v4, s17 dst_sel:DWORD dst_unused:UNUSED_PAD src0_sel:WORD_1 src1_sel:DWORD
	v_lshlrev_b16_sdwa v4, v205, v4 dst_sel:DWORD dst_unused:UNUSED_PAD src0_sel:DWORD src1_sel:WORD_1
	v_add_u16_e32 v4, 0xe000, v4
	v_lshrrev_b32_e32 v5, 4, v98
	v_and_b32_e32 v6, 0x30303030, v6
	v_or_b32_sdwa v4, v11, v4 dst_sel:DWORD dst_unused:UNUSED_PAD src0_sel:DWORD src1_sel:BYTE_1
	v_add_u16_e32 v7, 0xe000, v7
	v_add_u16_sdwa v4, v4, s18 dst_sel:WORD_1 dst_unused:UNUSED_PAD src0_sel:DWORD src1_sel:DWORD
	v_and_or_b32 v5, v5, s11, v6
	v_or_b32_e32 v4, v7, v4
	v_lshlrev_b16_e32 v7, 8, v5
	v_and_b32_e32 v6, 0x3f00, v5
	v_add_u16_e32 v7, 0xe000, v7
	v_or_b32_sdwa v6, v6, v7 dst_sel:DWORD dst_unused:UNUSED_PAD src0_sel:DWORD src1_sel:BYTE_1
	v_and_b32_sdwa v7, v5, s17 dst_sel:DWORD dst_unused:UNUSED_PAD src0_sel:WORD_1 src1_sel:DWORD
	v_lshlrev_b16_sdwa v5, v205, v5 dst_sel:DWORD dst_unused:UNUSED_PAD src0_sel:DWORD src1_sel:WORD_1
	v_add_u16_e32 v5, 0xe000, v5
	v_or_b32_sdwa v5, v7, v5 dst_sel:DWORD dst_unused:UNUSED_PAD src0_sel:DWORD src1_sel:BYTE_1
	v_add_u16_e32 v6, 0xe000, v6
	v_add_u16_sdwa v5, v5, s18 dst_sel:WORD_1 dst_unused:UNUSED_PAD src0_sel:DWORD src1_sel:DWORD
	s_waitcnt vmcnt(3)
	v_and_b32_e32 v11, 0xf0f0f0f, v12
	v_or_b32_e32 v5, v6, v5
	ds_write2_b32 v60, v4, v5 offset1:16
	v_mad_i64_i32 v[4:5], s[20:21], v70, s5, v[2:3]
	v_lshl_add_u64 v[6:7], v[4:5], 0, v[18:19]
	v_lshl_add_u64 v[4:5], v[4:5], 0, v[20:21]
	global_load_dword v13, v[6:7], off
	global_load_dword v14, v[4:5], off offset:128
	s_waitcnt vmcnt(4)
	v_ashrrev_i32_e32 v5, v79, v10
	v_lshlrev_b32_e32 v6, 4, v5
	v_and_or_b32 v6, v6, s16, v11
	v_lshlrev_b16_e32 v10, 8, v6
	v_and_b32_e32 v7, 0x3f00, v6
	v_add_u16_e32 v10, 0xe000, v10
	v_or_b32_sdwa v7, v7, v10 dst_sel:DWORD dst_unused:UNUSED_PAD src0_sel:DWORD src1_sel:BYTE_1
	v_and_b32_sdwa v10, v6, s17 dst_sel:DWORD dst_unused:UNUSED_PAD src0_sel:WORD_1 src1_sel:DWORD
	v_lshlrev_b16_sdwa v6, v205, v6 dst_sel:DWORD dst_unused:UNUSED_PAD src0_sel:DWORD src1_sel:WORD_1
	v_add_u16_e32 v6, 0xe000, v6
	v_lshrrev_b32_e32 v4, 4, v12
	v_and_b32_e32 v5, 0x30303030, v5
	v_or_b32_sdwa v6, v10, v6 dst_sel:DWORD dst_unused:UNUSED_PAD src0_sel:DWORD src1_sel:BYTE_1
	v_add_u16_e32 v7, 0xe000, v7
	v_add_u16_sdwa v6, v6, s18 dst_sel:WORD_1 dst_unused:UNUSED_PAD src0_sel:DWORD src1_sel:DWORD
	v_and_or_b32 v4, v4, s11, v5
	v_or_b32_e32 v10, v7, v6
	v_lshlrev_b16_e32 v6, 8, v4
	v_and_b32_e32 v5, 0x3f00, v4
	v_add_u16_e32 v6, 0xe000, v6
	v_or_b32_sdwa v5, v5, v6 dst_sel:DWORD dst_unused:UNUSED_PAD src0_sel:DWORD src1_sel:BYTE_1
	v_add_u16_e32 v11, 0xe000, v5
	v_and_b32_sdwa v12, v4, s17 dst_sel:DWORD dst_unused:UNUSED_PAD src0_sel:WORD_1 src1_sel:DWORD
	v_lshlrev_b16_sdwa v15, v205, v4 dst_sel:DWORD dst_unused:UNUSED_PAD src0_sel:DWORD src1_sel:WORD_1
	v_mad_i64_i32 v[4:5], s[20:21], v74, s5, v[2:3]
	v_lshl_add_u64 v[6:7], v[4:5], 0, v[18:19]
	v_lshl_add_u64 v[4:5], v[4:5], 0, v[20:21]
	global_load_dword v98, v[6:7], off
	global_load_dword v99, v[4:5], off offset:128
	v_add_u16_e32 v4, 0xe000, v15
	v_or_b32_sdwa v4, v12, v4 dst_sel:DWORD dst_unused:UNUSED_PAD src0_sel:DWORD src1_sel:BYTE_1
	v_add_u16_sdwa v4, v4, s18 dst_sel:WORD_1 dst_unused:UNUSED_PAD src0_sel:DWORD src1_sel:DWORD
	s_waitcnt vmcnt(4)
	v_ashrrev_i32_e32 v6, v79, v9
	v_or_b32_e32 v4, v11, v4
	ds_write2_b32 v64, v10, v4 offset1:16
	v_and_b32_e32 v4, 0xf0f0f0f, v8
	v_lshlrev_b32_e32 v7, 4, v6
	v_and_or_b32 v4, v7, s16, v4
	v_lshrrev_b32_e32 v5, 4, v8
	v_lshlrev_b16_e32 v8, 8, v4
	v_and_b32_e32 v7, 0x3f00, v4
	v_add_u16_e32 v8, 0xe000, v8
	v_or_b32_sdwa v7, v7, v8 dst_sel:DWORD dst_unused:UNUSED_PAD src0_sel:DWORD src1_sel:BYTE_1
	v_and_b32_sdwa v8, v4, s17 dst_sel:DWORD dst_unused:UNUSED_PAD src0_sel:WORD_1 src1_sel:DWORD
	v_lshlrev_b16_sdwa v4, v205, v4 dst_sel:DWORD dst_unused:UNUSED_PAD src0_sel:DWORD src1_sel:WORD_1
	v_add_u16_e32 v4, 0xe000, v4
	v_and_b32_e32 v6, 0x30303030, v6
	v_or_b32_sdwa v4, v8, v4 dst_sel:DWORD dst_unused:UNUSED_PAD src0_sel:DWORD src1_sel:BYTE_1
	v_add_u16_e32 v7, 0xe000, v7
	v_add_u16_sdwa v4, v4, s18 dst_sel:WORD_1 dst_unused:UNUSED_PAD src0_sel:DWORD src1_sel:DWORD
	v_and_or_b32 v5, v5, s11, v6
	v_or_b32_e32 v4, v7, v4
	v_lshlrev_b16_e32 v7, 8, v5
	v_and_b32_e32 v6, 0x3f00, v5
	v_add_u16_e32 v7, 0xe000, v7
	v_or_b32_sdwa v6, v6, v7 dst_sel:DWORD dst_unused:UNUSED_PAD src0_sel:DWORD src1_sel:BYTE_1
	v_and_b32_sdwa v7, v5, s17 dst_sel:DWORD dst_unused:UNUSED_PAD src0_sel:WORD_1 src1_sel:DWORD
	v_lshlrev_b16_sdwa v5, v205, v5 dst_sel:DWORD dst_unused:UNUSED_PAD src0_sel:DWORD src1_sel:WORD_1
	v_add_u16_e32 v5, 0xe000, v5
	v_or_b32_sdwa v5, v7, v5 dst_sel:DWORD dst_unused:UNUSED_PAD src0_sel:DWORD src1_sel:BYTE_1
	v_add_u16_e32 v6, 0xe000, v6
	v_add_u16_sdwa v5, v5, s18 dst_sel:WORD_1 dst_unused:UNUSED_PAD src0_sel:DWORD src1_sel:DWORD
	s_nop 0
	v_or_b32_e32 v5, v6, v5
	ds_write2_b32 v68, v4, v5 offset1:16
	v_mad_i64_i32 v[4:5], s[20:21], v78, s5, v[2:3]
	v_lshl_add_u64 v[6:7], v[4:5], 0, v[18:19]
	v_lshl_add_u64 v[4:5], v[4:5], 0, v[20:21]
	v_mad_i64_i32 v[2:3], s[20:21], v82, s5, v[2:3]
	v_lshl_add_u64 v[8:9], v[2:3], 0, v[18:19]
	v_lshl_add_u64 v[2:3], v[2:3], 0, v[20:21]
	global_load_dword v100, v[6:7], off
	global_load_dword v101, v[4:5], off offset:128
	global_load_dword v102, v[8:9], off
	global_load_dword v103, v[2:3], off offset:128
	s_mov_b32 s21, 0
	s_waitcnt vmcnt(7)
	v_and_b32_e32 v2, 0xf0f0f0f, v13
	s_waitcnt vmcnt(6)
	v_ashrrev_i32_e32 v4, v79, v14
	v_lshlrev_b32_e32 v5, 4, v4
	v_and_or_b32 v2, v5, s16, v2
	v_lshlrev_b16_e32 v6, 8, v2
	v_and_b32_e32 v5, 0x3f00, v2
	v_add_u16_e32 v6, 0xe000, v6
	v_or_b32_sdwa v5, v5, v6 dst_sel:DWORD dst_unused:UNUSED_PAD src0_sel:DWORD src1_sel:BYTE_1
	v_and_b32_sdwa v6, v2, s17 dst_sel:DWORD dst_unused:UNUSED_PAD src0_sel:WORD_1 src1_sel:DWORD
	v_lshlrev_b16_sdwa v2, v205, v2 dst_sel:DWORD dst_unused:UNUSED_PAD src0_sel:DWORD src1_sel:WORD_1
	v_add_u16_e32 v2, 0xe000, v2
	v_lshrrev_b32_e32 v3, 4, v13
	v_and_b32_e32 v4, 0x30303030, v4
	v_or_b32_sdwa v2, v6, v2 dst_sel:DWORD dst_unused:UNUSED_PAD src0_sel:DWORD src1_sel:BYTE_1
	v_add_u16_e32 v5, 0xe000, v5
	v_add_u16_sdwa v2, v2, s18 dst_sel:WORD_1 dst_unused:UNUSED_PAD src0_sel:DWORD src1_sel:DWORD
	v_and_or_b32 v3, v3, s11, v4
	v_or_b32_e32 v2, v5, v2
	v_lshlrev_b16_e32 v5, 8, v3
	v_and_b32_e32 v4, 0x3f00, v3
	v_add_u16_e32 v5, 0xe000, v5
	v_or_b32_sdwa v4, v4, v5 dst_sel:DWORD dst_unused:UNUSED_PAD src0_sel:DWORD src1_sel:BYTE_1
	v_and_b32_sdwa v5, v3, s17 dst_sel:DWORD dst_unused:UNUSED_PAD src0_sel:WORD_1 src1_sel:DWORD
	v_lshlrev_b16_sdwa v3, v205, v3 dst_sel:DWORD dst_unused:UNUSED_PAD src0_sel:DWORD src1_sel:WORD_1
	v_add_u16_e32 v3, 0xe000, v3
	v_or_b32_sdwa v3, v5, v3 dst_sel:DWORD dst_unused:UNUSED_PAD src0_sel:DWORD src1_sel:BYTE_1
	v_add_u16_e32 v4, 0xe000, v4
	v_add_u16_sdwa v3, v3, s18 dst_sel:WORD_1 dst_unused:UNUSED_PAD src0_sel:DWORD src1_sel:DWORD
	v_add_u32_e32 v14, s19, v165
	v_or_b32_e32 v3, v4, v3
	ds_write2_b32 v72, v2, v3 offset1:16
	s_waitcnt vmcnt(4)
	v_ashrrev_i32_e32 v4, v79, v99
	v_and_b32_e32 v2, 0xf0f0f0f, v98
	v_lshlrev_b32_e32 v5, 4, v4
	v_and_or_b32 v2, v5, s16, v2
	v_lshlrev_b16_e32 v6, 8, v2
	v_and_b32_e32 v5, 0x3f00, v2
	v_add_u16_e32 v6, 0xe000, v6
	v_or_b32_sdwa v5, v5, v6 dst_sel:DWORD dst_unused:UNUSED_PAD src0_sel:DWORD src1_sel:BYTE_1
	v_and_b32_sdwa v6, v2, s17 dst_sel:DWORD dst_unused:UNUSED_PAD src0_sel:WORD_1 src1_sel:DWORD
	v_lshlrev_b16_sdwa v2, v205, v2 dst_sel:DWORD dst_unused:UNUSED_PAD src0_sel:DWORD src1_sel:WORD_1
	v_lshrrev_b32_e32 v3, 4, v98
	v_and_b32_e32 v4, 0x30303030, v4
	v_add_u16_e32 v2, 0xe000, v2
	v_or_b32_sdwa v2, v6, v2 dst_sel:DWORD dst_unused:UNUSED_PAD src0_sel:DWORD src1_sel:BYTE_1
	v_and_or_b32 v105, v3, s11, v4
	v_add_u16_e32 v5, 0xe000, v5
	v_add_u16_sdwa v2, v2, s18 dst_sel:WORD_1 dst_unused:UNUSED_PAD src0_sel:DWORD src1_sel:DWORD
	v_lshlrev_b16_e32 v3, 8, v105
	v_or_b32_e32 v104, v5, v2
	v_and_b32_e32 v2, 0x3f00, v105
	v_add_u16_e32 v3, 0xe000, v3
	v_or_b32_sdwa v2, v2, v3 dst_sel:DWORD dst_unused:UNUSED_PAD src0_sel:DWORD src1_sel:BYTE_1
	v_add_u16_e32 v106, 0xe000, v2
	v_lshl_add_u64 v[2:3], s[0:1], 0, v[88:89]
	v_mad_i64_i32 v[4:5], s[0:1], v90, s5, v[2:3]
	v_mad_i64_i32 v[2:3], s[0:1], v92, s5, v[2:3]
	global_load_ushort v107, v[0:1], off offset:208
	global_load_dword v108, v[4:5], off offset:192
	global_load_dword v109, v[2:3], off offset:192
	v_add_u32_e32 v0, v14, v166
	v_add_u32_e32 v2, v14, v169
	;; [unrolled: 1-line block ×5, first 2 shown]
	v_mad_i64_i32 v[0:1], s[0:1], v0, 36, v[94:95]
	v_mad_i64_i32 v[2:3], s[0:1], v2, 36, v[94:95]
	;; [unrolled: 1-line block ×5, first 2 shown]
	v_add_u32_e32 v10, v14, v181
	v_add_u32_e32 v12, v14, v184
	v_add_u32_e32 v14, v14, v187
	v_mad_i64_i32 v[10:11], s[0:1], v10, 36, v[94:95]
	v_mad_i64_i32 v[12:13], s[0:1], v12, 36, v[94:95]
	;; [unrolled: 1-line block ×3, first 2 shown]
	v_mad_u64_u32 v[98:99], s[0:1], v206, 36, s[2:3]
	global_load_dword v0, v[0:1], off offset:4
	s_nop 0
	global_load_dword v1, v[2:3], off offset:4
	s_nop 0
	global_load_dword v2, v[4:5], off offset:4
	global_load_dword v3, v[6:7], off offset:4
	s_nop 0
	global_load_dword v4, v[8:9], off offset:4
	global_load_dword v5, v[98:99], off
	global_load_dword v6, v[10:11], off offset:4
	global_load_dword v7, v[12:13], off offset:4
	s_nop 0
	global_load_dword v8, v[14:15], off offset:4
	v_lshlrev_b16_sdwa v10, v205, v105 dst_sel:DWORD dst_unused:UNUSED_PAD src0_sel:DWORD src1_sel:WORD_1
	v_and_b32_sdwa v9, v105, s17 dst_sel:DWORD dst_unused:UNUSED_PAD src0_sel:WORD_1 src1_sel:DWORD
	v_add_u16_e32 v10, 0xe000, v10
	v_or_b32_sdwa v9, v9, v10 dst_sel:DWORD dst_unused:UNUSED_PAD src0_sel:DWORD src1_sel:BYTE_1
	v_add_u16_sdwa v9, v9, s18 dst_sel:WORD_1 dst_unused:UNUSED_PAD src0_sel:DWORD src1_sel:DWORD
	s_waitcnt vmcnt(14)
	v_ashrrev_i32_e32 v11, v79, v101
	v_or_b32_e32 v9, v106, v9
	ds_write2_b32 v76, v104, v9 offset1:16
	v_and_b32_e32 v9, 0xf0f0f0f, v100
	v_lshlrev_b32_e32 v12, 4, v11
	v_and_or_b32 v9, v12, s16, v9
	v_lshlrev_b16_e32 v13, 8, v9
	v_and_b32_e32 v12, 0x3f00, v9
	v_add_u16_e32 v13, 0xe000, v13
	v_or_b32_sdwa v12, v12, v13 dst_sel:DWORD dst_unused:UNUSED_PAD src0_sel:DWORD src1_sel:BYTE_1
	v_and_b32_sdwa v13, v9, s17 dst_sel:DWORD dst_unused:UNUSED_PAD src0_sel:WORD_1 src1_sel:DWORD
	v_lshlrev_b16_sdwa v9, v205, v9 dst_sel:DWORD dst_unused:UNUSED_PAD src0_sel:DWORD src1_sel:WORD_1
	v_add_u16_e32 v9, 0xe000, v9
	v_lshrrev_b32_e32 v10, 4, v100
	v_and_b32_e32 v11, 0x30303030, v11
	v_or_b32_sdwa v9, v13, v9 dst_sel:DWORD dst_unused:UNUSED_PAD src0_sel:DWORD src1_sel:BYTE_1
	v_add_u16_e32 v12, 0xe000, v12
	v_add_u16_sdwa v9, v9, s18 dst_sel:WORD_1 dst_unused:UNUSED_PAD src0_sel:DWORD src1_sel:DWORD
	v_and_or_b32 v10, v10, s11, v11
	v_or_b32_e32 v9, v12, v9
	v_lshlrev_b16_e32 v12, 8, v10
	v_and_b32_e32 v11, 0x3f00, v10
	v_add_u16_e32 v12, 0xe000, v12
	v_or_b32_sdwa v11, v11, v12 dst_sel:DWORD dst_unused:UNUSED_PAD src0_sel:DWORD src1_sel:BYTE_1
	v_and_b32_sdwa v12, v10, s17 dst_sel:DWORD dst_unused:UNUSED_PAD src0_sel:WORD_1 src1_sel:DWORD
	v_lshlrev_b16_sdwa v10, v205, v10 dst_sel:DWORD dst_unused:UNUSED_PAD src0_sel:DWORD src1_sel:WORD_1
	v_add_u16_e32 v10, 0xe000, v10
	v_or_b32_sdwa v10, v12, v10 dst_sel:DWORD dst_unused:UNUSED_PAD src0_sel:DWORD src1_sel:BYTE_1
	v_add_u16_e32 v11, 0xe000, v11
	v_add_u16_sdwa v10, v10, s18 dst_sel:WORD_1 dst_unused:UNUSED_PAD src0_sel:DWORD src1_sel:DWORD
	s_mov_b64 s[0:1], -1
	v_or_b32_e32 v10, v11, v10
	s_waitcnt vmcnt(12)
	v_ashrrev_i32_e32 v11, v79, v103
	ds_write2_b32 v80, v9, v10 offset1:16
	v_and_b32_e32 v9, 0xf0f0f0f, v102
	v_lshlrev_b32_e32 v12, 4, v11
	v_and_or_b32 v9, v12, s16, v9
	v_lshlrev_b16_e32 v13, 8, v9
	v_and_b32_e32 v12, 0x3f00, v9
	v_add_u16_e32 v13, 0xe000, v13
	v_or_b32_sdwa v12, v12, v13 dst_sel:DWORD dst_unused:UNUSED_PAD src0_sel:DWORD src1_sel:BYTE_1
	v_and_b32_sdwa v13, v9, s17 dst_sel:DWORD dst_unused:UNUSED_PAD src0_sel:WORD_1 src1_sel:DWORD
	v_lshlrev_b16_sdwa v9, v205, v9 dst_sel:DWORD dst_unused:UNUSED_PAD src0_sel:DWORD src1_sel:WORD_1
	v_add_u16_e32 v9, 0xe000, v9
	v_lshrrev_b32_e32 v10, 4, v102
	v_and_b32_e32 v11, 0x30303030, v11
	v_or_b32_sdwa v9, v13, v9 dst_sel:DWORD dst_unused:UNUSED_PAD src0_sel:DWORD src1_sel:BYTE_1
	v_add_u16_e32 v12, 0xe000, v12
	v_add_u16_sdwa v9, v9, s18 dst_sel:WORD_1 dst_unused:UNUSED_PAD src0_sel:DWORD src1_sel:DWORD
	v_and_or_b32 v10, v10, s11, v11
	v_or_b32_e32 v9, v12, v9
	v_lshlrev_b16_e32 v12, 8, v10
	v_and_b32_e32 v11, 0x3f00, v10
	v_add_u16_e32 v12, 0xe000, v12
	v_or_b32_sdwa v11, v11, v12 dst_sel:DWORD dst_unused:UNUSED_PAD src0_sel:DWORD src1_sel:BYTE_1
	v_and_b32_sdwa v12, v10, s17 dst_sel:DWORD dst_unused:UNUSED_PAD src0_sel:WORD_1 src1_sel:DWORD
	v_lshlrev_b16_sdwa v10, v205, v10 dst_sel:DWORD dst_unused:UNUSED_PAD src0_sel:DWORD src1_sel:WORD_1
	v_add_u16_e32 v10, 0xe000, v10
	v_or_b32_sdwa v10, v12, v10 dst_sel:DWORD dst_unused:UNUSED_PAD src0_sel:DWORD src1_sel:BYTE_1
	s_waitcnt vmcnt(11)
	v_cvt_f32_f16_e32 v12, v107
	v_add_u16_e32 v11, 0xe000, v11
	v_add_u16_sdwa v10, v10, s18 dst_sel:WORD_1 dst_unused:UNUSED_PAD src0_sel:DWORD src1_sel:DWORD
	s_nop 0
	v_or_b32_e32 v10, v11, v10
	ds_write2_b32 v84, v9, v10 offset1:16
	ds_write_b32 v91, v12
	s_waitcnt vmcnt(10)
	ds_write_b32 v203, v108
	s_waitcnt vmcnt(9)
	;; [unrolled: 2-line block ×8, first 2 shown]
	v_cvt_f32_f16_e32 v0, v5
	s_waitcnt vmcnt(2)
	ds_write_b32 v183, v6
	s_waitcnt vmcnt(1)
	ds_write_b32 v186, v7
	;; [unrolled: 2-line block ×3, first 2 shown]
	ds_write_b32 v164, v0
	s_waitcnt lgkmcnt(0)
	s_barrier
	ds_read_b32 v207, v190
	ds_read_b32 v208, v192 offset:128
	ds_read_b32 v209, v193 offset:256
	;; [unrolled: 1-line block ×3, first 2 shown]
.LBB176_6:                              ;   Parent Loop BB176_5 Depth=1
                                        ; =>  This Inner Loop Header: Depth=2
	s_lshl_b32 s20, s21, 1
	v_or_b32_e32 v0, s20, v87
	v_lshlrev_b32_e32 v12, 2, v0
	s_lshr_b32 s22, s21, 1
	s_lshl_b32 s21, s21, 3
	v_lshrrev_b32_e32 v98, 1, v0
	ds_read_b128 v[0:3], v12 offset:33280
	ds_read_b128 v[4:7], v12 offset:33296
	;; [unrolled: 1-line block ×4, first 2 shown]
	ds_read_b64 v[162:163], v98 offset:43584
	v_add_u32_e32 v106, s22, v195
	v_add_u32_e32 v107, s21, v196
	ds_read2_b32 v[102:103], v107 offset0:6 offset1:7
	ds_read2_b32 v[104:105], v107 offset0:4 offset1:5
	;; [unrolled: 1-line block ×3, first 2 shown]
	ds_read2_b32 v[100:101], v107 offset1:1
	ds_read_b32 v108, v106
	ds_read2_b32 v[158:159], v107 offset0:14 offset1:15
	ds_read2_b32 v[160:161], v107 offset0:12 offset1:13
	v_mov_b32_e32 v106, 0
	ds_read2_b32 v[114:115], v107 offset0:10 offset1:11
	ds_read2_b32 v[116:117], v107 offset0:8 offset1:9
	s_waitcnt lgkmcnt(7)
	v_dot4c_i32_i8_e32 v106, v104, v4
	v_mov_b32_e32 v107, 0
	v_dot4c_i32_i8_e32 v106, v105, v5
	s_waitcnt lgkmcnt(5)
	v_dot4c_i32_i8_e32 v107, v100, v0
	v_dot4c_i32_i8_e32 v106, v102, v6
	v_dot4c_i32_i8_e32 v107, v101, v1
	v_dot4c_i32_i8_e32 v106, v103, v7
	s_waitcnt lgkmcnt(4)
	v_bfe_i32 v211, v108, 8, 8
	v_dot4c_i32_i8_e32 v107, v98, v2
	v_dot4c_i32_i8_e32 v107, v99, v3
	v_mul_lo_u32 v106, v106, v211
	v_bfe_i32 v212, v108, 0, 8
	v_mov_b32_e32 v109, 0
	v_mad_u64_u32 v[106:107], s[24:25], v107, v212, v[106:107]
	s_waitcnt lgkmcnt(2)
	v_dot4c_i32_i8_e32 v109, v160, v12
	v_mov_b32_e32 v110, 0
	v_cvt_f32_i32_e32 v106, v106
	v_dot4c_i32_i8_e32 v109, v161, v13
	s_waitcnt lgkmcnt(0)
	v_dot4c_i32_i8_e32 v110, v116, v8
	v_dot4c_i32_i8_e32 v109, v158, v14
	;; [unrolled: 1-line block ×5, first 2 shown]
	v_ashrrev_i32_e32 v214, 24, v108
	v_dot4c_i32_i8_e32 v110, v115, v11
	v_fma_f32 v111, v162, v106, 0
	v_bfe_i32 v213, v108, 16, 8
	v_mul_lo_u32 v106, v109, v214
	v_mad_u64_u32 v[106:107], s[24:25], v110, v213, v[106:107]
	v_cvt_f32_i32_e32 v106, v106
	v_add_u32_e32 v118, s22, v197
	v_add_u32_e32 v122, s21, v198
	v_mov_b32_e32 v123, 0
	v_fmac_f32_e32 v111, v163, v106
	v_fmac_f32_e32 v167, v207, v111
	ds_read2_b32 v[110:111], v122 offset0:6 offset1:7
	ds_read2_b32 v[112:113], v122 offset0:4 offset1:5
	;; [unrolled: 1-line block ×3, first 2 shown]
	ds_read2_b32 v[108:109], v122 offset1:1
	ds_read_b32 v124, v118
	ds_read2_b32 v[118:119], v122 offset0:14 offset1:15
	ds_read2_b32 v[120:121], v122 offset0:12 offset1:13
	;; [unrolled: 1-line block ×4, first 2 shown]
	v_mov_b32_e32 v122, 0
	s_waitcnt lgkmcnt(7)
	v_dot4c_i32_i8_e32 v122, v112, v4
	v_dot4c_i32_i8_e32 v122, v113, v5
	s_waitcnt lgkmcnt(5)
	v_dot4c_i32_i8_e32 v123, v108, v0
	v_dot4c_i32_i8_e32 v122, v110, v6
	;; [unrolled: 1-line block ×4, first 2 shown]
	s_waitcnt lgkmcnt(4)
	v_bfe_i32 v215, v124, 8, 8
	v_dot4c_i32_i8_e32 v123, v106, v2
	v_dot4c_i32_i8_e32 v123, v107, v3
	v_mul_lo_u32 v122, v122, v215
	v_bfe_i32 v216, v124, 0, 8
	v_mov_b32_e32 v125, 0
	v_mad_u64_u32 v[122:123], s[24:25], v123, v216, v[122:123]
	s_waitcnt lgkmcnt(2)
	v_dot4c_i32_i8_e32 v125, v120, v12
	v_mov_b32_e32 v126, 0
	v_cvt_f32_i32_e32 v122, v122
	v_dot4c_i32_i8_e32 v125, v121, v13
	s_waitcnt lgkmcnt(0)
	v_dot4c_i32_i8_e32 v126, v136, v8
	v_dot4c_i32_i8_e32 v125, v118, v14
	;; [unrolled: 1-line block ×5, first 2 shown]
	v_ashrrev_i32_e32 v218, 24, v124
	v_dot4c_i32_i8_e32 v126, v133, v11
	v_fma_f32 v127, v162, v122, 0
	v_bfe_i32 v217, v124, 16, 8
	v_mul_lo_u32 v122, v125, v218
	v_mad_u64_u32 v[122:123], s[24:25], v126, v217, v[122:123]
	v_cvt_f32_i32_e32 v122, v122
	v_add_u32_e32 v130, s22, v199
	v_add_u32_e32 v131, s21, v200
	v_mov_b32_e32 v135, 0
	v_fmac_f32_e32 v127, v163, v122
	v_fmac_f32_e32 v97, v208, v127
	ds_read2_b32 v[126:127], v131 offset0:6 offset1:7
	ds_read2_b32 v[128:129], v131 offset0:4 offset1:5
	;; [unrolled: 1-line block ×3, first 2 shown]
	ds_read2_b32 v[124:125], v131 offset1:1
	ds_read_b32 v134, v130
	ds_read2_b32 v[138:139], v131 offset0:14 offset1:15
	ds_read2_b32 v[140:141], v131 offset0:12 offset1:13
	v_mov_b32_e32 v130, 0
	ds_read2_b32 v[148:149], v131 offset0:10 offset1:11
	ds_read2_b32 v[152:153], v131 offset0:8 offset1:9
	s_waitcnt lgkmcnt(7)
	v_dot4c_i32_i8_e32 v130, v128, v4
	v_mov_b32_e32 v131, 0
	v_dot4c_i32_i8_e32 v130, v129, v5
	s_waitcnt lgkmcnt(5)
	v_dot4c_i32_i8_e32 v131, v124, v0
	v_dot4c_i32_i8_e32 v130, v126, v6
	v_dot4c_i32_i8_e32 v131, v125, v1
	v_dot4c_i32_i8_e32 v130, v127, v7
	s_waitcnt lgkmcnt(4)
	v_bfe_i32 v219, v134, 8, 8
	v_dot4c_i32_i8_e32 v131, v122, v2
	v_dot4c_i32_i8_e32 v131, v123, v3
	v_mul_lo_u32 v130, v130, v219
	v_bfe_i32 v220, v134, 0, 8
	s_waitcnt lgkmcnt(2)
	v_dot4c_i32_i8_e32 v135, v140, v12
	v_mad_u64_u32 v[130:131], s[24:25], v131, v220, v[130:131]
	v_mov_b32_e32 v142, 0
	v_cvt_f32_i32_e32 v130, v130
	v_dot4c_i32_i8_e32 v135, v141, v13
	s_waitcnt lgkmcnt(0)
	v_dot4c_i32_i8_e32 v142, v152, v8
	v_dot4c_i32_i8_e32 v135, v138, v14
	;; [unrolled: 1-line block ×5, first 2 shown]
	v_ashrrev_i32_e32 v222, 24, v134
	v_dot4c_i32_i8_e32 v142, v149, v11
	v_fma_f32 v143, v162, v130, 0
	v_bfe_i32 v221, v134, 16, 8
	v_mul_lo_u32 v130, v135, v222
	v_mad_u64_u32 v[130:131], s[24:25], v142, v221, v[130:131]
	v_cvt_f32_i32_e32 v130, v130
	v_add_u32_e32 v146, s22, v201
	v_add_u32_e32 v156, s21, v202
	v_mov_b32_e32 v227, 0
	v_fmac_f32_e32 v143, v163, v130
	v_fmac_f32_e32 v93, v209, v143
	ds_read2_b32 v[142:143], v156 offset0:6 offset1:7
	ds_read2_b32 v[144:145], v156 offset0:4 offset1:5
	;; [unrolled: 1-line block ×3, first 2 shown]
	ds_read2_b32 v[134:135], v156 offset1:1
	ds_read_b32 v226, v146
	ds_read2_b32 v[146:147], v156 offset0:14 offset1:15
	ds_read2_b32 v[150:151], v156 offset0:12 offset1:13
	;; [unrolled: 1-line block ×4, first 2 shown]
	v_mov_b32_e32 v228, 0
	s_waitcnt lgkmcnt(4)
	v_bfe_i32 v223, v226, 8, 8
	v_bfe_i32 v224, v226, 0, 8
	s_waitcnt lgkmcnt(2)
	v_dot4c_i32_i8_e32 v227, v150, v12
	v_mov_b32_e32 v12, 0
	s_waitcnt lgkmcnt(0)
	v_dot4c_i32_i8_e32 v12, v156, v8
	v_mov_b32_e32 v8, 0
	v_dot4c_i32_i8_e32 v8, v144, v4
	v_dot4c_i32_i8_e32 v8, v145, v5
	v_mov_b32_e32 v5, 0
	v_dot4c_i32_i8_e32 v5, v134, v0
	v_dot4c_i32_i8_e32 v8, v142, v6
	;; [unrolled: 1-line block ×7, first 2 shown]
	v_mul_lo_u32 v4, v8, v223
	v_dot4c_i32_i8_e32 v227, v146, v14
	v_mad_u64_u32 v[0:1], s[22:23], v5, v224, v[4:5]
	v_cvt_f32_i32_e32 v0, v0
	v_dot4c_i32_i8_e32 v12, v157, v9
	v_dot4c_i32_i8_e32 v227, v147, v15
	;; [unrolled: 1-line block ×3, first 2 shown]
	v_bfe_i32 v225, v226, 16, 8
	v_ashrrev_i32_e32 v226, 24, v226
	v_dot4c_i32_i8_e32 v12, v155, v11
	v_fma_f32 v2, v162, v0, 0
	v_mul_lo_u32 v0, v227, v226
	v_mov_b32_e32 v229, 0
	v_mad_u64_u32 v[0:1], s[22:23], v12, v225, v[0:1]
	v_cvt_f32_i32_e32 v0, v0
	v_mov_b32_e32 v227, 0
	v_mov_b32_e32 v230, 0
	s_and_b64 vcc, exec, s[0:1]
	v_fmac_f32_e32 v2, v163, v0
	v_or_b32_e32 v0, s20, v170
	v_lshlrev_b32_e32 v12, 2, v0
	v_lshrrev_b32_e32 v162, 1, v0
	v_fmac_f32_e32 v85, v210, v2
	ds_read_b128 v[0:3], v12 offset:33280
	ds_read_b128 v[4:7], v12 offset:33296
	;; [unrolled: 1-line block ×4, first 2 shown]
	ds_read_b64 v[162:163], v162 offset:43584
	s_waitcnt lgkmcnt(4)
	v_dot4c_i32_i8_e32 v229, v100, v0
	s_waitcnt lgkmcnt(3)
	v_dot4c_i32_i8_e32 v228, v104, v4
	v_dot4c_i32_i8_e32 v228, v105, v5
	;; [unrolled: 1-line block ×7, first 2 shown]
	s_waitcnt lgkmcnt(1)
	v_dot4c_i32_i8_e32 v227, v160, v12
	v_mul_lo_u32 v228, v228, v211
	v_dot4c_i32_i8_e32 v227, v161, v13
	v_mad_u64_u32 v[228:229], s[22:23], v229, v212, v[228:229]
	v_cvt_f32_i32_e32 v228, v228
	v_dot4c_i32_i8_e32 v230, v116, v8
	v_dot4c_i32_i8_e32 v227, v158, v14
	;; [unrolled: 1-line block ×6, first 2 shown]
	s_waitcnt lgkmcnt(0)
	v_fma_f32 v231, v162, v228, 0
	v_mul_lo_u32 v228, v227, v214
	s_mov_b64 s[0:1], 0
	v_mad_u64_u32 v[228:229], s[22:23], v230, v213, v[228:229]
	v_cvt_f32_i32_e32 v227, v228
	v_mov_b32_e32 v228, 0
	v_dot4c_i32_i8_e32 v228, v112, v4
	v_mov_b32_e32 v229, 0
	v_dot4c_i32_i8_e32 v228, v113, v5
	v_dot4c_i32_i8_e32 v229, v108, v0
	;; [unrolled: 1-line block ×7, first 2 shown]
	v_fmac_f32_e32 v231, v163, v227
	v_mul_lo_u32 v228, v228, v215
	v_mov_b32_e32 v227, 0
	v_mad_u64_u32 v[228:229], s[22:23], v229, v216, v[228:229]
	v_dot4c_i32_i8_e32 v227, v120, v12
	v_mov_b32_e32 v230, 0
	v_cvt_f32_i32_e32 v228, v228
	v_dot4c_i32_i8_e32 v227, v121, v13
	v_dot4c_i32_i8_e32 v230, v136, v8
	;; [unrolled: 1-line block ×6, first 2 shown]
	v_fmac_f32_e32 v83, v207, v231
	v_dot4c_i32_i8_e32 v230, v133, v11
	v_fma_f32 v231, v162, v228, 0
	v_mul_lo_u32 v228, v227, v218
	s_nop 0
	v_mad_u64_u32 v[228:229], s[22:23], v230, v217, v[228:229]
	v_cvt_f32_i32_e32 v227, v228
	v_mov_b32_e32 v228, 0
	v_dot4c_i32_i8_e32 v228, v128, v4
	v_mov_b32_e32 v229, 0
	v_dot4c_i32_i8_e32 v228, v129, v5
	v_dot4c_i32_i8_e32 v229, v124, v0
	;; [unrolled: 1-line block ×7, first 2 shown]
	v_fmac_f32_e32 v231, v163, v227
	v_mul_lo_u32 v228, v228, v219
	v_mov_b32_e32 v227, 0
	v_mad_u64_u32 v[228:229], s[22:23], v229, v220, v[228:229]
	v_dot4c_i32_i8_e32 v227, v140, v12
	v_mov_b32_e32 v230, 0
	v_cvt_f32_i32_e32 v228, v228
	v_dot4c_i32_i8_e32 v227, v141, v13
	v_dot4c_i32_i8_e32 v230, v152, v8
	;; [unrolled: 1-line block ×6, first 2 shown]
	v_fmac_f32_e32 v81, v208, v231
	v_dot4c_i32_i8_e32 v230, v149, v11
	v_fma_f32 v231, v162, v228, 0
	v_mul_lo_u32 v228, v227, v222
	s_nop 0
	v_mad_u64_u32 v[228:229], s[22:23], v230, v221, v[228:229]
	v_cvt_f32_i32_e32 v227, v228
	v_mov_b32_e32 v228, 0
	v_mov_b32_e32 v229, 0
	;; [unrolled: 1-line block ×3, first 2 shown]
	v_fmac_f32_e32 v231, v163, v227
	v_mov_b32_e32 v227, 0
	v_dot4c_i32_i8_e32 v227, v150, v12
	v_mov_b32_e32 v12, 0
	v_dot4c_i32_i8_e32 v12, v156, v8
	;; [unrolled: 2-line block ×3, first 2 shown]
	v_dot4c_i32_i8_e32 v8, v145, v5
	v_mov_b32_e32 v5, 0
	v_dot4c_i32_i8_e32 v5, v134, v0
	v_dot4c_i32_i8_e32 v8, v142, v6
	v_dot4c_i32_i8_e32 v5, v135, v1
	v_dot4c_i32_i8_e32 v8, v143, v7
	v_dot4c_i32_i8_e32 v5, v130, v2
	v_dot4c_i32_i8_e32 v5, v131, v3
	v_dot4c_i32_i8_e32 v227, v151, v13
	v_mul_lo_u32 v4, v8, v223
	v_dot4c_i32_i8_e32 v227, v146, v14
	v_mad_u64_u32 v[0:1], s[22:23], v5, v224, v[4:5]
	v_cvt_f32_i32_e32 v0, v0
	v_dot4c_i32_i8_e32 v12, v157, v9
	v_dot4c_i32_i8_e32 v227, v147, v15
	;; [unrolled: 1-line block ×4, first 2 shown]
	v_fma_f32 v2, v162, v0, 0
	v_mul_lo_u32 v0, v227, v226
	v_mov_b32_e32 v227, 0
	v_mad_u64_u32 v[0:1], s[22:23], v12, v225, v[0:1]
	v_cvt_f32_i32_e32 v0, v0
	v_fmac_f32_e32 v77, v209, v231
	v_fmac_f32_e32 v2, v163, v0
	v_or_b32_e32 v0, s20, v173
	v_lshlrev_b32_e32 v12, 2, v0
	v_lshrrev_b32_e32 v162, 1, v0
	v_fmac_f32_e32 v73, v210, v2
	ds_read_b128 v[0:3], v12 offset:33280
	ds_read_b128 v[4:7], v12 offset:33296
	;; [unrolled: 1-line block ×4, first 2 shown]
	ds_read_b64 v[162:163], v162 offset:43584
	s_waitcnt lgkmcnt(4)
	v_dot4c_i32_i8_e32 v229, v100, v0
	s_waitcnt lgkmcnt(3)
	v_dot4c_i32_i8_e32 v228, v104, v4
	v_dot4c_i32_i8_e32 v228, v105, v5
	;; [unrolled: 1-line block ×7, first 2 shown]
	s_waitcnt lgkmcnt(1)
	v_dot4c_i32_i8_e32 v227, v160, v12
	v_mul_lo_u32 v228, v228, v211
	v_dot4c_i32_i8_e32 v227, v161, v13
	v_mad_u64_u32 v[228:229], s[22:23], v229, v212, v[228:229]
	v_cvt_f32_i32_e32 v228, v228
	v_dot4c_i32_i8_e32 v230, v116, v8
	v_dot4c_i32_i8_e32 v227, v158, v14
	;; [unrolled: 1-line block ×6, first 2 shown]
	s_waitcnt lgkmcnt(0)
	v_fma_f32 v231, v162, v228, 0
	v_mul_lo_u32 v228, v227, v214
	v_mad_u64_u32 v[228:229], s[22:23], v230, v213, v[228:229]
	v_cvt_f32_i32_e32 v227, v228
	v_mov_b32_e32 v228, 0
	v_dot4c_i32_i8_e32 v228, v112, v4
	v_mov_b32_e32 v229, 0
	v_dot4c_i32_i8_e32 v228, v113, v5
	v_dot4c_i32_i8_e32 v229, v108, v0
	;; [unrolled: 1-line block ×7, first 2 shown]
	v_fmac_f32_e32 v231, v163, v227
	v_mul_lo_u32 v228, v228, v215
	v_mov_b32_e32 v227, 0
	v_mad_u64_u32 v[228:229], s[22:23], v229, v216, v[228:229]
	v_dot4c_i32_i8_e32 v227, v120, v12
	v_mov_b32_e32 v230, 0
	v_cvt_f32_i32_e32 v228, v228
	v_dot4c_i32_i8_e32 v227, v121, v13
	v_dot4c_i32_i8_e32 v230, v136, v8
	;; [unrolled: 1-line block ×6, first 2 shown]
	v_fmac_f32_e32 v71, v207, v231
	v_dot4c_i32_i8_e32 v230, v133, v11
	v_fma_f32 v231, v162, v228, 0
	v_mul_lo_u32 v228, v227, v218
	s_nop 0
	v_mad_u64_u32 v[228:229], s[22:23], v230, v217, v[228:229]
	v_cvt_f32_i32_e32 v227, v228
	v_mov_b32_e32 v228, 0
	v_dot4c_i32_i8_e32 v228, v128, v4
	v_mov_b32_e32 v229, 0
	v_dot4c_i32_i8_e32 v228, v129, v5
	v_dot4c_i32_i8_e32 v229, v124, v0
	;; [unrolled: 1-line block ×7, first 2 shown]
	v_fmac_f32_e32 v231, v163, v227
	v_mul_lo_u32 v228, v228, v219
	v_mov_b32_e32 v227, 0
	v_mad_u64_u32 v[228:229], s[22:23], v229, v220, v[228:229]
	v_dot4c_i32_i8_e32 v227, v140, v12
	v_mov_b32_e32 v230, 0
	v_cvt_f32_i32_e32 v228, v228
	v_dot4c_i32_i8_e32 v227, v141, v13
	v_dot4c_i32_i8_e32 v230, v152, v8
	;; [unrolled: 1-line block ×6, first 2 shown]
	v_fmac_f32_e32 v69, v208, v231
	v_dot4c_i32_i8_e32 v230, v149, v11
	v_fma_f32 v231, v162, v228, 0
	v_mul_lo_u32 v228, v227, v222
	s_nop 0
	v_mad_u64_u32 v[228:229], s[22:23], v230, v221, v[228:229]
	v_cvt_f32_i32_e32 v227, v228
	v_mov_b32_e32 v228, 0
	v_mov_b32_e32 v229, 0
	;; [unrolled: 1-line block ×3, first 2 shown]
	v_fmac_f32_e32 v231, v163, v227
	v_mov_b32_e32 v227, 0
	v_dot4c_i32_i8_e32 v227, v150, v12
	v_mov_b32_e32 v12, 0
	v_dot4c_i32_i8_e32 v12, v156, v8
	;; [unrolled: 2-line block ×3, first 2 shown]
	v_dot4c_i32_i8_e32 v8, v145, v5
	v_mov_b32_e32 v5, 0
	v_dot4c_i32_i8_e32 v5, v134, v0
	v_dot4c_i32_i8_e32 v8, v142, v6
	;; [unrolled: 1-line block ×7, first 2 shown]
	v_mul_lo_u32 v4, v8, v223
	v_dot4c_i32_i8_e32 v227, v146, v14
	v_mad_u64_u32 v[0:1], s[22:23], v5, v224, v[4:5]
	v_cvt_f32_i32_e32 v0, v0
	v_dot4c_i32_i8_e32 v12, v157, v9
	v_dot4c_i32_i8_e32 v227, v147, v15
	;; [unrolled: 1-line block ×4, first 2 shown]
	v_fma_f32 v2, v162, v0, 0
	v_mul_lo_u32 v0, v227, v226
	v_mov_b32_e32 v227, 0
	v_mad_u64_u32 v[0:1], s[22:23], v12, v225, v[0:1]
	v_cvt_f32_i32_e32 v0, v0
	v_fmac_f32_e32 v67, v209, v231
	v_fmac_f32_e32 v2, v163, v0
	v_or_b32_e32 v0, s20, v176
	v_lshlrev_b32_e32 v12, 2, v0
	v_lshrrev_b32_e32 v162, 1, v0
	v_fmac_f32_e32 v65, v210, v2
	ds_read_b128 v[0:3], v12 offset:33280
	ds_read_b128 v[4:7], v12 offset:33296
	;; [unrolled: 1-line block ×4, first 2 shown]
	ds_read_b64 v[162:163], v162 offset:43584
	s_waitcnt lgkmcnt(4)
	v_dot4c_i32_i8_e32 v229, v100, v0
	s_waitcnt lgkmcnt(3)
	v_dot4c_i32_i8_e32 v228, v104, v4
	v_dot4c_i32_i8_e32 v228, v105, v5
	;; [unrolled: 1-line block ×7, first 2 shown]
	s_waitcnt lgkmcnt(1)
	v_dot4c_i32_i8_e32 v227, v160, v12
	v_mul_lo_u32 v228, v228, v211
	v_dot4c_i32_i8_e32 v227, v161, v13
	v_mad_u64_u32 v[228:229], s[22:23], v229, v212, v[228:229]
	v_cvt_f32_i32_e32 v228, v228
	v_dot4c_i32_i8_e32 v230, v116, v8
	v_dot4c_i32_i8_e32 v227, v158, v14
	;; [unrolled: 1-line block ×6, first 2 shown]
	s_waitcnt lgkmcnt(0)
	v_fma_f32 v231, v162, v228, 0
	v_mul_lo_u32 v228, v227, v214
	v_mad_u64_u32 v[228:229], s[22:23], v230, v213, v[228:229]
	v_cvt_f32_i32_e32 v227, v228
	v_mov_b32_e32 v228, 0
	v_dot4c_i32_i8_e32 v228, v112, v4
	v_mov_b32_e32 v229, 0
	v_dot4c_i32_i8_e32 v228, v113, v5
	v_dot4c_i32_i8_e32 v229, v108, v0
	v_dot4c_i32_i8_e32 v228, v110, v6
	v_dot4c_i32_i8_e32 v229, v109, v1
	v_dot4c_i32_i8_e32 v228, v111, v7
	v_dot4c_i32_i8_e32 v229, v106, v2
	v_dot4c_i32_i8_e32 v229, v107, v3
	v_fmac_f32_e32 v231, v163, v227
	v_mul_lo_u32 v228, v228, v215
	v_mov_b32_e32 v227, 0
	v_mad_u64_u32 v[228:229], s[22:23], v229, v216, v[228:229]
	v_dot4c_i32_i8_e32 v227, v120, v12
	v_mov_b32_e32 v230, 0
	v_cvt_f32_i32_e32 v228, v228
	v_dot4c_i32_i8_e32 v227, v121, v13
	v_dot4c_i32_i8_e32 v230, v136, v8
	;; [unrolled: 1-line block ×6, first 2 shown]
	v_fmac_f32_e32 v61, v207, v231
	v_dot4c_i32_i8_e32 v230, v133, v11
	v_fma_f32 v231, v162, v228, 0
	v_mul_lo_u32 v228, v227, v218
	s_nop 0
	v_mad_u64_u32 v[228:229], s[22:23], v230, v217, v[228:229]
	v_cvt_f32_i32_e32 v227, v228
	v_mov_b32_e32 v228, 0
	v_dot4c_i32_i8_e32 v228, v128, v4
	v_mov_b32_e32 v229, 0
	v_dot4c_i32_i8_e32 v228, v129, v5
	v_dot4c_i32_i8_e32 v229, v124, v0
	;; [unrolled: 1-line block ×7, first 2 shown]
	v_fmac_f32_e32 v231, v163, v227
	v_mul_lo_u32 v228, v228, v219
	v_mov_b32_e32 v227, 0
	v_mad_u64_u32 v[228:229], s[22:23], v229, v220, v[228:229]
	v_dot4c_i32_i8_e32 v227, v140, v12
	v_mov_b32_e32 v230, 0
	v_cvt_f32_i32_e32 v228, v228
	v_dot4c_i32_i8_e32 v227, v141, v13
	v_dot4c_i32_i8_e32 v230, v152, v8
	;; [unrolled: 1-line block ×6, first 2 shown]
	v_fmac_f32_e32 v57, v208, v231
	v_dot4c_i32_i8_e32 v230, v149, v11
	v_fma_f32 v231, v162, v228, 0
	v_mul_lo_u32 v228, v227, v222
	s_nop 0
	v_mad_u64_u32 v[228:229], s[22:23], v230, v221, v[228:229]
	v_cvt_f32_i32_e32 v227, v228
	v_mov_b32_e32 v228, 0
	v_mov_b32_e32 v229, 0
	;; [unrolled: 1-line block ×3, first 2 shown]
	v_fmac_f32_e32 v231, v163, v227
	v_mov_b32_e32 v227, 0
	v_dot4c_i32_i8_e32 v227, v150, v12
	v_mov_b32_e32 v12, 0
	v_dot4c_i32_i8_e32 v12, v156, v8
	;; [unrolled: 2-line block ×3, first 2 shown]
	v_dot4c_i32_i8_e32 v8, v145, v5
	v_mov_b32_e32 v5, 0
	v_dot4c_i32_i8_e32 v5, v134, v0
	v_dot4c_i32_i8_e32 v8, v142, v6
	v_dot4c_i32_i8_e32 v5, v135, v1
	v_dot4c_i32_i8_e32 v8, v143, v7
	v_dot4c_i32_i8_e32 v5, v130, v2
	v_dot4c_i32_i8_e32 v5, v131, v3
	v_dot4c_i32_i8_e32 v227, v151, v13
	v_mul_lo_u32 v4, v8, v223
	v_dot4c_i32_i8_e32 v227, v146, v14
	v_mad_u64_u32 v[0:1], s[22:23], v5, v224, v[4:5]
	v_cvt_f32_i32_e32 v0, v0
	v_dot4c_i32_i8_e32 v12, v157, v9
	v_dot4c_i32_i8_e32 v227, v147, v15
	;; [unrolled: 1-line block ×4, first 2 shown]
	v_fma_f32 v2, v162, v0, 0
	v_mul_lo_u32 v0, v227, v226
	v_mov_b32_e32 v227, 0
	v_mad_u64_u32 v[0:1], s[22:23], v12, v225, v[0:1]
	v_cvt_f32_i32_e32 v0, v0
	v_fmac_f32_e32 v55, v209, v231
	v_fmac_f32_e32 v2, v163, v0
	v_or_b32_e32 v0, s20, v179
	v_lshlrev_b32_e32 v12, 2, v0
	v_lshrrev_b32_e32 v162, 1, v0
	v_fmac_f32_e32 v53, v210, v2
	ds_read_b128 v[0:3], v12 offset:33280
	ds_read_b128 v[4:7], v12 offset:33296
	;; [unrolled: 1-line block ×4, first 2 shown]
	ds_read_b64 v[162:163], v162 offset:43584
	s_waitcnt lgkmcnt(4)
	v_dot4c_i32_i8_e32 v229, v100, v0
	s_waitcnt lgkmcnt(3)
	v_dot4c_i32_i8_e32 v228, v104, v4
	v_dot4c_i32_i8_e32 v228, v105, v5
	;; [unrolled: 1-line block ×7, first 2 shown]
	s_waitcnt lgkmcnt(1)
	v_dot4c_i32_i8_e32 v227, v160, v12
	v_mul_lo_u32 v228, v228, v211
	v_dot4c_i32_i8_e32 v227, v161, v13
	v_mad_u64_u32 v[228:229], s[22:23], v229, v212, v[228:229]
	v_cvt_f32_i32_e32 v228, v228
	v_dot4c_i32_i8_e32 v230, v116, v8
	v_dot4c_i32_i8_e32 v227, v158, v14
	;; [unrolled: 1-line block ×6, first 2 shown]
	s_waitcnt lgkmcnt(0)
	v_fma_f32 v231, v162, v228, 0
	v_mul_lo_u32 v228, v227, v214
	v_mad_u64_u32 v[228:229], s[22:23], v230, v213, v[228:229]
	v_cvt_f32_i32_e32 v227, v228
	v_mov_b32_e32 v228, 0
	v_dot4c_i32_i8_e32 v228, v112, v4
	v_mov_b32_e32 v229, 0
	v_dot4c_i32_i8_e32 v228, v113, v5
	v_dot4c_i32_i8_e32 v229, v108, v0
	;; [unrolled: 1-line block ×7, first 2 shown]
	v_fmac_f32_e32 v231, v163, v227
	v_mul_lo_u32 v228, v228, v215
	v_mov_b32_e32 v227, 0
	v_mad_u64_u32 v[228:229], s[22:23], v229, v216, v[228:229]
	v_dot4c_i32_i8_e32 v227, v120, v12
	v_mov_b32_e32 v230, 0
	v_cvt_f32_i32_e32 v228, v228
	v_dot4c_i32_i8_e32 v227, v121, v13
	v_dot4c_i32_i8_e32 v230, v136, v8
	;; [unrolled: 1-line block ×6, first 2 shown]
	v_fmac_f32_e32 v51, v207, v231
	v_dot4c_i32_i8_e32 v230, v133, v11
	v_fma_f32 v231, v162, v228, 0
	v_mul_lo_u32 v228, v227, v218
	s_nop 0
	v_mad_u64_u32 v[228:229], s[22:23], v230, v217, v[228:229]
	v_cvt_f32_i32_e32 v227, v228
	v_mov_b32_e32 v228, 0
	v_dot4c_i32_i8_e32 v228, v128, v4
	v_mov_b32_e32 v229, 0
	v_dot4c_i32_i8_e32 v228, v129, v5
	v_dot4c_i32_i8_e32 v229, v124, v0
	;; [unrolled: 1-line block ×7, first 2 shown]
	v_fmac_f32_e32 v231, v163, v227
	v_mul_lo_u32 v228, v228, v219
	v_mov_b32_e32 v227, 0
	v_mad_u64_u32 v[228:229], s[22:23], v229, v220, v[228:229]
	v_dot4c_i32_i8_e32 v227, v140, v12
	v_mov_b32_e32 v230, 0
	v_cvt_f32_i32_e32 v228, v228
	v_dot4c_i32_i8_e32 v227, v141, v13
	v_dot4c_i32_i8_e32 v230, v152, v8
	;; [unrolled: 1-line block ×6, first 2 shown]
	v_fmac_f32_e32 v49, v208, v231
	v_dot4c_i32_i8_e32 v230, v149, v11
	v_fma_f32 v231, v162, v228, 0
	v_mul_lo_u32 v228, v227, v222
	s_nop 0
	v_mad_u64_u32 v[228:229], s[22:23], v230, v221, v[228:229]
	v_cvt_f32_i32_e32 v227, v228
	v_mov_b32_e32 v228, 0
	v_mov_b32_e32 v229, 0
	;; [unrolled: 1-line block ×3, first 2 shown]
	v_fmac_f32_e32 v231, v163, v227
	v_mov_b32_e32 v227, 0
	v_dot4c_i32_i8_e32 v227, v150, v12
	v_mov_b32_e32 v12, 0
	v_dot4c_i32_i8_e32 v12, v156, v8
	;; [unrolled: 2-line block ×3, first 2 shown]
	v_dot4c_i32_i8_e32 v8, v145, v5
	v_mov_b32_e32 v5, 0
	v_dot4c_i32_i8_e32 v5, v134, v0
	v_dot4c_i32_i8_e32 v8, v142, v6
	;; [unrolled: 1-line block ×7, first 2 shown]
	v_mul_lo_u32 v4, v8, v223
	v_dot4c_i32_i8_e32 v227, v146, v14
	v_mad_u64_u32 v[0:1], s[22:23], v5, v224, v[4:5]
	v_cvt_f32_i32_e32 v0, v0
	v_dot4c_i32_i8_e32 v12, v157, v9
	v_dot4c_i32_i8_e32 v227, v147, v15
	;; [unrolled: 1-line block ×4, first 2 shown]
	v_fma_f32 v2, v162, v0, 0
	v_mul_lo_u32 v0, v227, v226
	v_mov_b32_e32 v227, 0
	v_mad_u64_u32 v[0:1], s[22:23], v12, v225, v[0:1]
	v_cvt_f32_i32_e32 v0, v0
	v_fmac_f32_e32 v47, v209, v231
	v_fmac_f32_e32 v2, v163, v0
	v_or_b32_e32 v0, s20, v182
	v_lshlrev_b32_e32 v12, 2, v0
	v_lshrrev_b32_e32 v162, 1, v0
	v_fmac_f32_e32 v45, v210, v2
	ds_read_b128 v[0:3], v12 offset:33280
	ds_read_b128 v[4:7], v12 offset:33296
	;; [unrolled: 1-line block ×4, first 2 shown]
	ds_read_b64 v[162:163], v162 offset:43584
	s_waitcnt lgkmcnt(4)
	v_dot4c_i32_i8_e32 v229, v100, v0
	s_waitcnt lgkmcnt(3)
	v_dot4c_i32_i8_e32 v228, v104, v4
	v_dot4c_i32_i8_e32 v228, v105, v5
	;; [unrolled: 1-line block ×7, first 2 shown]
	s_waitcnt lgkmcnt(1)
	v_dot4c_i32_i8_e32 v227, v160, v12
	v_mul_lo_u32 v228, v228, v211
	v_dot4c_i32_i8_e32 v227, v161, v13
	v_mad_u64_u32 v[228:229], s[22:23], v229, v212, v[228:229]
	v_cvt_f32_i32_e32 v228, v228
	v_dot4c_i32_i8_e32 v230, v116, v8
	v_dot4c_i32_i8_e32 v227, v158, v14
	;; [unrolled: 1-line block ×6, first 2 shown]
	s_waitcnt lgkmcnt(0)
	v_fma_f32 v231, v162, v228, 0
	v_mul_lo_u32 v228, v227, v214
	v_mad_u64_u32 v[228:229], s[22:23], v230, v213, v[228:229]
	v_cvt_f32_i32_e32 v227, v228
	v_mov_b32_e32 v228, 0
	v_dot4c_i32_i8_e32 v228, v112, v4
	v_mov_b32_e32 v229, 0
	v_dot4c_i32_i8_e32 v228, v113, v5
	v_dot4c_i32_i8_e32 v229, v108, v0
	v_dot4c_i32_i8_e32 v228, v110, v6
	v_dot4c_i32_i8_e32 v229, v109, v1
	v_dot4c_i32_i8_e32 v228, v111, v7
	v_dot4c_i32_i8_e32 v229, v106, v2
	v_dot4c_i32_i8_e32 v229, v107, v3
	v_fmac_f32_e32 v231, v163, v227
	v_mul_lo_u32 v228, v228, v215
	v_mov_b32_e32 v227, 0
	v_mad_u64_u32 v[228:229], s[22:23], v229, v216, v[228:229]
	v_dot4c_i32_i8_e32 v227, v120, v12
	v_mov_b32_e32 v230, 0
	v_cvt_f32_i32_e32 v228, v228
	v_dot4c_i32_i8_e32 v227, v121, v13
	v_dot4c_i32_i8_e32 v230, v136, v8
	;; [unrolled: 1-line block ×6, first 2 shown]
	v_fmac_f32_e32 v43, v207, v231
	v_dot4c_i32_i8_e32 v230, v133, v11
	v_fma_f32 v231, v162, v228, 0
	v_mul_lo_u32 v228, v227, v218
	s_nop 0
	v_mad_u64_u32 v[228:229], s[22:23], v230, v217, v[228:229]
	v_cvt_f32_i32_e32 v227, v228
	v_mov_b32_e32 v228, 0
	v_dot4c_i32_i8_e32 v228, v128, v4
	v_mov_b32_e32 v229, 0
	v_dot4c_i32_i8_e32 v228, v129, v5
	v_dot4c_i32_i8_e32 v229, v124, v0
	;; [unrolled: 1-line block ×7, first 2 shown]
	v_fmac_f32_e32 v231, v163, v227
	v_mul_lo_u32 v228, v228, v219
	v_mov_b32_e32 v227, 0
	v_mad_u64_u32 v[228:229], s[22:23], v229, v220, v[228:229]
	v_dot4c_i32_i8_e32 v227, v140, v12
	v_mov_b32_e32 v230, 0
	v_cvt_f32_i32_e32 v228, v228
	v_dot4c_i32_i8_e32 v227, v141, v13
	v_dot4c_i32_i8_e32 v230, v152, v8
	v_dot4c_i32_i8_e32 v227, v138, v14
	v_dot4c_i32_i8_e32 v230, v153, v9
	v_dot4c_i32_i8_e32 v227, v139, v15
	v_dot4c_i32_i8_e32 v230, v148, v10
	v_fmac_f32_e32 v41, v208, v231
	v_dot4c_i32_i8_e32 v230, v149, v11
	v_fma_f32 v231, v162, v228, 0
	v_mul_lo_u32 v228, v227, v222
	s_nop 0
	v_mad_u64_u32 v[228:229], s[22:23], v230, v221, v[228:229]
	v_cvt_f32_i32_e32 v227, v228
	v_mov_b32_e32 v228, 0
	v_mov_b32_e32 v229, 0
	;; [unrolled: 1-line block ×3, first 2 shown]
	v_fmac_f32_e32 v231, v163, v227
	v_mov_b32_e32 v227, 0
	v_dot4c_i32_i8_e32 v227, v150, v12
	v_mov_b32_e32 v12, 0
	v_dot4c_i32_i8_e32 v12, v156, v8
	;; [unrolled: 2-line block ×3, first 2 shown]
	v_dot4c_i32_i8_e32 v8, v145, v5
	v_mov_b32_e32 v5, 0
	v_dot4c_i32_i8_e32 v5, v134, v0
	v_dot4c_i32_i8_e32 v8, v142, v6
	;; [unrolled: 1-line block ×7, first 2 shown]
	v_mul_lo_u32 v4, v8, v223
	v_dot4c_i32_i8_e32 v227, v146, v14
	v_mad_u64_u32 v[0:1], s[22:23], v5, v224, v[4:5]
	v_cvt_f32_i32_e32 v0, v0
	v_dot4c_i32_i8_e32 v12, v157, v9
	v_dot4c_i32_i8_e32 v227, v147, v15
	;; [unrolled: 1-line block ×4, first 2 shown]
	v_fma_f32 v2, v162, v0, 0
	v_mul_lo_u32 v0, v227, v226
	v_mov_b32_e32 v227, 0
	v_mad_u64_u32 v[0:1], s[22:23], v12, v225, v[0:1]
	v_cvt_f32_i32_e32 v0, v0
	v_fmac_f32_e32 v39, v209, v231
	v_fmac_f32_e32 v2, v163, v0
	v_or_b32_e32 v0, s20, v185
	v_lshlrev_b32_e32 v12, 2, v0
	v_lshrrev_b32_e32 v162, 1, v0
	v_fmac_f32_e32 v37, v210, v2
	ds_read_b128 v[0:3], v12 offset:33280
	ds_read_b128 v[4:7], v12 offset:33296
	;; [unrolled: 1-line block ×4, first 2 shown]
	ds_read_b64 v[162:163], v162 offset:43584
	s_waitcnt lgkmcnt(4)
	v_dot4c_i32_i8_e32 v229, v100, v0
	s_waitcnt lgkmcnt(3)
	v_dot4c_i32_i8_e32 v228, v104, v4
	v_dot4c_i32_i8_e32 v228, v105, v5
	;; [unrolled: 1-line block ×7, first 2 shown]
	s_waitcnt lgkmcnt(1)
	v_dot4c_i32_i8_e32 v227, v160, v12
	v_mul_lo_u32 v228, v228, v211
	v_dot4c_i32_i8_e32 v227, v161, v13
	v_mad_u64_u32 v[228:229], s[22:23], v229, v212, v[228:229]
	v_cvt_f32_i32_e32 v228, v228
	v_dot4c_i32_i8_e32 v230, v116, v8
	v_dot4c_i32_i8_e32 v227, v158, v14
	;; [unrolled: 1-line block ×6, first 2 shown]
	s_waitcnt lgkmcnt(0)
	v_fma_f32 v231, v162, v228, 0
	v_mul_lo_u32 v228, v227, v214
	v_mad_u64_u32 v[228:229], s[22:23], v230, v213, v[228:229]
	v_cvt_f32_i32_e32 v227, v228
	v_mov_b32_e32 v228, 0
	v_dot4c_i32_i8_e32 v228, v112, v4
	v_mov_b32_e32 v229, 0
	v_dot4c_i32_i8_e32 v228, v113, v5
	v_dot4c_i32_i8_e32 v229, v108, v0
	;; [unrolled: 1-line block ×7, first 2 shown]
	v_fmac_f32_e32 v231, v163, v227
	v_mul_lo_u32 v228, v228, v215
	v_mov_b32_e32 v227, 0
	v_mad_u64_u32 v[228:229], s[22:23], v229, v216, v[228:229]
	v_dot4c_i32_i8_e32 v227, v120, v12
	v_mov_b32_e32 v230, 0
	v_cvt_f32_i32_e32 v228, v228
	v_dot4c_i32_i8_e32 v227, v121, v13
	v_dot4c_i32_i8_e32 v230, v136, v8
	;; [unrolled: 1-line block ×6, first 2 shown]
	v_fmac_f32_e32 v35, v207, v231
	v_dot4c_i32_i8_e32 v230, v133, v11
	v_fma_f32 v231, v162, v228, 0
	v_mul_lo_u32 v228, v227, v218
	s_nop 0
	v_mad_u64_u32 v[228:229], s[22:23], v230, v217, v[228:229]
	v_cvt_f32_i32_e32 v227, v228
	v_mov_b32_e32 v228, 0
	v_dot4c_i32_i8_e32 v228, v128, v4
	v_mov_b32_e32 v229, 0
	v_dot4c_i32_i8_e32 v228, v129, v5
	v_dot4c_i32_i8_e32 v229, v124, v0
	;; [unrolled: 1-line block ×7, first 2 shown]
	v_fmac_f32_e32 v231, v163, v227
	v_mul_lo_u32 v228, v228, v219
	v_mov_b32_e32 v227, 0
	v_mad_u64_u32 v[228:229], s[22:23], v229, v220, v[228:229]
	v_dot4c_i32_i8_e32 v227, v140, v12
	v_mov_b32_e32 v230, 0
	v_cvt_f32_i32_e32 v228, v228
	v_dot4c_i32_i8_e32 v227, v141, v13
	v_dot4c_i32_i8_e32 v230, v152, v8
	;; [unrolled: 1-line block ×6, first 2 shown]
	v_fmac_f32_e32 v33, v208, v231
	v_dot4c_i32_i8_e32 v230, v149, v11
	v_fma_f32 v231, v162, v228, 0
	v_mul_lo_u32 v228, v227, v222
	s_nop 0
	v_mad_u64_u32 v[228:229], s[22:23], v230, v221, v[228:229]
	v_cvt_f32_i32_e32 v227, v228
	v_fmac_f32_e32 v231, v163, v227
	v_mov_b32_e32 v227, 0
	v_dot4c_i32_i8_e32 v227, v150, v12
	v_mov_b32_e32 v12, 0
	v_dot4c_i32_i8_e32 v12, v156, v8
	;; [unrolled: 2-line block ×3, first 2 shown]
	v_dot4c_i32_i8_e32 v8, v145, v5
	v_mov_b32_e32 v5, 0
	v_dot4c_i32_i8_e32 v5, v134, v0
	v_dot4c_i32_i8_e32 v8, v142, v6
	v_dot4c_i32_i8_e32 v5, v135, v1
	v_dot4c_i32_i8_e32 v8, v143, v7
	v_dot4c_i32_i8_e32 v5, v130, v2
	v_dot4c_i32_i8_e32 v5, v131, v3
	v_dot4c_i32_i8_e32 v227, v151, v13
	v_mul_lo_u32 v4, v8, v223
	v_dot4c_i32_i8_e32 v227, v146, v14
	v_mad_u64_u32 v[0:1], s[22:23], v5, v224, v[4:5]
	v_cvt_f32_i32_e32 v0, v0
	v_dot4c_i32_i8_e32 v12, v157, v9
	v_dot4c_i32_i8_e32 v227, v147, v15
	;; [unrolled: 1-line block ×4, first 2 shown]
	v_fma_f32 v2, v162, v0, 0
	v_mul_lo_u32 v0, v227, v226
	v_mov_b32_e32 v227, 0
	v_mad_u64_u32 v[0:1], s[22:23], v12, v225, v[0:1]
	v_cvt_f32_i32_e32 v0, v0
	v_fmac_f32_e32 v31, v209, v231
	v_fmac_f32_e32 v2, v163, v0
	v_or_b32_e32 v0, s20, v188
	v_lshlrev_b32_e32 v12, 2, v0
	v_lshrrev_b32_e32 v162, 1, v0
	v_fmac_f32_e32 v29, v210, v2
	ds_read_b128 v[0:3], v12 offset:33280
	ds_read_b128 v[4:7], v12 offset:33296
	;; [unrolled: 1-line block ×4, first 2 shown]
	ds_read_b64 v[162:163], v162 offset:43584
	s_waitcnt lgkmcnt(1)
	v_dot4c_i32_i8_e32 v227, v160, v12
	v_dot4c_i32_i8_e32 v227, v161, v13
	;; [unrolled: 1-line block ×3, first 2 shown]
	v_mov_b32_e32 v158, 0
	v_dot4c_i32_i8_e32 v158, v116, v8
	v_dot4c_i32_i8_e32 v158, v117, v9
	;; [unrolled: 1-line block ×3, first 2 shown]
	v_mov_b32_e32 v114, 0
	v_dot4c_i32_i8_e32 v114, v104, v4
	v_dot4c_i32_i8_e32 v114, v105, v5
	;; [unrolled: 1-line block ×4, first 2 shown]
	v_mov_b32_e32 v103, 0
	v_dot4c_i32_i8_e32 v103, v100, v0
	v_dot4c_i32_i8_e32 v103, v101, v1
	;; [unrolled: 1-line block ×3, first 2 shown]
	v_mul_lo_u32 v102, v114, v211
	v_dot4c_i32_i8_e32 v103, v99, v3
	v_dot4c_i32_i8_e32 v227, v159, v15
	;; [unrolled: 1-line block ×3, first 2 shown]
	v_mov_b32_e32 v101, 0
	v_mad_u64_u32 v[98:99], s[20:21], v103, v212, v[102:103]
	v_cvt_f32_i32_e32 v98, v98
	v_dot4c_i32_i8_e32 v101, v136, v8
	v_dot4c_i32_i8_e32 v101, v137, v9
	;; [unrolled: 1-line block ×3, first 2 shown]
	s_waitcnt lgkmcnt(0)
	v_fma_f32 v100, v162, v98, 0
	v_mul_lo_u32 v98, v227, v214
	v_mad_u64_u32 v[98:99], s[20:21], v158, v213, v[98:99]
	v_cvt_f32_i32_e32 v98, v98
	v_mov_b32_e32 v99, 0
	v_dot4c_i32_i8_e32 v99, v108, v0
	v_dot4c_i32_i8_e32 v99, v109, v1
	v_fmac_f32_e32 v100, v163, v98
	v_mov_b32_e32 v98, 0
	v_dot4c_i32_i8_e32 v98, v112, v4
	v_dot4c_i32_i8_e32 v98, v113, v5
	;; [unrolled: 1-line block ×6, first 2 shown]
	v_fmac_f32_e32 v27, v207, v100
	v_mul_lo_u32 v98, v98, v215
	v_mov_b32_e32 v100, 0
	v_mad_u64_u32 v[98:99], s[20:21], v99, v216, v[98:99]
	v_dot4c_i32_i8_e32 v100, v120, v12
	v_cvt_f32_i32_e32 v98, v98
	v_dot4c_i32_i8_e32 v100, v121, v13
	v_dot4c_i32_i8_e32 v100, v118, v14
	;; [unrolled: 1-line block ×4, first 2 shown]
	v_fma_f32 v102, v162, v98, 0
	s_nop 0
	v_mul_lo_u32 v98, v100, v218
	v_mad_u64_u32 v[98:99], s[20:21], v101, v217, v[98:99]
	v_cvt_f32_i32_e32 v98, v98
	v_mov_b32_e32 v99, 0
	v_dot4c_i32_i8_e32 v99, v124, v0
	v_dot4c_i32_i8_e32 v99, v125, v1
	v_fmac_f32_e32 v102, v163, v98
	v_mov_b32_e32 v98, 0
	v_dot4c_i32_i8_e32 v98, v128, v4
	v_dot4c_i32_i8_e32 v98, v129, v5
	;; [unrolled: 1-line block ×6, first 2 shown]
	v_mov_b32_e32 v100, 0
	v_mul_lo_u32 v98, v98, v219
	v_dot4c_i32_i8_e32 v100, v140, v12
	v_mad_u64_u32 v[98:99], s[20:21], v99, v220, v[98:99]
	v_mov_b32_e32 v101, 0
	v_cvt_f32_i32_e32 v98, v98
	v_dot4c_i32_i8_e32 v100, v141, v13
	v_dot4c_i32_i8_e32 v101, v152, v8
	;; [unrolled: 1-line block ×6, first 2 shown]
	v_fmac_f32_e32 v25, v208, v102
	v_dot4c_i32_i8_e32 v101, v149, v11
	v_fma_f32 v102, v162, v98, 0
	v_mul_lo_u32 v98, v100, v222
	s_nop 0
	v_mad_u64_u32 v[98:99], s[20:21], v101, v221, v[98:99]
	v_cvt_f32_i32_e32 v98, v98
	v_fmac_f32_e32 v102, v163, v98
	v_mov_b32_e32 v98, 0
	v_dot4c_i32_i8_e32 v98, v150, v12
	v_mov_b32_e32 v12, 0
	v_dot4c_i32_i8_e32 v12, v156, v8
	;; [unrolled: 2-line block ×3, first 2 shown]
	v_dot4c_i32_i8_e32 v8, v145, v5
	v_mov_b32_e32 v5, 0
	v_dot4c_i32_i8_e32 v5, v134, v0
	v_dot4c_i32_i8_e32 v8, v142, v6
	;; [unrolled: 1-line block ×7, first 2 shown]
	v_mul_lo_u32 v4, v8, v223
	v_dot4c_i32_i8_e32 v98, v146, v14
	v_mad_u64_u32 v[0:1], s[20:21], v5, v224, v[4:5]
	v_cvt_f32_i32_e32 v0, v0
	v_dot4c_i32_i8_e32 v12, v157, v9
	v_dot4c_i32_i8_e32 v98, v147, v15
	;; [unrolled: 1-line block ×4, first 2 shown]
	v_fma_f32 v2, v162, v0, 0
	v_mul_lo_u32 v0, v98, v226
	v_fmac_f32_e32 v23, v209, v102
	v_mad_u64_u32 v[0:1], s[20:21], v12, v225, v[0:1]
	v_cvt_f32_i32_e32 v0, v0
	s_mov_b32 s21, 8
	v_fmac_f32_e32 v2, v163, v0
	v_fmac_f32_e32 v17, v210, v2
	s_cbranch_vccnz .LBB176_6
; %bb.7:                                ;   in Loop: Header=BB176_5 Depth=1
	v_add_u32_e32 v14, s19, v191
	v_add_u32_e32 v0, v14, v166
	;; [unrolled: 1-line block ×6, first 2 shown]
	v_mad_i64_i32 v[0:1], s[0:1], v0, 36, v[94:95]
	v_mad_i64_i32 v[2:3], s[0:1], v2, 36, v[94:95]
	;; [unrolled: 1-line block ×4, first 2 shown]
	v_add_u32_e32 v8, v14, v178
	v_add_u32_e32 v10, v14, v181
	;; [unrolled: 1-line block ×4, first 2 shown]
	v_mad_u64_u32 v[98:99], s[0:1], v98, 36, s[2:3]
	s_barrier
	v_mad_i64_i32 v[8:9], s[0:1], v8, 36, v[94:95]
	v_mad_i64_i32 v[10:11], s[0:1], v10, 36, v[94:95]
	;; [unrolled: 1-line block ×4, first 2 shown]
	global_load_dword v98, v[98:99], off
	s_nop 0
	global_load_dword v0, v[0:1], off offset:4
	s_nop 0
	global_load_dword v1, v[2:3], off offset:4
	;; [unrolled: 2-line block ×3, first 2 shown]
	global_load_dword v3, v[6:7], off offset:4
	s_nop 0
	global_load_dword v4, v[8:9], off offset:4
	global_load_dword v5, v[10:11], off offset:4
	;; [unrolled: 1-line block ×4, first 2 shown]
	s_mov_b32 s0, 16
	s_waitcnt vmcnt(8)
	v_cvt_f32_f16_e32 v8, v98
	s_waitcnt vmcnt(7)
	ds_write_b32 v168, v0
	s_waitcnt vmcnt(6)
	ds_write_b32 v171, v1
	;; [unrolled: 2-line block ×8, first 2 shown]
	ds_write_b32 v164, v8
	s_waitcnt lgkmcnt(0)
	s_barrier
	ds_read_b32 v206, v190
	ds_read_b32 v207, v192 offset:128
	ds_read_b32 v208, v193 offset:256
	;; [unrolled: 1-line block ×3, first 2 shown]
.LBB176_8:                              ;   Parent Loop BB176_5 Depth=1
                                        ; =>  This Inner Loop Header: Depth=2
	s_lshl_b32 s1, s0, 1
	s_and_b32 s1, s1, 16
	v_or_b32_e32 v0, s1, v87
	v_lshlrev_b32_e32 v12, 2, v0
	s_lshr_b32 s19, s0, 1
	s_lshl_b32 s20, s0, 3
	v_lshrrev_b32_e32 v98, 1, v0
	ds_read_b128 v[0:3], v12 offset:33280
	ds_read_b128 v[4:7], v12 offset:33296
	;; [unrolled: 1-line block ×4, first 2 shown]
	ds_read_b64 v[162:163], v98 offset:43584
	v_add_u32_e32 v106, s19, v195
	v_add_u32_e32 v107, s20, v196
	ds_read2_b32 v[102:103], v107 offset0:6 offset1:7
	ds_read2_b32 v[104:105], v107 offset0:4 offset1:5
	ds_read2_b32 v[98:99], v107 offset0:2 offset1:3
	ds_read2_b32 v[100:101], v107 offset1:1
	ds_read_b32 v108, v106
	ds_read2_b32 v[158:159], v107 offset0:14 offset1:15
	ds_read2_b32 v[160:161], v107 offset0:12 offset1:13
	v_mov_b32_e32 v106, 0
	ds_read2_b32 v[114:115], v107 offset0:10 offset1:11
	ds_read2_b32 v[116:117], v107 offset0:8 offset1:9
	s_waitcnt lgkmcnt(7)
	v_dot4c_i32_i8_e32 v106, v104, v4
	v_mov_b32_e32 v107, 0
	v_dot4c_i32_i8_e32 v106, v105, v5
	s_waitcnt lgkmcnt(5)
	v_dot4c_i32_i8_e32 v107, v100, v0
	v_dot4c_i32_i8_e32 v106, v102, v6
	;; [unrolled: 1-line block ×4, first 2 shown]
	s_waitcnt lgkmcnt(4)
	v_bfe_i32 v210, v108, 8, 8
	v_dot4c_i32_i8_e32 v107, v98, v2
	v_dot4c_i32_i8_e32 v107, v99, v3
	v_mul_lo_u32 v106, v106, v210
	v_bfe_i32 v211, v108, 0, 8
	v_mov_b32_e32 v109, 0
	v_mad_u64_u32 v[106:107], s[22:23], v107, v211, v[106:107]
	s_waitcnt lgkmcnt(2)
	v_dot4c_i32_i8_e32 v109, v160, v12
	v_mov_b32_e32 v110, 0
	v_cvt_f32_i32_e32 v106, v106
	v_dot4c_i32_i8_e32 v109, v161, v13
	s_waitcnt lgkmcnt(0)
	v_dot4c_i32_i8_e32 v110, v116, v8
	v_dot4c_i32_i8_e32 v109, v158, v14
	;; [unrolled: 1-line block ×5, first 2 shown]
	v_ashrrev_i32_e32 v213, 24, v108
	v_dot4c_i32_i8_e32 v110, v115, v11
	v_fma_f32 v111, v162, v106, 0
	v_bfe_i32 v212, v108, 16, 8
	v_mul_lo_u32 v106, v109, v213
	v_mad_u64_u32 v[106:107], s[22:23], v110, v212, v[106:107]
	v_cvt_f32_i32_e32 v106, v106
	v_add_u32_e32 v118, s19, v197
	v_add_u32_e32 v122, s20, v198
	v_mov_b32_e32 v123, 0
	v_fmac_f32_e32 v111, v163, v106
	v_fmac_f32_e32 v167, v206, v111
	ds_read2_b32 v[110:111], v122 offset0:6 offset1:7
	ds_read2_b32 v[112:113], v122 offset0:4 offset1:5
	;; [unrolled: 1-line block ×3, first 2 shown]
	ds_read2_b32 v[108:109], v122 offset1:1
	ds_read_b32 v124, v118
	ds_read2_b32 v[118:119], v122 offset0:14 offset1:15
	ds_read2_b32 v[120:121], v122 offset0:12 offset1:13
	;; [unrolled: 1-line block ×4, first 2 shown]
	v_mov_b32_e32 v122, 0
	s_waitcnt lgkmcnt(7)
	v_dot4c_i32_i8_e32 v122, v112, v4
	v_dot4c_i32_i8_e32 v122, v113, v5
	s_waitcnt lgkmcnt(5)
	v_dot4c_i32_i8_e32 v123, v108, v0
	v_dot4c_i32_i8_e32 v122, v110, v6
	;; [unrolled: 1-line block ×4, first 2 shown]
	s_waitcnt lgkmcnt(4)
	v_bfe_i32 v214, v124, 8, 8
	v_dot4c_i32_i8_e32 v123, v106, v2
	v_dot4c_i32_i8_e32 v123, v107, v3
	v_mul_lo_u32 v122, v122, v214
	v_bfe_i32 v215, v124, 0, 8
	v_mov_b32_e32 v125, 0
	v_mad_u64_u32 v[122:123], s[22:23], v123, v215, v[122:123]
	s_waitcnt lgkmcnt(2)
	v_dot4c_i32_i8_e32 v125, v120, v12
	v_mov_b32_e32 v126, 0
	v_cvt_f32_i32_e32 v122, v122
	v_dot4c_i32_i8_e32 v125, v121, v13
	s_waitcnt lgkmcnt(0)
	v_dot4c_i32_i8_e32 v126, v136, v8
	v_dot4c_i32_i8_e32 v125, v118, v14
	;; [unrolled: 1-line block ×5, first 2 shown]
	v_ashrrev_i32_e32 v217, 24, v124
	v_dot4c_i32_i8_e32 v126, v133, v11
	v_fma_f32 v127, v162, v122, 0
	v_bfe_i32 v216, v124, 16, 8
	v_mul_lo_u32 v122, v125, v217
	v_mad_u64_u32 v[122:123], s[22:23], v126, v216, v[122:123]
	v_cvt_f32_i32_e32 v122, v122
	v_add_u32_e32 v130, s19, v199
	v_add_u32_e32 v131, s20, v200
	v_mov_b32_e32 v135, 0
	v_fmac_f32_e32 v127, v163, v122
	v_fmac_f32_e32 v97, v207, v127
	ds_read2_b32 v[126:127], v131 offset0:6 offset1:7
	ds_read2_b32 v[128:129], v131 offset0:4 offset1:5
	;; [unrolled: 1-line block ×3, first 2 shown]
	ds_read2_b32 v[124:125], v131 offset1:1
	ds_read_b32 v134, v130
	ds_read2_b32 v[138:139], v131 offset0:14 offset1:15
	ds_read2_b32 v[140:141], v131 offset0:12 offset1:13
	v_mov_b32_e32 v130, 0
	ds_read2_b32 v[148:149], v131 offset0:10 offset1:11
	ds_read2_b32 v[152:153], v131 offset0:8 offset1:9
	s_waitcnt lgkmcnt(7)
	v_dot4c_i32_i8_e32 v130, v128, v4
	v_mov_b32_e32 v131, 0
	v_dot4c_i32_i8_e32 v130, v129, v5
	s_waitcnt lgkmcnt(5)
	v_dot4c_i32_i8_e32 v131, v124, v0
	v_dot4c_i32_i8_e32 v130, v126, v6
	;; [unrolled: 1-line block ×4, first 2 shown]
	s_waitcnt lgkmcnt(4)
	v_bfe_i32 v218, v134, 8, 8
	v_dot4c_i32_i8_e32 v131, v122, v2
	v_dot4c_i32_i8_e32 v131, v123, v3
	v_mul_lo_u32 v130, v130, v218
	v_bfe_i32 v219, v134, 0, 8
	s_waitcnt lgkmcnt(2)
	v_dot4c_i32_i8_e32 v135, v140, v12
	v_mad_u64_u32 v[130:131], s[22:23], v131, v219, v[130:131]
	v_mov_b32_e32 v142, 0
	v_cvt_f32_i32_e32 v130, v130
	v_dot4c_i32_i8_e32 v135, v141, v13
	s_waitcnt lgkmcnt(0)
	v_dot4c_i32_i8_e32 v142, v152, v8
	v_dot4c_i32_i8_e32 v135, v138, v14
	;; [unrolled: 1-line block ×5, first 2 shown]
	v_ashrrev_i32_e32 v221, 24, v134
	v_dot4c_i32_i8_e32 v142, v149, v11
	v_fma_f32 v143, v162, v130, 0
	v_bfe_i32 v220, v134, 16, 8
	v_mul_lo_u32 v130, v135, v221
	v_mad_u64_u32 v[130:131], s[22:23], v142, v220, v[130:131]
	v_cvt_f32_i32_e32 v130, v130
	v_add_u32_e32 v146, s19, v201
	v_add_u32_e32 v156, s20, v202
	v_mov_b32_e32 v226, 0
	v_fmac_f32_e32 v143, v163, v130
	v_fmac_f32_e32 v93, v208, v143
	ds_read2_b32 v[142:143], v156 offset0:6 offset1:7
	ds_read2_b32 v[144:145], v156 offset0:4 offset1:5
	;; [unrolled: 1-line block ×3, first 2 shown]
	ds_read2_b32 v[134:135], v156 offset1:1
	ds_read_b32 v225, v146
	ds_read2_b32 v[146:147], v156 offset0:14 offset1:15
	ds_read2_b32 v[150:151], v156 offset0:12 offset1:13
	;; [unrolled: 1-line block ×4, first 2 shown]
	v_mov_b32_e32 v227, 0
	s_waitcnt lgkmcnt(4)
	v_bfe_i32 v222, v225, 8, 8
	v_bfe_i32 v223, v225, 0, 8
	s_waitcnt lgkmcnt(2)
	v_dot4c_i32_i8_e32 v226, v150, v12
	v_mov_b32_e32 v12, 0
	s_waitcnt lgkmcnt(0)
	v_dot4c_i32_i8_e32 v12, v156, v8
	v_mov_b32_e32 v8, 0
	v_dot4c_i32_i8_e32 v8, v144, v4
	v_dot4c_i32_i8_e32 v8, v145, v5
	v_mov_b32_e32 v5, 0
	v_dot4c_i32_i8_e32 v5, v134, v0
	v_dot4c_i32_i8_e32 v8, v142, v6
	;; [unrolled: 1-line block ×7, first 2 shown]
	v_mul_lo_u32 v4, v8, v222
	v_dot4c_i32_i8_e32 v226, v146, v14
	v_mad_u64_u32 v[0:1], s[20:21], v5, v223, v[4:5]
	v_cvt_f32_i32_e32 v0, v0
	v_dot4c_i32_i8_e32 v12, v157, v9
	v_dot4c_i32_i8_e32 v226, v147, v15
	;; [unrolled: 1-line block ×3, first 2 shown]
	v_bfe_i32 v224, v225, 16, 8
	v_ashrrev_i32_e32 v225, 24, v225
	v_dot4c_i32_i8_e32 v12, v155, v11
	v_fma_f32 v2, v162, v0, 0
	v_mul_lo_u32 v0, v226, v225
	v_mov_b32_e32 v226, 0
	v_mad_u64_u32 v[0:1], s[20:21], v12, v224, v[0:1]
	v_cvt_f32_i32_e32 v0, v0
	v_mov_b32_e32 v228, 0
	v_mov_b32_e32 v229, 0
	v_fmac_f32_e32 v2, v163, v0
	v_or_b32_e32 v0, s1, v170
	v_lshlrev_b32_e32 v12, 2, v0
	v_lshrrev_b32_e32 v162, 1, v0
	v_fmac_f32_e32 v85, v209, v2
	ds_read_b128 v[0:3], v12 offset:33280
	ds_read_b128 v[4:7], v12 offset:33296
	;; [unrolled: 1-line block ×4, first 2 shown]
	ds_read_b64 v[162:163], v162 offset:43584
	s_waitcnt lgkmcnt(4)
	v_dot4c_i32_i8_e32 v227, v100, v0
	s_waitcnt lgkmcnt(3)
	v_dot4c_i32_i8_e32 v226, v104, v4
	v_dot4c_i32_i8_e32 v226, v105, v5
	;; [unrolled: 1-line block ×7, first 2 shown]
	s_waitcnt lgkmcnt(1)
	v_dot4c_i32_i8_e32 v228, v160, v12
	v_mul_lo_u32 v226, v226, v210
	v_dot4c_i32_i8_e32 v228, v161, v13
	v_mad_u64_u32 v[226:227], s[20:21], v227, v211, v[226:227]
	v_cvt_f32_i32_e32 v226, v226
	v_dot4c_i32_i8_e32 v229, v116, v8
	v_dot4c_i32_i8_e32 v228, v158, v14
	;; [unrolled: 1-line block ×6, first 2 shown]
	s_waitcnt lgkmcnt(0)
	v_fma_f32 v230, v162, v226, 0
	v_mul_lo_u32 v226, v228, v213
	v_mov_b32_e32 v228, 0
	v_mad_u64_u32 v[226:227], s[20:21], v229, v212, v[226:227]
	v_cvt_f32_i32_e32 v226, v226
	v_mov_b32_e32 v227, 0
	v_dot4c_i32_i8_e32 v227, v108, v0
	v_dot4c_i32_i8_e32 v227, v109, v1
	v_fmac_f32_e32 v230, v163, v226
	v_mov_b32_e32 v226, 0
	v_dot4c_i32_i8_e32 v226, v112, v4
	v_dot4c_i32_i8_e32 v226, v113, v5
	;; [unrolled: 1-line block ×7, first 2 shown]
	v_mul_lo_u32 v226, v226, v214
	v_mov_b32_e32 v229, 0
	v_mad_u64_u32 v[226:227], s[20:21], v227, v215, v[226:227]
	v_cvt_f32_i32_e32 v226, v226
	v_dot4c_i32_i8_e32 v228, v121, v13
	v_dot4c_i32_i8_e32 v229, v136, v8
	;; [unrolled: 1-line block ×6, first 2 shown]
	v_fmac_f32_e32 v83, v206, v230
	v_dot4c_i32_i8_e32 v229, v133, v11
	v_fma_f32 v230, v162, v226, 0
	v_mul_lo_u32 v226, v228, v217
	v_mov_b32_e32 v228, 0
	v_mad_u64_u32 v[226:227], s[20:21], v229, v216, v[226:227]
	v_cvt_f32_i32_e32 v226, v226
	v_mov_b32_e32 v227, 0
	v_dot4c_i32_i8_e32 v227, v124, v0
	v_dot4c_i32_i8_e32 v227, v125, v1
	v_fmac_f32_e32 v230, v163, v226
	v_mov_b32_e32 v226, 0
	v_dot4c_i32_i8_e32 v226, v128, v4
	v_dot4c_i32_i8_e32 v226, v129, v5
	;; [unrolled: 1-line block ×7, first 2 shown]
	v_mul_lo_u32 v226, v226, v218
	v_mov_b32_e32 v229, 0
	v_mad_u64_u32 v[226:227], s[20:21], v227, v219, v[226:227]
	v_cvt_f32_i32_e32 v226, v226
	v_dot4c_i32_i8_e32 v228, v141, v13
	v_dot4c_i32_i8_e32 v229, v152, v8
	;; [unrolled: 1-line block ×6, first 2 shown]
	v_fmac_f32_e32 v81, v207, v230
	v_dot4c_i32_i8_e32 v229, v149, v11
	v_fma_f32 v230, v162, v226, 0
	v_mul_lo_u32 v226, v228, v221
	v_mov_b32_e32 v228, 0
	v_mad_u64_u32 v[226:227], s[20:21], v229, v220, v[226:227]
	v_cvt_f32_i32_e32 v226, v226
	v_mov_b32_e32 v227, 0
	v_mov_b32_e32 v229, 0
	v_fmac_f32_e32 v230, v163, v226
	v_mov_b32_e32 v226, 0
	v_dot4c_i32_i8_e32 v226, v150, v12
	v_mov_b32_e32 v12, 0
	v_dot4c_i32_i8_e32 v12, v156, v8
	;; [unrolled: 2-line block ×3, first 2 shown]
	v_dot4c_i32_i8_e32 v8, v145, v5
	v_mov_b32_e32 v5, 0
	v_dot4c_i32_i8_e32 v5, v134, v0
	v_dot4c_i32_i8_e32 v8, v142, v6
	;; [unrolled: 1-line block ×7, first 2 shown]
	v_mul_lo_u32 v4, v8, v222
	v_dot4c_i32_i8_e32 v226, v146, v14
	v_mad_u64_u32 v[0:1], s[20:21], v5, v223, v[4:5]
	v_cvt_f32_i32_e32 v0, v0
	v_dot4c_i32_i8_e32 v12, v157, v9
	v_dot4c_i32_i8_e32 v226, v147, v15
	;; [unrolled: 1-line block ×4, first 2 shown]
	v_fma_f32 v2, v162, v0, 0
	v_mul_lo_u32 v0, v226, v225
	v_mov_b32_e32 v226, 0
	v_mad_u64_u32 v[0:1], s[20:21], v12, v224, v[0:1]
	v_cvt_f32_i32_e32 v0, v0
	v_fmac_f32_e32 v77, v208, v230
	v_fmac_f32_e32 v2, v163, v0
	v_or_b32_e32 v0, s1, v173
	v_lshlrev_b32_e32 v12, 2, v0
	v_lshrrev_b32_e32 v162, 1, v0
	v_fmac_f32_e32 v73, v209, v2
	ds_read_b128 v[0:3], v12 offset:33280
	ds_read_b128 v[4:7], v12 offset:33296
	;; [unrolled: 1-line block ×4, first 2 shown]
	ds_read_b64 v[162:163], v162 offset:43584
	s_waitcnt lgkmcnt(4)
	v_dot4c_i32_i8_e32 v227, v100, v0
	s_waitcnt lgkmcnt(3)
	v_dot4c_i32_i8_e32 v226, v104, v4
	v_dot4c_i32_i8_e32 v226, v105, v5
	;; [unrolled: 1-line block ×7, first 2 shown]
	s_waitcnt lgkmcnt(1)
	v_dot4c_i32_i8_e32 v228, v160, v12
	v_mul_lo_u32 v226, v226, v210
	v_dot4c_i32_i8_e32 v228, v161, v13
	v_mad_u64_u32 v[226:227], s[20:21], v227, v211, v[226:227]
	v_cvt_f32_i32_e32 v226, v226
	v_dot4c_i32_i8_e32 v229, v116, v8
	v_dot4c_i32_i8_e32 v228, v158, v14
	;; [unrolled: 1-line block ×6, first 2 shown]
	s_waitcnt lgkmcnt(0)
	v_fma_f32 v230, v162, v226, 0
	v_mul_lo_u32 v226, v228, v213
	v_mov_b32_e32 v228, 0
	v_mad_u64_u32 v[226:227], s[20:21], v229, v212, v[226:227]
	v_cvt_f32_i32_e32 v226, v226
	v_mov_b32_e32 v227, 0
	v_dot4c_i32_i8_e32 v227, v108, v0
	v_dot4c_i32_i8_e32 v227, v109, v1
	v_fmac_f32_e32 v230, v163, v226
	v_mov_b32_e32 v226, 0
	v_dot4c_i32_i8_e32 v226, v112, v4
	v_dot4c_i32_i8_e32 v226, v113, v5
	;; [unrolled: 1-line block ×7, first 2 shown]
	v_mul_lo_u32 v226, v226, v214
	v_mov_b32_e32 v229, 0
	v_mad_u64_u32 v[226:227], s[20:21], v227, v215, v[226:227]
	v_cvt_f32_i32_e32 v226, v226
	v_dot4c_i32_i8_e32 v228, v121, v13
	v_dot4c_i32_i8_e32 v229, v136, v8
	;; [unrolled: 1-line block ×6, first 2 shown]
	v_fmac_f32_e32 v71, v206, v230
	v_dot4c_i32_i8_e32 v229, v133, v11
	v_fma_f32 v230, v162, v226, 0
	v_mul_lo_u32 v226, v228, v217
	v_mov_b32_e32 v228, 0
	v_mad_u64_u32 v[226:227], s[20:21], v229, v216, v[226:227]
	v_cvt_f32_i32_e32 v226, v226
	v_mov_b32_e32 v227, 0
	v_dot4c_i32_i8_e32 v227, v124, v0
	v_dot4c_i32_i8_e32 v227, v125, v1
	v_fmac_f32_e32 v230, v163, v226
	v_mov_b32_e32 v226, 0
	v_dot4c_i32_i8_e32 v226, v128, v4
	v_dot4c_i32_i8_e32 v226, v129, v5
	;; [unrolled: 1-line block ×7, first 2 shown]
	v_mul_lo_u32 v226, v226, v218
	v_mov_b32_e32 v229, 0
	v_mad_u64_u32 v[226:227], s[20:21], v227, v219, v[226:227]
	v_cvt_f32_i32_e32 v226, v226
	v_dot4c_i32_i8_e32 v228, v141, v13
	v_dot4c_i32_i8_e32 v229, v152, v8
	;; [unrolled: 1-line block ×6, first 2 shown]
	v_fmac_f32_e32 v69, v207, v230
	v_dot4c_i32_i8_e32 v229, v149, v11
	v_fma_f32 v230, v162, v226, 0
	v_mul_lo_u32 v226, v228, v221
	v_mov_b32_e32 v228, 0
	v_mad_u64_u32 v[226:227], s[20:21], v229, v220, v[226:227]
	v_cvt_f32_i32_e32 v226, v226
	v_mov_b32_e32 v227, 0
	v_mov_b32_e32 v229, 0
	v_fmac_f32_e32 v230, v163, v226
	v_mov_b32_e32 v226, 0
	v_dot4c_i32_i8_e32 v226, v150, v12
	v_mov_b32_e32 v12, 0
	v_dot4c_i32_i8_e32 v12, v156, v8
	;; [unrolled: 2-line block ×3, first 2 shown]
	v_dot4c_i32_i8_e32 v8, v145, v5
	v_mov_b32_e32 v5, 0
	v_dot4c_i32_i8_e32 v5, v134, v0
	v_dot4c_i32_i8_e32 v8, v142, v6
	v_dot4c_i32_i8_e32 v5, v135, v1
	v_dot4c_i32_i8_e32 v8, v143, v7
	v_dot4c_i32_i8_e32 v5, v130, v2
	v_dot4c_i32_i8_e32 v5, v131, v3
	v_dot4c_i32_i8_e32 v226, v151, v13
	v_mul_lo_u32 v4, v8, v222
	v_dot4c_i32_i8_e32 v226, v146, v14
	v_mad_u64_u32 v[0:1], s[20:21], v5, v223, v[4:5]
	v_cvt_f32_i32_e32 v0, v0
	v_dot4c_i32_i8_e32 v12, v157, v9
	v_dot4c_i32_i8_e32 v226, v147, v15
	;; [unrolled: 1-line block ×4, first 2 shown]
	v_fma_f32 v2, v162, v0, 0
	v_mul_lo_u32 v0, v226, v225
	v_mov_b32_e32 v226, 0
	v_mad_u64_u32 v[0:1], s[20:21], v12, v224, v[0:1]
	v_cvt_f32_i32_e32 v0, v0
	v_fmac_f32_e32 v67, v208, v230
	v_fmac_f32_e32 v2, v163, v0
	v_or_b32_e32 v0, s1, v176
	v_lshlrev_b32_e32 v12, 2, v0
	v_lshrrev_b32_e32 v162, 1, v0
	v_fmac_f32_e32 v65, v209, v2
	ds_read_b128 v[0:3], v12 offset:33280
	ds_read_b128 v[4:7], v12 offset:33296
	;; [unrolled: 1-line block ×4, first 2 shown]
	ds_read_b64 v[162:163], v162 offset:43584
	s_waitcnt lgkmcnt(4)
	v_dot4c_i32_i8_e32 v227, v100, v0
	s_waitcnt lgkmcnt(3)
	v_dot4c_i32_i8_e32 v226, v104, v4
	v_dot4c_i32_i8_e32 v226, v105, v5
	;; [unrolled: 1-line block ×7, first 2 shown]
	s_waitcnt lgkmcnt(1)
	v_dot4c_i32_i8_e32 v228, v160, v12
	v_mul_lo_u32 v226, v226, v210
	v_dot4c_i32_i8_e32 v228, v161, v13
	v_mad_u64_u32 v[226:227], s[20:21], v227, v211, v[226:227]
	v_cvt_f32_i32_e32 v226, v226
	v_dot4c_i32_i8_e32 v229, v116, v8
	v_dot4c_i32_i8_e32 v228, v158, v14
	v_dot4c_i32_i8_e32 v229, v117, v9
	v_dot4c_i32_i8_e32 v228, v159, v15
	v_dot4c_i32_i8_e32 v229, v114, v10
	v_dot4c_i32_i8_e32 v229, v115, v11
	s_waitcnt lgkmcnt(0)
	v_fma_f32 v230, v162, v226, 0
	v_mul_lo_u32 v226, v228, v213
	v_mov_b32_e32 v228, 0
	v_mad_u64_u32 v[226:227], s[20:21], v229, v212, v[226:227]
	v_cvt_f32_i32_e32 v226, v226
	v_mov_b32_e32 v227, 0
	v_dot4c_i32_i8_e32 v227, v108, v0
	v_dot4c_i32_i8_e32 v227, v109, v1
	v_fmac_f32_e32 v230, v163, v226
	v_mov_b32_e32 v226, 0
	v_dot4c_i32_i8_e32 v226, v112, v4
	v_dot4c_i32_i8_e32 v226, v113, v5
	v_dot4c_i32_i8_e32 v226, v110, v6
	v_dot4c_i32_i8_e32 v226, v111, v7
	v_dot4c_i32_i8_e32 v227, v106, v2
	v_dot4c_i32_i8_e32 v227, v107, v3
	v_dot4c_i32_i8_e32 v228, v120, v12
	v_mul_lo_u32 v226, v226, v214
	v_mov_b32_e32 v229, 0
	v_mad_u64_u32 v[226:227], s[20:21], v227, v215, v[226:227]
	v_cvt_f32_i32_e32 v226, v226
	v_dot4c_i32_i8_e32 v228, v121, v13
	v_dot4c_i32_i8_e32 v229, v136, v8
	;; [unrolled: 1-line block ×6, first 2 shown]
	v_fmac_f32_e32 v61, v206, v230
	v_dot4c_i32_i8_e32 v229, v133, v11
	v_fma_f32 v230, v162, v226, 0
	v_mul_lo_u32 v226, v228, v217
	v_mov_b32_e32 v228, 0
	v_mad_u64_u32 v[226:227], s[20:21], v229, v216, v[226:227]
	v_cvt_f32_i32_e32 v226, v226
	v_mov_b32_e32 v227, 0
	v_dot4c_i32_i8_e32 v227, v124, v0
	v_dot4c_i32_i8_e32 v227, v125, v1
	v_fmac_f32_e32 v230, v163, v226
	v_mov_b32_e32 v226, 0
	v_dot4c_i32_i8_e32 v226, v128, v4
	v_dot4c_i32_i8_e32 v226, v129, v5
	;; [unrolled: 1-line block ×7, first 2 shown]
	v_mul_lo_u32 v226, v226, v218
	v_mov_b32_e32 v229, 0
	v_mad_u64_u32 v[226:227], s[20:21], v227, v219, v[226:227]
	v_cvt_f32_i32_e32 v226, v226
	v_dot4c_i32_i8_e32 v228, v141, v13
	v_dot4c_i32_i8_e32 v229, v152, v8
	;; [unrolled: 1-line block ×6, first 2 shown]
	v_fmac_f32_e32 v57, v207, v230
	v_dot4c_i32_i8_e32 v229, v149, v11
	v_fma_f32 v230, v162, v226, 0
	v_mul_lo_u32 v226, v228, v221
	v_mov_b32_e32 v228, 0
	v_mad_u64_u32 v[226:227], s[20:21], v229, v220, v[226:227]
	v_cvt_f32_i32_e32 v226, v226
	v_mov_b32_e32 v227, 0
	v_mov_b32_e32 v229, 0
	v_fmac_f32_e32 v230, v163, v226
	v_mov_b32_e32 v226, 0
	v_dot4c_i32_i8_e32 v226, v150, v12
	v_mov_b32_e32 v12, 0
	v_dot4c_i32_i8_e32 v12, v156, v8
	;; [unrolled: 2-line block ×3, first 2 shown]
	v_dot4c_i32_i8_e32 v8, v145, v5
	v_mov_b32_e32 v5, 0
	v_dot4c_i32_i8_e32 v5, v134, v0
	v_dot4c_i32_i8_e32 v8, v142, v6
	;; [unrolled: 1-line block ×7, first 2 shown]
	v_mul_lo_u32 v4, v8, v222
	v_dot4c_i32_i8_e32 v226, v146, v14
	v_mad_u64_u32 v[0:1], s[20:21], v5, v223, v[4:5]
	v_cvt_f32_i32_e32 v0, v0
	v_dot4c_i32_i8_e32 v12, v157, v9
	v_dot4c_i32_i8_e32 v226, v147, v15
	;; [unrolled: 1-line block ×4, first 2 shown]
	v_fma_f32 v2, v162, v0, 0
	v_mul_lo_u32 v0, v226, v225
	v_mov_b32_e32 v226, 0
	v_mad_u64_u32 v[0:1], s[20:21], v12, v224, v[0:1]
	v_cvt_f32_i32_e32 v0, v0
	v_fmac_f32_e32 v55, v208, v230
	v_fmac_f32_e32 v2, v163, v0
	v_or_b32_e32 v0, s1, v179
	v_lshlrev_b32_e32 v12, 2, v0
	v_lshrrev_b32_e32 v162, 1, v0
	v_fmac_f32_e32 v53, v209, v2
	ds_read_b128 v[0:3], v12 offset:33280
	ds_read_b128 v[4:7], v12 offset:33296
	;; [unrolled: 1-line block ×4, first 2 shown]
	ds_read_b64 v[162:163], v162 offset:43584
	s_waitcnt lgkmcnt(4)
	v_dot4c_i32_i8_e32 v227, v100, v0
	s_waitcnt lgkmcnt(3)
	v_dot4c_i32_i8_e32 v226, v104, v4
	v_dot4c_i32_i8_e32 v226, v105, v5
	;; [unrolled: 1-line block ×7, first 2 shown]
	s_waitcnt lgkmcnt(1)
	v_dot4c_i32_i8_e32 v228, v160, v12
	v_mul_lo_u32 v226, v226, v210
	v_dot4c_i32_i8_e32 v228, v161, v13
	v_mad_u64_u32 v[226:227], s[20:21], v227, v211, v[226:227]
	v_cvt_f32_i32_e32 v226, v226
	v_dot4c_i32_i8_e32 v229, v116, v8
	v_dot4c_i32_i8_e32 v228, v158, v14
	;; [unrolled: 1-line block ×6, first 2 shown]
	s_waitcnt lgkmcnt(0)
	v_fma_f32 v230, v162, v226, 0
	v_mul_lo_u32 v226, v228, v213
	v_mov_b32_e32 v228, 0
	v_mad_u64_u32 v[226:227], s[20:21], v229, v212, v[226:227]
	v_cvt_f32_i32_e32 v226, v226
	v_mov_b32_e32 v227, 0
	v_dot4c_i32_i8_e32 v227, v108, v0
	v_dot4c_i32_i8_e32 v227, v109, v1
	v_fmac_f32_e32 v230, v163, v226
	v_mov_b32_e32 v226, 0
	v_dot4c_i32_i8_e32 v226, v112, v4
	v_dot4c_i32_i8_e32 v226, v113, v5
	;; [unrolled: 1-line block ×7, first 2 shown]
	v_mul_lo_u32 v226, v226, v214
	v_mov_b32_e32 v229, 0
	v_mad_u64_u32 v[226:227], s[20:21], v227, v215, v[226:227]
	v_cvt_f32_i32_e32 v226, v226
	v_dot4c_i32_i8_e32 v228, v121, v13
	v_dot4c_i32_i8_e32 v229, v136, v8
	;; [unrolled: 1-line block ×6, first 2 shown]
	v_fmac_f32_e32 v51, v206, v230
	v_dot4c_i32_i8_e32 v229, v133, v11
	v_fma_f32 v230, v162, v226, 0
	v_mul_lo_u32 v226, v228, v217
	v_mov_b32_e32 v228, 0
	v_mad_u64_u32 v[226:227], s[20:21], v229, v216, v[226:227]
	v_cvt_f32_i32_e32 v226, v226
	v_mov_b32_e32 v227, 0
	v_dot4c_i32_i8_e32 v227, v124, v0
	v_dot4c_i32_i8_e32 v227, v125, v1
	v_fmac_f32_e32 v230, v163, v226
	v_mov_b32_e32 v226, 0
	v_dot4c_i32_i8_e32 v226, v128, v4
	v_dot4c_i32_i8_e32 v226, v129, v5
	v_dot4c_i32_i8_e32 v226, v126, v6
	v_dot4c_i32_i8_e32 v226, v127, v7
	v_dot4c_i32_i8_e32 v227, v122, v2
	v_dot4c_i32_i8_e32 v227, v123, v3
	v_dot4c_i32_i8_e32 v228, v140, v12
	v_mul_lo_u32 v226, v226, v218
	v_mov_b32_e32 v229, 0
	v_mad_u64_u32 v[226:227], s[20:21], v227, v219, v[226:227]
	v_cvt_f32_i32_e32 v226, v226
	v_dot4c_i32_i8_e32 v228, v141, v13
	v_dot4c_i32_i8_e32 v229, v152, v8
	;; [unrolled: 1-line block ×6, first 2 shown]
	v_fmac_f32_e32 v49, v207, v230
	v_dot4c_i32_i8_e32 v229, v149, v11
	v_fma_f32 v230, v162, v226, 0
	v_mul_lo_u32 v226, v228, v221
	v_mov_b32_e32 v228, 0
	v_mad_u64_u32 v[226:227], s[20:21], v229, v220, v[226:227]
	v_cvt_f32_i32_e32 v226, v226
	v_mov_b32_e32 v227, 0
	v_mov_b32_e32 v229, 0
	v_fmac_f32_e32 v230, v163, v226
	v_mov_b32_e32 v226, 0
	v_dot4c_i32_i8_e32 v226, v150, v12
	v_mov_b32_e32 v12, 0
	v_dot4c_i32_i8_e32 v12, v156, v8
	;; [unrolled: 2-line block ×3, first 2 shown]
	v_dot4c_i32_i8_e32 v8, v145, v5
	v_mov_b32_e32 v5, 0
	v_dot4c_i32_i8_e32 v5, v134, v0
	v_dot4c_i32_i8_e32 v8, v142, v6
	;; [unrolled: 1-line block ×7, first 2 shown]
	v_mul_lo_u32 v4, v8, v222
	v_dot4c_i32_i8_e32 v226, v146, v14
	v_mad_u64_u32 v[0:1], s[20:21], v5, v223, v[4:5]
	v_cvt_f32_i32_e32 v0, v0
	v_dot4c_i32_i8_e32 v12, v157, v9
	v_dot4c_i32_i8_e32 v226, v147, v15
	;; [unrolled: 1-line block ×4, first 2 shown]
	v_fma_f32 v2, v162, v0, 0
	v_mul_lo_u32 v0, v226, v225
	v_mov_b32_e32 v226, 0
	v_mad_u64_u32 v[0:1], s[20:21], v12, v224, v[0:1]
	v_cvt_f32_i32_e32 v0, v0
	v_fmac_f32_e32 v47, v208, v230
	v_fmac_f32_e32 v2, v163, v0
	v_or_b32_e32 v0, s1, v182
	v_lshlrev_b32_e32 v12, 2, v0
	v_lshrrev_b32_e32 v162, 1, v0
	v_fmac_f32_e32 v45, v209, v2
	ds_read_b128 v[0:3], v12 offset:33280
	ds_read_b128 v[4:7], v12 offset:33296
	;; [unrolled: 1-line block ×4, first 2 shown]
	ds_read_b64 v[162:163], v162 offset:43584
	s_waitcnt lgkmcnt(4)
	v_dot4c_i32_i8_e32 v227, v100, v0
	s_waitcnt lgkmcnt(3)
	v_dot4c_i32_i8_e32 v226, v104, v4
	v_dot4c_i32_i8_e32 v226, v105, v5
	;; [unrolled: 1-line block ×7, first 2 shown]
	s_waitcnt lgkmcnt(1)
	v_dot4c_i32_i8_e32 v228, v160, v12
	v_mul_lo_u32 v226, v226, v210
	v_dot4c_i32_i8_e32 v228, v161, v13
	v_mad_u64_u32 v[226:227], s[20:21], v227, v211, v[226:227]
	v_cvt_f32_i32_e32 v226, v226
	v_dot4c_i32_i8_e32 v229, v116, v8
	v_dot4c_i32_i8_e32 v228, v158, v14
	;; [unrolled: 1-line block ×6, first 2 shown]
	s_waitcnt lgkmcnt(0)
	v_fma_f32 v230, v162, v226, 0
	v_mul_lo_u32 v226, v228, v213
	v_mov_b32_e32 v228, 0
	v_mad_u64_u32 v[226:227], s[20:21], v229, v212, v[226:227]
	v_cvt_f32_i32_e32 v226, v226
	v_mov_b32_e32 v227, 0
	v_dot4c_i32_i8_e32 v227, v108, v0
	v_dot4c_i32_i8_e32 v227, v109, v1
	v_fmac_f32_e32 v230, v163, v226
	v_mov_b32_e32 v226, 0
	v_dot4c_i32_i8_e32 v226, v112, v4
	v_dot4c_i32_i8_e32 v226, v113, v5
	;; [unrolled: 1-line block ×7, first 2 shown]
	v_mul_lo_u32 v226, v226, v214
	v_mov_b32_e32 v229, 0
	v_mad_u64_u32 v[226:227], s[20:21], v227, v215, v[226:227]
	v_cvt_f32_i32_e32 v226, v226
	v_dot4c_i32_i8_e32 v228, v121, v13
	v_dot4c_i32_i8_e32 v229, v136, v8
	;; [unrolled: 1-line block ×6, first 2 shown]
	v_fmac_f32_e32 v43, v206, v230
	v_dot4c_i32_i8_e32 v229, v133, v11
	v_fma_f32 v230, v162, v226, 0
	v_mul_lo_u32 v226, v228, v217
	v_mov_b32_e32 v228, 0
	v_mad_u64_u32 v[226:227], s[20:21], v229, v216, v[226:227]
	v_cvt_f32_i32_e32 v226, v226
	v_mov_b32_e32 v227, 0
	v_dot4c_i32_i8_e32 v227, v124, v0
	v_dot4c_i32_i8_e32 v227, v125, v1
	v_fmac_f32_e32 v230, v163, v226
	v_mov_b32_e32 v226, 0
	v_dot4c_i32_i8_e32 v226, v128, v4
	v_dot4c_i32_i8_e32 v226, v129, v5
	;; [unrolled: 1-line block ×7, first 2 shown]
	v_mul_lo_u32 v226, v226, v218
	v_mov_b32_e32 v229, 0
	v_mad_u64_u32 v[226:227], s[20:21], v227, v219, v[226:227]
	v_cvt_f32_i32_e32 v226, v226
	v_dot4c_i32_i8_e32 v228, v141, v13
	v_dot4c_i32_i8_e32 v229, v152, v8
	;; [unrolled: 1-line block ×6, first 2 shown]
	v_fmac_f32_e32 v41, v207, v230
	v_dot4c_i32_i8_e32 v229, v149, v11
	v_fma_f32 v230, v162, v226, 0
	v_mul_lo_u32 v226, v228, v221
	v_mov_b32_e32 v228, 0
	v_mad_u64_u32 v[226:227], s[20:21], v229, v220, v[226:227]
	v_cvt_f32_i32_e32 v226, v226
	v_mov_b32_e32 v227, 0
	v_mov_b32_e32 v229, 0
	v_fmac_f32_e32 v230, v163, v226
	v_mov_b32_e32 v226, 0
	v_dot4c_i32_i8_e32 v226, v150, v12
	v_mov_b32_e32 v12, 0
	v_dot4c_i32_i8_e32 v12, v156, v8
	;; [unrolled: 2-line block ×3, first 2 shown]
	v_dot4c_i32_i8_e32 v8, v145, v5
	v_mov_b32_e32 v5, 0
	v_dot4c_i32_i8_e32 v5, v134, v0
	v_dot4c_i32_i8_e32 v8, v142, v6
	v_dot4c_i32_i8_e32 v5, v135, v1
	v_dot4c_i32_i8_e32 v8, v143, v7
	v_dot4c_i32_i8_e32 v5, v130, v2
	v_dot4c_i32_i8_e32 v5, v131, v3
	v_dot4c_i32_i8_e32 v226, v151, v13
	v_mul_lo_u32 v4, v8, v222
	v_dot4c_i32_i8_e32 v226, v146, v14
	v_mad_u64_u32 v[0:1], s[20:21], v5, v223, v[4:5]
	v_cvt_f32_i32_e32 v0, v0
	v_dot4c_i32_i8_e32 v12, v157, v9
	v_dot4c_i32_i8_e32 v226, v147, v15
	;; [unrolled: 1-line block ×4, first 2 shown]
	v_fma_f32 v2, v162, v0, 0
	v_mul_lo_u32 v0, v226, v225
	v_mov_b32_e32 v226, 0
	v_mad_u64_u32 v[0:1], s[20:21], v12, v224, v[0:1]
	v_cvt_f32_i32_e32 v0, v0
	v_fmac_f32_e32 v39, v208, v230
	v_fmac_f32_e32 v2, v163, v0
	v_or_b32_e32 v0, s1, v185
	v_lshlrev_b32_e32 v12, 2, v0
	v_lshrrev_b32_e32 v162, 1, v0
	v_fmac_f32_e32 v37, v209, v2
	ds_read_b128 v[0:3], v12 offset:33280
	ds_read_b128 v[4:7], v12 offset:33296
	;; [unrolled: 1-line block ×4, first 2 shown]
	ds_read_b64 v[162:163], v162 offset:43584
	s_waitcnt lgkmcnt(4)
	v_dot4c_i32_i8_e32 v227, v100, v0
	s_waitcnt lgkmcnt(3)
	v_dot4c_i32_i8_e32 v226, v104, v4
	v_dot4c_i32_i8_e32 v226, v105, v5
	;; [unrolled: 1-line block ×7, first 2 shown]
	s_waitcnt lgkmcnt(1)
	v_dot4c_i32_i8_e32 v228, v160, v12
	v_mul_lo_u32 v226, v226, v210
	v_dot4c_i32_i8_e32 v228, v161, v13
	v_mad_u64_u32 v[226:227], s[20:21], v227, v211, v[226:227]
	v_cvt_f32_i32_e32 v226, v226
	v_dot4c_i32_i8_e32 v229, v116, v8
	v_dot4c_i32_i8_e32 v228, v158, v14
	;; [unrolled: 1-line block ×6, first 2 shown]
	s_waitcnt lgkmcnt(0)
	v_fma_f32 v230, v162, v226, 0
	v_mul_lo_u32 v226, v228, v213
	v_mov_b32_e32 v228, 0
	v_mad_u64_u32 v[226:227], s[20:21], v229, v212, v[226:227]
	v_cvt_f32_i32_e32 v226, v226
	v_mov_b32_e32 v227, 0
	v_dot4c_i32_i8_e32 v227, v108, v0
	v_dot4c_i32_i8_e32 v227, v109, v1
	v_fmac_f32_e32 v230, v163, v226
	v_mov_b32_e32 v226, 0
	v_dot4c_i32_i8_e32 v226, v112, v4
	v_dot4c_i32_i8_e32 v226, v113, v5
	;; [unrolled: 1-line block ×7, first 2 shown]
	v_mul_lo_u32 v226, v226, v214
	v_mov_b32_e32 v229, 0
	v_mad_u64_u32 v[226:227], s[20:21], v227, v215, v[226:227]
	v_cvt_f32_i32_e32 v226, v226
	v_dot4c_i32_i8_e32 v228, v121, v13
	v_dot4c_i32_i8_e32 v229, v136, v8
	v_dot4c_i32_i8_e32 v228, v118, v14
	v_dot4c_i32_i8_e32 v229, v137, v9
	v_dot4c_i32_i8_e32 v228, v119, v15
	v_dot4c_i32_i8_e32 v229, v132, v10
	v_fmac_f32_e32 v35, v206, v230
	v_dot4c_i32_i8_e32 v229, v133, v11
	v_fma_f32 v230, v162, v226, 0
	v_mul_lo_u32 v226, v228, v217
	v_mov_b32_e32 v228, 0
	v_mad_u64_u32 v[226:227], s[20:21], v229, v216, v[226:227]
	v_cvt_f32_i32_e32 v226, v226
	v_mov_b32_e32 v227, 0
	v_dot4c_i32_i8_e32 v227, v124, v0
	v_dot4c_i32_i8_e32 v227, v125, v1
	v_fmac_f32_e32 v230, v163, v226
	v_mov_b32_e32 v226, 0
	v_dot4c_i32_i8_e32 v226, v128, v4
	v_dot4c_i32_i8_e32 v226, v129, v5
	;; [unrolled: 1-line block ×7, first 2 shown]
	v_mul_lo_u32 v226, v226, v218
	v_mov_b32_e32 v229, 0
	v_mad_u64_u32 v[226:227], s[20:21], v227, v219, v[226:227]
	v_cvt_f32_i32_e32 v226, v226
	v_dot4c_i32_i8_e32 v228, v141, v13
	v_dot4c_i32_i8_e32 v229, v152, v8
	;; [unrolled: 1-line block ×6, first 2 shown]
	v_fmac_f32_e32 v33, v207, v230
	v_dot4c_i32_i8_e32 v229, v149, v11
	v_fma_f32 v230, v162, v226, 0
	v_mul_lo_u32 v226, v228, v221
	s_nop 0
	v_mad_u64_u32 v[226:227], s[20:21], v229, v220, v[226:227]
	v_cvt_f32_i32_e32 v226, v226
	v_fmac_f32_e32 v230, v163, v226
	v_mov_b32_e32 v226, 0
	v_dot4c_i32_i8_e32 v226, v150, v12
	v_mov_b32_e32 v12, 0
	v_dot4c_i32_i8_e32 v12, v156, v8
	;; [unrolled: 2-line block ×3, first 2 shown]
	v_dot4c_i32_i8_e32 v8, v145, v5
	v_mov_b32_e32 v5, 0
	v_dot4c_i32_i8_e32 v5, v134, v0
	v_dot4c_i32_i8_e32 v8, v142, v6
	;; [unrolled: 1-line block ×7, first 2 shown]
	v_mul_lo_u32 v4, v8, v222
	v_dot4c_i32_i8_e32 v226, v146, v14
	v_mad_u64_u32 v[0:1], s[20:21], v5, v223, v[4:5]
	v_cvt_f32_i32_e32 v0, v0
	v_dot4c_i32_i8_e32 v12, v157, v9
	v_dot4c_i32_i8_e32 v226, v147, v15
	;; [unrolled: 1-line block ×4, first 2 shown]
	v_fma_f32 v2, v162, v0, 0
	v_mul_lo_u32 v0, v226, v225
	v_mov_b32_e32 v226, 0
	v_mad_u64_u32 v[0:1], s[20:21], v12, v224, v[0:1]
	v_cvt_f32_i32_e32 v0, v0
	v_fmac_f32_e32 v31, v208, v230
	v_fmac_f32_e32 v2, v163, v0
	v_or_b32_e32 v0, s1, v188
	v_lshlrev_b32_e32 v12, 2, v0
	v_lshrrev_b32_e32 v162, 1, v0
	v_fmac_f32_e32 v29, v209, v2
	ds_read_b128 v[0:3], v12 offset:33280
	ds_read_b128 v[4:7], v12 offset:33296
	;; [unrolled: 1-line block ×4, first 2 shown]
	ds_read_b64 v[162:163], v162 offset:43584
	s_add_i32 s1, s0, 8
	s_cmp_lt_u32 s0, 24
	s_mov_b32 s0, s1
	s_waitcnt lgkmcnt(1)
	v_dot4c_i32_i8_e32 v226, v160, v12
	v_dot4c_i32_i8_e32 v226, v161, v13
	;; [unrolled: 1-line block ×3, first 2 shown]
	v_mov_b32_e32 v158, 0
	v_dot4c_i32_i8_e32 v158, v116, v8
	v_dot4c_i32_i8_e32 v158, v117, v9
	;; [unrolled: 1-line block ×3, first 2 shown]
	v_mov_b32_e32 v114, 0
	v_dot4c_i32_i8_e32 v114, v104, v4
	v_dot4c_i32_i8_e32 v114, v105, v5
	;; [unrolled: 1-line block ×4, first 2 shown]
	v_mov_b32_e32 v103, 0
	v_dot4c_i32_i8_e32 v103, v100, v0
	v_dot4c_i32_i8_e32 v103, v101, v1
	;; [unrolled: 1-line block ×3, first 2 shown]
	v_mul_lo_u32 v102, v114, v210
	v_dot4c_i32_i8_e32 v103, v99, v3
	v_dot4c_i32_i8_e32 v226, v159, v15
	v_dot4c_i32_i8_e32 v158, v115, v11
	v_mov_b32_e32 v101, 0
	v_mad_u64_u32 v[98:99], s[20:21], v103, v211, v[102:103]
	v_cvt_f32_i32_e32 v98, v98
	v_dot4c_i32_i8_e32 v101, v136, v8
	v_dot4c_i32_i8_e32 v101, v137, v9
	v_dot4c_i32_i8_e32 v101, v132, v10
	s_waitcnt lgkmcnt(0)
	v_fma_f32 v100, v162, v98, 0
	v_mul_lo_u32 v98, v226, v213
	v_mad_u64_u32 v[98:99], s[20:21], v158, v212, v[98:99]
	v_cvt_f32_i32_e32 v98, v98
	v_mov_b32_e32 v99, 0
	v_dot4c_i32_i8_e32 v99, v108, v0
	v_dot4c_i32_i8_e32 v99, v109, v1
	v_fmac_f32_e32 v100, v163, v98
	v_mov_b32_e32 v98, 0
	v_dot4c_i32_i8_e32 v98, v112, v4
	v_dot4c_i32_i8_e32 v98, v113, v5
	v_dot4c_i32_i8_e32 v98, v110, v6
	v_dot4c_i32_i8_e32 v98, v111, v7
	v_dot4c_i32_i8_e32 v99, v106, v2
	v_dot4c_i32_i8_e32 v99, v107, v3
	v_fmac_f32_e32 v27, v206, v100
	v_mul_lo_u32 v98, v98, v214
	v_mov_b32_e32 v100, 0
	v_mad_u64_u32 v[98:99], s[20:21], v99, v215, v[98:99]
	v_dot4c_i32_i8_e32 v100, v120, v12
	v_cvt_f32_i32_e32 v98, v98
	v_dot4c_i32_i8_e32 v100, v121, v13
	v_dot4c_i32_i8_e32 v100, v118, v14
	;; [unrolled: 1-line block ×4, first 2 shown]
	v_fma_f32 v102, v162, v98, 0
	s_nop 0
	v_mul_lo_u32 v98, v100, v217
	v_mad_u64_u32 v[98:99], s[20:21], v101, v216, v[98:99]
	v_cvt_f32_i32_e32 v98, v98
	v_mov_b32_e32 v99, 0
	v_dot4c_i32_i8_e32 v99, v124, v0
	v_dot4c_i32_i8_e32 v99, v125, v1
	v_fmac_f32_e32 v102, v163, v98
	v_mov_b32_e32 v98, 0
	v_dot4c_i32_i8_e32 v98, v128, v4
	v_dot4c_i32_i8_e32 v98, v129, v5
	;; [unrolled: 1-line block ×6, first 2 shown]
	v_mov_b32_e32 v100, 0
	v_mul_lo_u32 v98, v98, v218
	v_dot4c_i32_i8_e32 v100, v140, v12
	v_mad_u64_u32 v[98:99], s[20:21], v99, v219, v[98:99]
	v_mov_b32_e32 v101, 0
	v_cvt_f32_i32_e32 v98, v98
	v_dot4c_i32_i8_e32 v100, v141, v13
	v_dot4c_i32_i8_e32 v101, v152, v8
	;; [unrolled: 1-line block ×6, first 2 shown]
	v_fmac_f32_e32 v25, v207, v102
	v_dot4c_i32_i8_e32 v101, v149, v11
	v_fma_f32 v102, v162, v98, 0
	v_mul_lo_u32 v98, v100, v221
	s_nop 0
	v_mad_u64_u32 v[98:99], s[20:21], v101, v220, v[98:99]
	v_cvt_f32_i32_e32 v98, v98
	v_fmac_f32_e32 v102, v163, v98
	v_mov_b32_e32 v98, 0
	v_dot4c_i32_i8_e32 v98, v150, v12
	v_mov_b32_e32 v12, 0
	v_dot4c_i32_i8_e32 v12, v156, v8
	;; [unrolled: 2-line block ×3, first 2 shown]
	v_dot4c_i32_i8_e32 v8, v145, v5
	v_mov_b32_e32 v5, 0
	v_dot4c_i32_i8_e32 v5, v134, v0
	v_dot4c_i32_i8_e32 v8, v142, v6
	;; [unrolled: 1-line block ×7, first 2 shown]
	v_mul_lo_u32 v4, v8, v222
	v_dot4c_i32_i8_e32 v98, v146, v14
	v_mad_u64_u32 v[0:1], s[20:21], v5, v223, v[4:5]
	v_cvt_f32_i32_e32 v0, v0
	v_dot4c_i32_i8_e32 v12, v157, v9
	v_dot4c_i32_i8_e32 v98, v147, v15
	;; [unrolled: 1-line block ×4, first 2 shown]
	v_fma_f32 v2, v162, v0, 0
	v_mul_lo_u32 v0, v98, v225
	v_fmac_f32_e32 v23, v208, v102
	v_mad_u64_u32 v[0:1], s[20:21], v12, v224, v[0:1]
	v_cvt_f32_i32_e32 v0, v0
	v_fmac_f32_e32 v2, v163, v0
	v_fmac_f32_e32 v17, v209, v2
	s_cbranch_scc1 .LBB176_8
; %bb.9:                                ;   in Loop: Header=BB176_5 Depth=1
	s_add_i32 s9, s9, 1
	s_cmp_eq_u32 s9, s4
	s_barrier
	s_cbranch_scc0 .LBB176_5
; %bb.10:
	v_mov_b32_e32 v1, v63
.LBB176_11:
	v_cmp_gt_u32_e32 vcc, s10, v75
	s_and_saveexec_b64 s[0:1], vcc
	s_cbranch_execz .LBB176_62
; %bb.12:
	v_add_u32_e32 v0, s6, v59
	v_mul_lo_u32 v5, v75, s14
	v_cmp_gt_u32_e32 vcc, s14, v0
	s_and_saveexec_b64 s[2:3], vcc
	s_cbranch_execz .LBB176_14
; %bb.13:
	v_bfe_u32 v2, v167, 16, 1
	s_movk_i32 s0, 0x7fff
	v_add3_u32 v2, v167, v2, s0
	v_lshrrev_b32_e32 v2, 16, v2
	v_mov_b32_e32 v3, 0x7fc0
	v_cmp_o_f32_e64 s[0:1], v167, v167
	s_nop 1
	v_cndmask_b32_e64 v4, v3, v2, s[0:1]
	v_add_u32_e32 v2, v0, v5
	v_mov_b32_e32 v3, 0
	s_waitcnt lgkmcnt(0)
	v_lshl_add_u64 v[2:3], v[2:3], 1, s[12:13]
	global_store_short v[2:3], v4, off
.LBB176_14:
	s_or_b64 exec, exec, s[2:3]
	v_add_u32_e32 v2, 32, v0
	v_cmp_gt_u32_e64 s[0:1], s14, v2
	s_and_saveexec_b64 s[4:5], s[0:1]
	s_cbranch_execz .LBB176_16
; %bb.15:
	v_bfe_u32 v3, v97, 16, 1
	s_movk_i32 s2, 0x7fff
	v_add3_u32 v3, v97, v3, s2
	v_lshrrev_b32_e32 v3, 16, v3
	v_mov_b32_e32 v4, 0x7fc0
	v_cmp_o_f32_e64 s[2:3], v97, v97
	v_add_u32_e32 v6, v2, v5
	v_mov_b32_e32 v7, 0
	v_cndmask_b32_e64 v3, v4, v3, s[2:3]
	s_waitcnt lgkmcnt(0)
	v_lshl_add_u64 v[6:7], v[6:7], 1, s[12:13]
	global_store_short v[6:7], v3, off
.LBB176_16:
	s_or_b64 exec, exec, s[4:5]
	v_add_u32_e32 v3, 64, v0
	v_cmp_gt_u32_e64 s[2:3], s14, v3
	s_and_saveexec_b64 s[6:7], s[2:3]
	s_cbranch_execz .LBB176_18
; %bb.17:
	v_bfe_u32 v4, v93, 16, 1
	s_movk_i32 s4, 0x7fff
	v_add3_u32 v4, v93, v4, s4
	v_lshrrev_b32_e32 v4, 16, v4
	v_mov_b32_e32 v6, 0x7fc0
	v_cmp_o_f32_e64 s[4:5], v93, v93
	v_mov_b32_e32 v7, 0
	s_nop 0
	v_cndmask_b32_e64 v4, v6, v4, s[4:5]
	v_add_u32_e32 v6, v3, v5
	s_waitcnt lgkmcnt(0)
	v_lshl_add_u64 v[6:7], v[6:7], 1, s[12:13]
	global_store_short v[6:7], v4, off
.LBB176_18:
	s_or_b64 exec, exec, s[6:7]
	v_add_u32_e32 v4, 0x60, v0
	v_cmp_gt_u32_e64 s[4:5], s14, v4
	s_and_saveexec_b64 s[8:9], s[4:5]
	s_cbranch_execz .LBB176_20
; %bb.19:
	v_bfe_u32 v6, v85, 16, 1
	s_movk_i32 s6, 0x7fff
	v_add3_u32 v6, v85, v6, s6
	v_lshrrev_b32_e32 v6, 16, v6
	v_mov_b32_e32 v7, 0x7fc0
	v_cmp_o_f32_e64 s[6:7], v85, v85
	s_nop 1
	v_cndmask_b32_e64 v8, v7, v6, s[6:7]
	v_add_u32_e32 v6, v4, v5
	v_mov_b32_e32 v7, 0
	s_waitcnt lgkmcnt(0)
	v_lshl_add_u64 v[6:7], v[6:7], 1, s[12:13]
	global_store_short v[6:7], v8, off
.LBB176_20:
	s_or_b64 exec, exec, s[8:9]
	v_add3_u32 v5, v1, s15, 8
	v_cmp_gt_u32_e64 s[6:7], s10, v5
	s_and_b64 exec, exec, s[6:7]
	s_cbranch_execz .LBB176_62
; %bb.21:
	v_mul_lo_u32 v5, v5, s14
	s_and_saveexec_b64 s[8:9], vcc
	s_cbranch_execnz .LBB176_63
; %bb.22:
	s_or_b64 exec, exec, s[8:9]
	s_and_saveexec_b64 s[8:9], s[0:1]
	s_cbranch_execnz .LBB176_64
.LBB176_23:
	s_or_b64 exec, exec, s[8:9]
	s_and_saveexec_b64 s[8:9], s[2:3]
	s_cbranch_execnz .LBB176_65
.LBB176_24:
	s_or_b64 exec, exec, s[8:9]
	s_and_saveexec_b64 s[8:9], s[4:5]
	s_cbranch_execz .LBB176_26
.LBB176_25:
	v_bfe_u32 v6, v73, 16, 1
	s_movk_i32 s6, 0x7fff
	v_add3_u32 v6, v73, v6, s6
	v_lshrrev_b32_e32 v6, 16, v6
	v_mov_b32_e32 v7, 0x7fc0
	v_cmp_o_f32_e64 s[6:7], v73, v73
	s_nop 1
	v_cndmask_b32_e64 v8, v7, v6, s[6:7]
	v_add_u32_e32 v6, v5, v4
	v_mov_b32_e32 v7, 0
	s_waitcnt lgkmcnt(0)
	v_lshl_add_u64 v[6:7], v[6:7], 1, s[12:13]
	global_store_short v[6:7], v8, off
.LBB176_26:
	s_or_b64 exec, exec, s[8:9]
	v_add3_u32 v5, v1, s15, 16
	v_cmp_gt_u32_e64 s[6:7], s10, v5
	s_and_b64 exec, exec, s[6:7]
	s_cbranch_execz .LBB176_62
; %bb.27:
	v_mul_lo_u32 v5, v5, s14
	s_and_saveexec_b64 s[8:9], vcc
	s_cbranch_execnz .LBB176_66
; %bb.28:
	s_or_b64 exec, exec, s[8:9]
	s_and_saveexec_b64 s[8:9], s[0:1]
	s_cbranch_execnz .LBB176_67
.LBB176_29:
	s_or_b64 exec, exec, s[8:9]
	s_and_saveexec_b64 s[8:9], s[2:3]
	s_cbranch_execnz .LBB176_68
.LBB176_30:
	s_or_b64 exec, exec, s[8:9]
	s_and_saveexec_b64 s[8:9], s[4:5]
	s_cbranch_execz .LBB176_32
.LBB176_31:
	v_bfe_u32 v6, v65, 16, 1
	s_movk_i32 s6, 0x7fff
	v_add3_u32 v6, v65, v6, s6
	v_lshrrev_b32_e32 v6, 16, v6
	v_mov_b32_e32 v7, 0x7fc0
	v_cmp_o_f32_e64 s[6:7], v65, v65
	s_nop 1
	v_cndmask_b32_e64 v8, v7, v6, s[6:7]
	v_add_u32_e32 v6, v5, v4
	v_mov_b32_e32 v7, 0
	s_waitcnt lgkmcnt(0)
	v_lshl_add_u64 v[6:7], v[6:7], 1, s[12:13]
	global_store_short v[6:7], v8, off
.LBB176_32:
	s_or_b64 exec, exec, s[8:9]
	v_add3_u32 v5, v1, s15, 24
	v_cmp_gt_u32_e64 s[6:7], s10, v5
	s_and_b64 exec, exec, s[6:7]
	s_cbranch_execz .LBB176_62
; %bb.33:
	v_mul_lo_u32 v5, v5, s14
	s_and_saveexec_b64 s[8:9], vcc
	s_cbranch_execnz .LBB176_69
; %bb.34:
	s_or_b64 exec, exec, s[8:9]
	s_and_saveexec_b64 s[8:9], s[0:1]
	s_cbranch_execnz .LBB176_70
.LBB176_35:
	s_or_b64 exec, exec, s[8:9]
	s_and_saveexec_b64 s[8:9], s[2:3]
	s_cbranch_execnz .LBB176_71
.LBB176_36:
	s_or_b64 exec, exec, s[8:9]
	s_and_saveexec_b64 s[8:9], s[4:5]
	s_cbranch_execz .LBB176_38
.LBB176_37:
	v_bfe_u32 v6, v53, 16, 1
	s_movk_i32 s6, 0x7fff
	v_add3_u32 v6, v53, v6, s6
	v_lshrrev_b32_e32 v6, 16, v6
	v_mov_b32_e32 v7, 0x7fc0
	v_cmp_o_f32_e64 s[6:7], v53, v53
	s_nop 1
	v_cndmask_b32_e64 v8, v7, v6, s[6:7]
	v_add_u32_e32 v6, v5, v4
	v_mov_b32_e32 v7, 0
	s_waitcnt lgkmcnt(0)
	v_lshl_add_u64 v[6:7], v[6:7], 1, s[12:13]
	global_store_short v[6:7], v8, off
.LBB176_38:
	s_or_b64 exec, exec, s[8:9]
	v_add3_u32 v5, v1, s15, 32
	v_cmp_gt_u32_e64 s[6:7], s10, v5
	s_and_b64 exec, exec, s[6:7]
	s_cbranch_execz .LBB176_62
; %bb.39:
	v_mul_lo_u32 v5, v5, s14
	s_and_saveexec_b64 s[8:9], vcc
	s_cbranch_execnz .LBB176_72
; %bb.40:
	s_or_b64 exec, exec, s[8:9]
	s_and_saveexec_b64 s[8:9], s[0:1]
	s_cbranch_execnz .LBB176_73
.LBB176_41:
	s_or_b64 exec, exec, s[8:9]
	s_and_saveexec_b64 s[8:9], s[2:3]
	s_cbranch_execnz .LBB176_74
.LBB176_42:
	s_or_b64 exec, exec, s[8:9]
	s_and_saveexec_b64 s[8:9], s[4:5]
	s_cbranch_execz .LBB176_44
.LBB176_43:
	v_bfe_u32 v6, v45, 16, 1
	s_movk_i32 s6, 0x7fff
	v_add3_u32 v6, v45, v6, s6
	v_lshrrev_b32_e32 v6, 16, v6
	v_mov_b32_e32 v7, 0x7fc0
	v_cmp_o_f32_e64 s[6:7], v45, v45
	s_nop 1
	v_cndmask_b32_e64 v8, v7, v6, s[6:7]
	v_add_u32_e32 v6, v5, v4
	v_mov_b32_e32 v7, 0
	s_waitcnt lgkmcnt(0)
	v_lshl_add_u64 v[6:7], v[6:7], 1, s[12:13]
	global_store_short v[6:7], v8, off
.LBB176_44:
	s_or_b64 exec, exec, s[8:9]
	v_add3_u32 v5, v1, s15, 40
	v_cmp_gt_u32_e64 s[6:7], s10, v5
	s_and_b64 exec, exec, s[6:7]
	s_cbranch_execz .LBB176_62
; %bb.45:
	v_mul_lo_u32 v5, v5, s14
	s_and_saveexec_b64 s[8:9], vcc
	s_cbranch_execnz .LBB176_75
; %bb.46:
	s_or_b64 exec, exec, s[8:9]
	s_and_saveexec_b64 s[8:9], s[0:1]
	s_cbranch_execnz .LBB176_76
.LBB176_47:
	s_or_b64 exec, exec, s[8:9]
	s_and_saveexec_b64 s[8:9], s[2:3]
	s_cbranch_execnz .LBB176_77
.LBB176_48:
	s_or_b64 exec, exec, s[8:9]
	s_and_saveexec_b64 s[8:9], s[4:5]
	s_cbranch_execz .LBB176_50
.LBB176_49:
	v_bfe_u32 v6, v37, 16, 1
	s_movk_i32 s6, 0x7fff
	v_add3_u32 v6, v37, v6, s6
	v_lshrrev_b32_e32 v6, 16, v6
	v_mov_b32_e32 v7, 0x7fc0
	v_cmp_o_f32_e64 s[6:7], v37, v37
	s_nop 1
	v_cndmask_b32_e64 v8, v7, v6, s[6:7]
	v_add_u32_e32 v6, v5, v4
	v_mov_b32_e32 v7, 0
	s_waitcnt lgkmcnt(0)
	v_lshl_add_u64 v[6:7], v[6:7], 1, s[12:13]
	global_store_short v[6:7], v8, off
.LBB176_50:
	s_or_b64 exec, exec, s[8:9]
	v_add3_u32 v5, v1, s15, 48
	v_cmp_gt_u32_e64 s[6:7], s10, v5
	s_and_b64 exec, exec, s[6:7]
	s_cbranch_execz .LBB176_62
; %bb.51:
	v_mul_lo_u32 v5, v5, s14
	s_and_saveexec_b64 s[8:9], vcc
	s_cbranch_execnz .LBB176_78
; %bb.52:
	s_or_b64 exec, exec, s[8:9]
	s_and_saveexec_b64 s[8:9], s[0:1]
	s_cbranch_execnz .LBB176_79
.LBB176_53:
	s_or_b64 exec, exec, s[8:9]
	s_and_saveexec_b64 s[8:9], s[2:3]
	s_cbranch_execnz .LBB176_80
.LBB176_54:
	s_or_b64 exec, exec, s[8:9]
	s_and_saveexec_b64 s[8:9], s[4:5]
	s_cbranch_execz .LBB176_56
.LBB176_55:
	v_bfe_u32 v6, v29, 16, 1
	s_movk_i32 s6, 0x7fff
	v_add3_u32 v6, v29, v6, s6
	v_lshrrev_b32_e32 v6, 16, v6
	v_mov_b32_e32 v7, 0x7fc0
	v_cmp_o_f32_e64 s[6:7], v29, v29
	s_nop 1
	v_cndmask_b32_e64 v8, v7, v6, s[6:7]
	v_add_u32_e32 v6, v5, v4
	v_mov_b32_e32 v7, 0
	s_waitcnt lgkmcnt(0)
	v_lshl_add_u64 v[6:7], v[6:7], 1, s[12:13]
	global_store_short v[6:7], v8, off
.LBB176_56:
	s_or_b64 exec, exec, s[8:9]
	v_add3_u32 v1, v1, s15, 56
	v_cmp_gt_u32_e64 s[6:7], s10, v1
	s_and_b64 exec, exec, s[6:7]
	s_cbranch_execz .LBB176_62
; %bb.57:
	v_mul_lo_u32 v1, v1, s14
	s_and_saveexec_b64 s[6:7], vcc
	s_cbranch_execnz .LBB176_81
; %bb.58:
	s_or_b64 exec, exec, s[6:7]
	s_and_saveexec_b64 s[6:7], s[0:1]
	s_cbranch_execnz .LBB176_82
.LBB176_59:
	s_or_b64 exec, exec, s[6:7]
	s_and_saveexec_b64 s[0:1], s[2:3]
	s_cbranch_execnz .LBB176_83
.LBB176_60:
	s_or_b64 exec, exec, s[0:1]
	s_and_b64 exec, exec, s[4:5]
	s_cbranch_execz .LBB176_62
.LBB176_61:
	v_bfe_u32 v0, v17, 16, 1
	s_movk_i32 s0, 0x7fff
	v_add3_u32 v0, v17, v0, s0
	v_lshrrev_b32_e32 v0, 16, v0
	v_mov_b32_e32 v2, 0x7fc0
	v_cmp_o_f32_e32 vcc, v17, v17
	s_nop 1
	v_cndmask_b32_e32 v2, v2, v0, vcc
	v_add_u32_e32 v0, v1, v4
	v_mov_b32_e32 v1, 0
	s_waitcnt lgkmcnt(0)
	v_lshl_add_u64 v[0:1], v[0:1], 1, s[12:13]
	global_store_short v[0:1], v2, off
.LBB176_62:
	s_endpgm
.LBB176_63:
	v_bfe_u32 v6, v83, 16, 1
	s_movk_i32 s6, 0x7fff
	v_add3_u32 v6, v83, v6, s6
	v_lshrrev_b32_e32 v6, 16, v6
	v_mov_b32_e32 v7, 0x7fc0
	v_cmp_o_f32_e64 s[6:7], v83, v83
	s_nop 1
	v_cndmask_b32_e64 v8, v7, v6, s[6:7]
	v_add_u32_e32 v6, v5, v0
	v_mov_b32_e32 v7, 0
	s_waitcnt lgkmcnt(0)
	v_lshl_add_u64 v[6:7], v[6:7], 1, s[12:13]
	global_store_short v[6:7], v8, off
	s_or_b64 exec, exec, s[8:9]
	s_and_saveexec_b64 s[8:9], s[0:1]
	s_cbranch_execz .LBB176_23
.LBB176_64:
	v_bfe_u32 v6, v81, 16, 1
	s_movk_i32 s6, 0x7fff
	v_add3_u32 v6, v81, v6, s6
	v_lshrrev_b32_e32 v6, 16, v6
	v_mov_b32_e32 v7, 0x7fc0
	v_cmp_o_f32_e64 s[6:7], v81, v81
	s_nop 1
	v_cndmask_b32_e64 v8, v7, v6, s[6:7]
	v_add_u32_e32 v6, v5, v2
	v_mov_b32_e32 v7, 0
	s_waitcnt lgkmcnt(0)
	v_lshl_add_u64 v[6:7], v[6:7], 1, s[12:13]
	global_store_short v[6:7], v8, off
	s_or_b64 exec, exec, s[8:9]
	s_and_saveexec_b64 s[8:9], s[2:3]
	s_cbranch_execz .LBB176_24
.LBB176_65:
	v_bfe_u32 v6, v77, 16, 1
	s_movk_i32 s6, 0x7fff
	v_add3_u32 v6, v77, v6, s6
	v_lshrrev_b32_e32 v6, 16, v6
	v_mov_b32_e32 v7, 0x7fc0
	v_cmp_o_f32_e64 s[6:7], v77, v77
	s_nop 1
	v_cndmask_b32_e64 v8, v7, v6, s[6:7]
	v_add_u32_e32 v6, v5, v3
	v_mov_b32_e32 v7, 0
	s_waitcnt lgkmcnt(0)
	v_lshl_add_u64 v[6:7], v[6:7], 1, s[12:13]
	global_store_short v[6:7], v8, off
	s_or_b64 exec, exec, s[8:9]
	s_and_saveexec_b64 s[8:9], s[4:5]
	s_cbranch_execnz .LBB176_25
	s_branch .LBB176_26
.LBB176_66:
	v_bfe_u32 v6, v71, 16, 1
	s_movk_i32 s6, 0x7fff
	v_add3_u32 v6, v71, v6, s6
	v_lshrrev_b32_e32 v6, 16, v6
	v_mov_b32_e32 v7, 0x7fc0
	v_cmp_o_f32_e64 s[6:7], v71, v71
	s_nop 1
	v_cndmask_b32_e64 v8, v7, v6, s[6:7]
	v_add_u32_e32 v6, v5, v0
	v_mov_b32_e32 v7, 0
	s_waitcnt lgkmcnt(0)
	v_lshl_add_u64 v[6:7], v[6:7], 1, s[12:13]
	global_store_short v[6:7], v8, off
	s_or_b64 exec, exec, s[8:9]
	s_and_saveexec_b64 s[8:9], s[0:1]
	s_cbranch_execz .LBB176_29
.LBB176_67:
	v_bfe_u32 v6, v69, 16, 1
	s_movk_i32 s6, 0x7fff
	v_add3_u32 v6, v69, v6, s6
	v_lshrrev_b32_e32 v6, 16, v6
	v_mov_b32_e32 v7, 0x7fc0
	v_cmp_o_f32_e64 s[6:7], v69, v69
	s_nop 1
	v_cndmask_b32_e64 v8, v7, v6, s[6:7]
	v_add_u32_e32 v6, v5, v2
	v_mov_b32_e32 v7, 0
	s_waitcnt lgkmcnt(0)
	v_lshl_add_u64 v[6:7], v[6:7], 1, s[12:13]
	global_store_short v[6:7], v8, off
	s_or_b64 exec, exec, s[8:9]
	s_and_saveexec_b64 s[8:9], s[2:3]
	s_cbranch_execz .LBB176_30
.LBB176_68:
	v_bfe_u32 v6, v67, 16, 1
	s_movk_i32 s6, 0x7fff
	v_add3_u32 v6, v67, v6, s6
	v_lshrrev_b32_e32 v6, 16, v6
	v_mov_b32_e32 v7, 0x7fc0
	v_cmp_o_f32_e64 s[6:7], v67, v67
	s_nop 1
	v_cndmask_b32_e64 v8, v7, v6, s[6:7]
	v_add_u32_e32 v6, v5, v3
	v_mov_b32_e32 v7, 0
	s_waitcnt lgkmcnt(0)
	v_lshl_add_u64 v[6:7], v[6:7], 1, s[12:13]
	global_store_short v[6:7], v8, off
	s_or_b64 exec, exec, s[8:9]
	s_and_saveexec_b64 s[8:9], s[4:5]
	s_cbranch_execnz .LBB176_31
	s_branch .LBB176_32
.LBB176_69:
	v_bfe_u32 v6, v61, 16, 1
	s_movk_i32 s6, 0x7fff
	v_add3_u32 v6, v61, v6, s6
	v_lshrrev_b32_e32 v6, 16, v6
	v_mov_b32_e32 v7, 0x7fc0
	v_cmp_o_f32_e64 s[6:7], v61, v61
	s_nop 1
	v_cndmask_b32_e64 v8, v7, v6, s[6:7]
	v_add_u32_e32 v6, v5, v0
	v_mov_b32_e32 v7, 0
	s_waitcnt lgkmcnt(0)
	v_lshl_add_u64 v[6:7], v[6:7], 1, s[12:13]
	global_store_short v[6:7], v8, off
	s_or_b64 exec, exec, s[8:9]
	s_and_saveexec_b64 s[8:9], s[0:1]
	s_cbranch_execz .LBB176_35
.LBB176_70:
	v_bfe_u32 v6, v57, 16, 1
	s_movk_i32 s6, 0x7fff
	v_add3_u32 v6, v57, v6, s6
	v_lshrrev_b32_e32 v6, 16, v6
	v_mov_b32_e32 v7, 0x7fc0
	v_cmp_o_f32_e64 s[6:7], v57, v57
	s_nop 1
	v_cndmask_b32_e64 v8, v7, v6, s[6:7]
	v_add_u32_e32 v6, v5, v2
	v_mov_b32_e32 v7, 0
	s_waitcnt lgkmcnt(0)
	v_lshl_add_u64 v[6:7], v[6:7], 1, s[12:13]
	global_store_short v[6:7], v8, off
	s_or_b64 exec, exec, s[8:9]
	s_and_saveexec_b64 s[8:9], s[2:3]
	s_cbranch_execz .LBB176_36
.LBB176_71:
	v_bfe_u32 v6, v55, 16, 1
	s_movk_i32 s6, 0x7fff
	v_add3_u32 v6, v55, v6, s6
	v_lshrrev_b32_e32 v6, 16, v6
	v_mov_b32_e32 v7, 0x7fc0
	v_cmp_o_f32_e64 s[6:7], v55, v55
	s_nop 1
	v_cndmask_b32_e64 v8, v7, v6, s[6:7]
	v_add_u32_e32 v6, v5, v3
	v_mov_b32_e32 v7, 0
	s_waitcnt lgkmcnt(0)
	v_lshl_add_u64 v[6:7], v[6:7], 1, s[12:13]
	global_store_short v[6:7], v8, off
	s_or_b64 exec, exec, s[8:9]
	s_and_saveexec_b64 s[8:9], s[4:5]
	s_cbranch_execnz .LBB176_37
	s_branch .LBB176_38
.LBB176_72:
	v_bfe_u32 v6, v51, 16, 1
	s_movk_i32 s6, 0x7fff
	v_add3_u32 v6, v51, v6, s6
	v_lshrrev_b32_e32 v6, 16, v6
	v_mov_b32_e32 v7, 0x7fc0
	v_cmp_o_f32_e64 s[6:7], v51, v51
	s_nop 1
	v_cndmask_b32_e64 v8, v7, v6, s[6:7]
	v_add_u32_e32 v6, v5, v0
	v_mov_b32_e32 v7, 0
	s_waitcnt lgkmcnt(0)
	v_lshl_add_u64 v[6:7], v[6:7], 1, s[12:13]
	global_store_short v[6:7], v8, off
	s_or_b64 exec, exec, s[8:9]
	s_and_saveexec_b64 s[8:9], s[0:1]
	s_cbranch_execz .LBB176_41
.LBB176_73:
	v_bfe_u32 v6, v49, 16, 1
	s_movk_i32 s6, 0x7fff
	v_add3_u32 v6, v49, v6, s6
	v_lshrrev_b32_e32 v6, 16, v6
	v_mov_b32_e32 v7, 0x7fc0
	v_cmp_o_f32_e64 s[6:7], v49, v49
	s_nop 1
	v_cndmask_b32_e64 v8, v7, v6, s[6:7]
	v_add_u32_e32 v6, v5, v2
	v_mov_b32_e32 v7, 0
	s_waitcnt lgkmcnt(0)
	v_lshl_add_u64 v[6:7], v[6:7], 1, s[12:13]
	global_store_short v[6:7], v8, off
	s_or_b64 exec, exec, s[8:9]
	s_and_saveexec_b64 s[8:9], s[2:3]
	s_cbranch_execz .LBB176_42
.LBB176_74:
	v_bfe_u32 v6, v47, 16, 1
	s_movk_i32 s6, 0x7fff
	v_add3_u32 v6, v47, v6, s6
	v_lshrrev_b32_e32 v6, 16, v6
	v_mov_b32_e32 v7, 0x7fc0
	v_cmp_o_f32_e64 s[6:7], v47, v47
	s_nop 1
	v_cndmask_b32_e64 v8, v7, v6, s[6:7]
	v_add_u32_e32 v6, v5, v3
	v_mov_b32_e32 v7, 0
	s_waitcnt lgkmcnt(0)
	v_lshl_add_u64 v[6:7], v[6:7], 1, s[12:13]
	global_store_short v[6:7], v8, off
	s_or_b64 exec, exec, s[8:9]
	s_and_saveexec_b64 s[8:9], s[4:5]
	s_cbranch_execnz .LBB176_43
	s_branch .LBB176_44
.LBB176_75:
	v_bfe_u32 v6, v43, 16, 1
	s_movk_i32 s6, 0x7fff
	v_add3_u32 v6, v43, v6, s6
	v_lshrrev_b32_e32 v6, 16, v6
	v_mov_b32_e32 v7, 0x7fc0
	v_cmp_o_f32_e64 s[6:7], v43, v43
	s_nop 1
	v_cndmask_b32_e64 v8, v7, v6, s[6:7]
	v_add_u32_e32 v6, v5, v0
	v_mov_b32_e32 v7, 0
	s_waitcnt lgkmcnt(0)
	v_lshl_add_u64 v[6:7], v[6:7], 1, s[12:13]
	global_store_short v[6:7], v8, off
	s_or_b64 exec, exec, s[8:9]
	s_and_saveexec_b64 s[8:9], s[0:1]
	s_cbranch_execz .LBB176_47
.LBB176_76:
	v_bfe_u32 v6, v41, 16, 1
	s_movk_i32 s6, 0x7fff
	v_add3_u32 v6, v41, v6, s6
	v_lshrrev_b32_e32 v6, 16, v6
	v_mov_b32_e32 v7, 0x7fc0
	v_cmp_o_f32_e64 s[6:7], v41, v41
	s_nop 1
	v_cndmask_b32_e64 v8, v7, v6, s[6:7]
	v_add_u32_e32 v6, v5, v2
	v_mov_b32_e32 v7, 0
	s_waitcnt lgkmcnt(0)
	v_lshl_add_u64 v[6:7], v[6:7], 1, s[12:13]
	global_store_short v[6:7], v8, off
	s_or_b64 exec, exec, s[8:9]
	s_and_saveexec_b64 s[8:9], s[2:3]
	s_cbranch_execz .LBB176_48
.LBB176_77:
	v_bfe_u32 v6, v39, 16, 1
	s_movk_i32 s6, 0x7fff
	v_add3_u32 v6, v39, v6, s6
	v_lshrrev_b32_e32 v6, 16, v6
	v_mov_b32_e32 v7, 0x7fc0
	v_cmp_o_f32_e64 s[6:7], v39, v39
	s_nop 1
	v_cndmask_b32_e64 v8, v7, v6, s[6:7]
	v_add_u32_e32 v6, v5, v3
	v_mov_b32_e32 v7, 0
	s_waitcnt lgkmcnt(0)
	v_lshl_add_u64 v[6:7], v[6:7], 1, s[12:13]
	global_store_short v[6:7], v8, off
	s_or_b64 exec, exec, s[8:9]
	s_and_saveexec_b64 s[8:9], s[4:5]
	s_cbranch_execnz .LBB176_49
	s_branch .LBB176_50
.LBB176_78:
	v_bfe_u32 v6, v35, 16, 1
	s_movk_i32 s6, 0x7fff
	v_add3_u32 v6, v35, v6, s6
	v_lshrrev_b32_e32 v6, 16, v6
	v_mov_b32_e32 v7, 0x7fc0
	v_cmp_o_f32_e64 s[6:7], v35, v35
	s_nop 1
	v_cndmask_b32_e64 v8, v7, v6, s[6:7]
	v_add_u32_e32 v6, v5, v0
	v_mov_b32_e32 v7, 0
	s_waitcnt lgkmcnt(0)
	v_lshl_add_u64 v[6:7], v[6:7], 1, s[12:13]
	global_store_short v[6:7], v8, off
	s_or_b64 exec, exec, s[8:9]
	s_and_saveexec_b64 s[8:9], s[0:1]
	s_cbranch_execz .LBB176_53
.LBB176_79:
	v_bfe_u32 v6, v33, 16, 1
	s_movk_i32 s6, 0x7fff
	v_add3_u32 v6, v33, v6, s6
	v_lshrrev_b32_e32 v6, 16, v6
	v_mov_b32_e32 v7, 0x7fc0
	v_cmp_o_f32_e64 s[6:7], v33, v33
	s_nop 1
	v_cndmask_b32_e64 v8, v7, v6, s[6:7]
	v_add_u32_e32 v6, v5, v2
	v_mov_b32_e32 v7, 0
	s_waitcnt lgkmcnt(0)
	v_lshl_add_u64 v[6:7], v[6:7], 1, s[12:13]
	global_store_short v[6:7], v8, off
	s_or_b64 exec, exec, s[8:9]
	s_and_saveexec_b64 s[8:9], s[2:3]
	s_cbranch_execz .LBB176_54
.LBB176_80:
	v_bfe_u32 v6, v31, 16, 1
	s_movk_i32 s6, 0x7fff
	v_add3_u32 v6, v31, v6, s6
	v_lshrrev_b32_e32 v6, 16, v6
	v_mov_b32_e32 v7, 0x7fc0
	v_cmp_o_f32_e64 s[6:7], v31, v31
	s_nop 1
	v_cndmask_b32_e64 v8, v7, v6, s[6:7]
	v_add_u32_e32 v6, v5, v3
	v_mov_b32_e32 v7, 0
	s_waitcnt lgkmcnt(0)
	v_lshl_add_u64 v[6:7], v[6:7], 1, s[12:13]
	global_store_short v[6:7], v8, off
	s_or_b64 exec, exec, s[8:9]
	s_and_saveexec_b64 s[8:9], s[4:5]
	s_cbranch_execnz .LBB176_55
	s_branch .LBB176_56
.LBB176_81:
	v_bfe_u32 v5, v27, 16, 1
	s_movk_i32 s8, 0x7fff
	v_add3_u32 v5, v27, v5, s8
	v_lshrrev_b32_e32 v5, 16, v5
	v_mov_b32_e32 v6, 0x7fc0
	v_cmp_o_f32_e32 vcc, v27, v27
	v_mov_b32_e32 v7, 0
	s_nop 0
	v_cndmask_b32_e32 v5, v6, v5, vcc
	v_add_u32_e32 v6, v1, v0
	s_waitcnt lgkmcnt(0)
	v_lshl_add_u64 v[6:7], v[6:7], 1, s[12:13]
	global_store_short v[6:7], v5, off
	s_or_b64 exec, exec, s[6:7]
	s_and_saveexec_b64 s[6:7], s[0:1]
	s_cbranch_execz .LBB176_59
.LBB176_82:
	v_bfe_u32 v0, v25, 16, 1
	s_movk_i32 s0, 0x7fff
	v_add3_u32 v0, v25, v0, s0
	v_lshrrev_b32_e32 v0, 16, v0
	v_mov_b32_e32 v5, 0x7fc0
	v_cmp_o_f32_e32 vcc, v25, v25
	v_add_u32_e32 v6, v1, v2
	v_mov_b32_e32 v7, 0
	v_cndmask_b32_e32 v0, v5, v0, vcc
	s_waitcnt lgkmcnt(0)
	v_lshl_add_u64 v[6:7], v[6:7], 1, s[12:13]
	global_store_short v[6:7], v0, off
	s_or_b64 exec, exec, s[6:7]
	s_and_saveexec_b64 s[0:1], s[2:3]
	s_cbranch_execz .LBB176_60
.LBB176_83:
	v_bfe_u32 v0, v23, 16, 1
	s_movk_i32 s2, 0x7fff
	v_add3_u32 v0, v23, v0, s2
	v_lshrrev_b32_e32 v0, 16, v0
	v_mov_b32_e32 v2, 0x7fc0
	v_cmp_o_f32_e32 vcc, v23, v23
	s_nop 1
	v_cndmask_b32_e32 v0, v2, v0, vcc
	v_add_u32_e32 v2, v1, v3
	v_mov_b32_e32 v3, 0
	s_waitcnt lgkmcnt(0)
	v_lshl_add_u64 v[2:3], v[2:3], 1, s[12:13]
	global_store_short v[2:3], v0, off
	s_or_b64 exec, exec, s[0:1]
	s_and_b64 exec, exec, s[4:5]
	s_cbranch_execnz .LBB176_61
	s_branch .LBB176_62
	.section	.rodata,"a",@progbits
	.p2align	6, 0x0
	.amdhsa_kernel _ZL12mul_mat_q6_KIN3c108BFloat16ELb1EEvPKvS3_PT_iiiii
		.amdhsa_group_segment_fixed_size 45136
		.amdhsa_private_segment_fixed_size 0
		.amdhsa_kernarg_size 44
		.amdhsa_user_sgpr_count 2
		.amdhsa_user_sgpr_dispatch_ptr 0
		.amdhsa_user_sgpr_queue_ptr 0
		.amdhsa_user_sgpr_kernarg_segment_ptr 1
		.amdhsa_user_sgpr_dispatch_id 0
		.amdhsa_user_sgpr_kernarg_preload_length 0
		.amdhsa_user_sgpr_kernarg_preload_offset 0
		.amdhsa_user_sgpr_private_segment_size 0
		.amdhsa_uses_dynamic_stack 0
		.amdhsa_enable_private_segment 0
		.amdhsa_system_sgpr_workgroup_id_x 1
		.amdhsa_system_sgpr_workgroup_id_y 1
		.amdhsa_system_sgpr_workgroup_id_z 0
		.amdhsa_system_sgpr_workgroup_info 0
		.amdhsa_system_vgpr_workitem_id 1
		.amdhsa_next_free_vgpr 232
		.amdhsa_next_free_sgpr 26
		.amdhsa_accum_offset 232
		.amdhsa_reserve_vcc 1
		.amdhsa_float_round_mode_32 0
		.amdhsa_float_round_mode_16_64 0
		.amdhsa_float_denorm_mode_32 3
		.amdhsa_float_denorm_mode_16_64 3
		.amdhsa_dx10_clamp 1
		.amdhsa_ieee_mode 1
		.amdhsa_fp16_overflow 0
		.amdhsa_tg_split 0
		.amdhsa_exception_fp_ieee_invalid_op 0
		.amdhsa_exception_fp_denorm_src 0
		.amdhsa_exception_fp_ieee_div_zero 0
		.amdhsa_exception_fp_ieee_overflow 0
		.amdhsa_exception_fp_ieee_underflow 0
		.amdhsa_exception_fp_ieee_inexact 0
		.amdhsa_exception_int_div_zero 0
	.end_amdhsa_kernel
	.section	.text._ZL12mul_mat_q6_KIN3c108BFloat16ELb1EEvPKvS3_PT_iiiii,"axG",@progbits,_ZL12mul_mat_q6_KIN3c108BFloat16ELb1EEvPKvS3_PT_iiiii,comdat
.Lfunc_end176:
	.size	_ZL12mul_mat_q6_KIN3c108BFloat16ELb1EEvPKvS3_PT_iiiii, .Lfunc_end176-_ZL12mul_mat_q6_KIN3c108BFloat16ELb1EEvPKvS3_PT_iiiii
                                        ; -- End function
	.section	.AMDGPU.csdata,"",@progbits
; Kernel info:
; codeLenInByte = 21208
; NumSgprs: 32
; NumVgprs: 232
; NumAgprs: 0
; TotalNumVgprs: 232
; ScratchSize: 0
; MemoryBound: 0
; FloatMode: 240
; IeeeMode: 1
; LDSByteSize: 45136 bytes/workgroup (compile time only)
; SGPRBlocks: 3
; VGPRBlocks: 28
; NumSGPRsForWavesPerEU: 32
; NumVGPRsForWavesPerEU: 232
; AccumOffset: 232
; Occupancy: 1
; WaveLimiterHint : 0
; COMPUTE_PGM_RSRC2:SCRATCH_EN: 0
; COMPUTE_PGM_RSRC2:USER_SGPR: 2
; COMPUTE_PGM_RSRC2:TRAP_HANDLER: 0
; COMPUTE_PGM_RSRC2:TGID_X_EN: 1
; COMPUTE_PGM_RSRC2:TGID_Y_EN: 1
; COMPUTE_PGM_RSRC2:TGID_Z_EN: 0
; COMPUTE_PGM_RSRC2:TIDIG_COMP_CNT: 1
; COMPUTE_PGM_RSRC3_GFX90A:ACCUM_OFFSET: 57
; COMPUTE_PGM_RSRC3_GFX90A:TG_SPLIT: 0
	.section	.text._ZL8moe_q4_0IfLb0EEvPKvS1_PT_PKiS5_S5_iiiiiii,"axG",@progbits,_ZL8moe_q4_0IfLb0EEvPKvS1_PT_PKiS5_S5_iiiiiii,comdat
	.globl	_ZL8moe_q4_0IfLb0EEvPKvS1_PT_PKiS5_S5_iiiiiii ; -- Begin function _ZL8moe_q4_0IfLb0EEvPKvS1_PT_PKiS5_S5_iiiiiii
	.p2align	8
	.type	_ZL8moe_q4_0IfLb0EEvPKvS1_PT_PKiS5_S5_iiiiiii,@function
_ZL8moe_q4_0IfLb0EEvPKvS1_PT_PKiS5_S5_iiiiiii: ; @_ZL8moe_q4_0IfLb0EEvPKvS1_PT_PKiS5_S5_iiiiiii
; %bb.0:
	s_load_dwordx4 s[4:7], s[0:1], 0x18
	s_mov_b32 s8, s3
	s_mov_b32 s9, 0
	s_lshl_b64 s[10:11], s[8:9], 2
	s_waitcnt lgkmcnt(0)
	s_add_u32 s6, s6, s10
	s_addc_u32 s7, s7, s11
	s_load_dword s3, s[6:7], 0x0
	s_waitcnt lgkmcnt(0)
	s_cmpk_gt_u32 s3, 0xff
	s_cbranch_scc1 .LBB177_28
; %bb.1:
	s_load_dwordx2 s[6:7], s[0:1], 0x28
	s_waitcnt lgkmcnt(0)
	s_load_dword s7, s[6:7], 0x0
	s_lshl_b32 s6, s8, 3
	s_waitcnt lgkmcnt(0)
	s_cmp_gt_u32 s6, s7
	s_cbranch_scc1 .LBB177_28
; %bb.2:
	v_bfe_u32 v2, v0, 10, 10
	v_mov_b32_e32 v4, s4
	v_mov_b32_e32 v5, s5
	v_add_u32_e32 v70, s6, v2
	v_mov_b32_e32 v71, 0
	v_lshl_add_u64 v[4:5], v[70:71], 2, v[4:5]
	global_load_dword v1, v[4:5], off
	s_load_dwordx2 s[14:15], s[0:1], 0x30
	s_load_dwordx2 s[12:13], s[0:1], 0x10
	s_load_dwordx4 s[4:7], s[0:1], 0x3c
	s_lshl_b32 s22, s2, 7
	s_waitcnt lgkmcnt(0)
	s_cmp_lt_i32 s15, 32
	s_cbranch_scc1 .LBB177_18
; %bb.3:
	s_load_dwordx4 s[8:11], s[0:1], 0x0
	s_ashr_i32 s0, s15, 31
	s_ashr_i32 s1, s5, 31
	s_lshr_b32 s0, s0, 27
	s_lshr_b32 s1, s1, 27
	s_add_i32 s0, s15, s0
	s_add_i32 s1, s5, s1
	v_and_b32_e32 v24, 0x3ff, v0
	s_ashr_i32 s23, s0, 5
	s_ashr_i32 s5, s1, 5
	v_lshlrev_b32_e32 v3, 2, v24
	s_movk_i32 s1, 0x84
	v_mul_lo_u32 v9, s23, v2
	v_mad_u32_u24 v73, v2, s1, v3
	s_lshl_b32 s1, s23, 3
	v_add_u32_e32 v10, s1, v9
	v_add_u32_e32 v11, s1, v10
	;; [unrolled: 1-line block ×13, first 2 shown]
	v_lshlrev_b32_e32 v6, 2, v2
	v_lshrrev_b32_e32 v101, 3, v24
	v_add_u32_e32 v58, s1, v56
	v_and_b32_e32 v68, 7, v24
	v_add_u32_e32 v4, v101, v6
	v_add_u32_e32 v60, s1, v58
	v_and_b32_e32 v5, 0x1ffc, v4
	v_lshlrev_b32_e32 v7, 2, v68
	s_movk_i32 s1, 0x4200
	v_add3_u32 v70, v5, v7, s1
	v_add_u32_e32 v5, 32, v4
	v_mul_lo_u32 v62, s23, v4
	v_lshlrev_b32_e32 v71, 5, v4
	v_and_b32_e32 v25, 0x3ffc, v5
	v_lshlrev_b32_e32 v74, 5, v5
	v_add_u32_e32 v5, 64, v4
	v_add_u32_e32 v4, 0x60, v4
	v_mov_b32_e32 v23, 0
	v_add3_u32 v72, v25, v7, s1
	v_and_b32_e32 v25, 0x3ffc, v5
	v_lshlrev_b32_e32 v76, 5, v5
	v_and_b32_e32 v5, 0x3ffc, v4
	v_add3_u32 v77, v5, v7, s1
	v_lshlrev_b32_e32 v78, 5, v4
	v_and_b32_e32 v4, 28, v3
	v_mov_b32_e32 v5, v23
	v_and_b32_e32 v22, 12, v3
	v_add3_u32 v75, v25, v7, s1
	v_and_b32_e32 v7, 31, v24
	s_waitcnt lgkmcnt(0)
	v_lshl_add_u64 v[26:27], s[10:11], 0, v[4:5]
	v_lshlrev_b32_e32 v3, 7, v2
	v_mov_b32_e32 v5, 0x5680
	v_lshl_or_b32 v4, v7, 2, v3
	v_add_u32_e32 v104, 0x5280, v3
	v_lshl_add_u32 v105, v2, 4, v5
	v_and_b32_e32 v2, 0xfc, v24
	v_lshlrev_b32_e32 v3, 5, v24
	v_add_u32_e32 v102, 0x5280, v4
	v_or_b32_e32 v4, v6, v24
	v_add3_u32 v107, v3, v2, s1
	v_add_u32_e32 v2, 32, v24
	v_lshl_add_u32 v103, v4, 2, v5
	v_and_b32_e32 v3, 0x1fc, v2
	v_lshlrev_b32_e32 v4, 5, v2
	v_add3_u32 v108, v4, v3, s1
	v_add_u32_e32 v3, 64, v24
	s_mul_i32 s16, s3, s14
	v_and_b32_e32 v4, 0x1fc, v3
	v_lshlrev_b32_e32 v3, 5, v3
	s_abs_i32 s3, s7
	v_add3_u32 v109, v3, v4, s1
	v_cvt_f32_u32_e32 v4, s3
	v_add_u32_e32 v3, 0x60, v24
	v_and_b32_e32 v5, 0x1fc, v3
	v_lshlrev_b32_e32 v3, 5, v3
	v_add3_u32 v110, v3, v5, s1
	v_rcp_iflag_f32_e32 v3, v4
	s_andn2_b32 s0, s0, 31
	v_add_u32_e32 v64, s0, v62
	v_add_u32_e32 v66, s0, v64
	v_mul_f32_e32 v3, 0x4f7ffffe, v3
	v_cvt_u32_f32_e32 v3, v3
	v_add_u32_e32 v69, s0, v66
	s_sub_i32 s0, 0, s3
	s_waitcnt vmcnt(0)
	v_sub_u32_e32 v4, 0, v1
	v_mul_lo_u32 v5, s0, v3
	v_mul_hi_u32 v5, v3, v5
	v_max_i32_e32 v4, v1, v4
	v_add_u32_e32 v3, v3, v5
	v_mul_hi_u32 v3, v4, v3
	v_mul_lo_u32 v5, v3, s3
	v_sub_u32_e32 v4, v4, v5
	v_add_u32_e32 v5, 1, v3
	v_cmp_le_u32_e64 s[0:1], s3, v4
	v_lshrrev_b32_e32 v111, 3, v2
	v_xor_b32_e32 v2, s7, v1
	v_cndmask_b32_e64 v3, v3, v5, s[0:1]
	v_subrev_u32_e32 v5, s3, v4
	v_cndmask_b32_e64 v4, v4, v5, s[0:1]
	v_add_u32_e32 v5, 1, v3
	v_cmp_le_u32_e64 s[0:1], s3, v4
	v_ashrrev_i32_e32 v2, 31, v2
	s_mul_i32 s2, s23, s22
	v_cndmask_b32_e64 v3, v3, v5, s[0:1]
	v_xor_b32_e32 v3, v3, v2
	v_sub_u32_e32 v2, v3, v2
	v_cmp_gt_i32_e64 s[0:1], s4, v2
	v_mul_lo_u32 v2, v2, s5
	v_ashrrev_i32_e32 v3, 31, v2
	v_mov_b32_e32 v25, v23
	s_mul_hi_i32 s3, s2, 18
	s_mul_i32 s20, s2, 18
	v_lshrrev_b32_e32 v8, 2, v24
	v_lshl_add_u64 v[4:5], v[2:3], 0, v[24:25]
	v_add_u32_e32 v25, v24, v2
	v_add_u32_e32 v112, v111, v2
	;; [unrolled: 1-line block ×3, first 2 shown]
	v_mov_b32_e32 v2, s20
	v_mov_b32_e32 v3, s3
	v_mad_u64_u32 v[6:7], s[18:19], v4, 36, s[10:11]
	v_mad_u64_u32 v[2:3], s[20:21], v8, 18, v[2:3]
	v_mad_i32_i24 v7, v5, 36, v7
	v_mad_u64_u32 v[4:5], s[20:21], v9, 18, v[2:3]
	v_lshl_add_u64 v[4:5], v[4:5], 0, v[22:23]
	v_lshl_add_u64 v[4:5], v[4:5], 0, s[8:9]
	v_lshl_add_u64 v[30:31], v[4:5], 0, 2
	v_mad_u64_u32 v[4:5], s[20:21], v10, 18, v[2:3]
	v_lshl_add_u64 v[4:5], v[4:5], 0, v[22:23]
	v_lshl_add_u64 v[4:5], v[4:5], 0, s[8:9]
	v_lshl_add_u64 v[32:33], v[4:5], 0, 2
	;; [unrolled: 4-line block ×14, first 2 shown]
	v_mad_u64_u32 v[4:5], s[20:21], v58, 18, v[2:3]
	v_mad_u64_u32 v[2:3], s[20:21], v60, 18, v[2:3]
	v_lshl_add_u64 v[2:3], v[2:3], 0, v[22:23]
	v_lshl_add_u64 v[2:3], v[2:3], 0, s[8:9]
	;; [unrolled: 1-line block ×3, first 2 shown]
	v_mad_u64_u32 v[2:3], s[20:21], v62, 18, 0
	v_mad_i64_i32 v[2:3], s[20:21], s2, 18, v[2:3]
	v_mad_u64_u32 v[2:3], s[20:21], v68, 18, v[2:3]
	v_lshl_add_u64 v[62:63], s[8:9], 0, v[2:3]
	v_mad_u64_u32 v[2:3], s[20:21], v64, 18, 0
	v_mad_i64_i32 v[2:3], s[20:21], s2, 18, v[2:3]
	v_mad_u64_u32 v[2:3], s[20:21], v68, 18, v[2:3]
	v_lshl_add_u64 v[64:65], s[8:9], 0, v[2:3]
	;; [unrolled: 4-line block ×3, first 2 shown]
	v_mad_u64_u32 v[2:3], s[20:21], v69, 18, 0
	v_lshl_add_u64 v[4:5], v[4:5], 0, v[22:23]
	v_mad_i64_i32 v[2:3], s[2:3], s2, 18, v[2:3]
	v_mul_u32_u24_e32 v106, 0x84, v24
	s_mov_b64 s[18:19], 0x90
	v_lshl_add_u64 v[4:5], v[4:5], 0, s[8:9]
	v_mad_u64_u32 v[2:3], s[2:3], v68, 18, v[2:3]
	s_ashr_i32 s17, s16, 31
	s_mov_b32 s14, 0
	v_add_u32_e32 v86, 0x420, v73
	v_add_u32_e32 v87, 0x840, v73
	;; [unrolled: 1-line block ×15, first 2 shown]
	v_cmp_gt_u32_e32 vcc, 4, v24
	v_lshl_add_u64 v[28:29], v[6:7], 0, s[18:19]
	v_lshl_add_u64 v[58:59], v[4:5], 0, 2
	v_lshl_add_u64 v[68:69], s[8:9], 0, v[2:3]
	s_movk_i32 s24, 0x80
	v_add_u32_e32 v114, v70, v71
	v_add_u32_e32 v115, v72, v74
	;; [unrolled: 1-line block ×28, first 2 shown]
	s_mov_b64 s[8:9], 0x120
	v_mov_b32_e32 v22, v23
	v_mov_b32_e32 v70, v23
	;; [unrolled: 1-line block ×3, first 2 shown]
	s_branch .LBB177_6
.LBB177_4:                              ;   in Loop: Header=BB177_6 Depth=1
	s_or_b64 exec, exec, s[20:21]
	s_waitcnt lgkmcnt(0)
	s_barrier
	ds_read_b128 v[2:5], v105
	ds_read_b128 v[14:17], v104
	ds_read_b128 v[18:21], v104 offset:16
	ds_read2_b32 v[74:75], v106 offset0:16 offset1:17
	v_mov_b32_e32 v82, 0
	ds_read_b128 v[6:9], v104 offset:32
	ds_read_b128 v[10:13], v104 offset:48
	v_mov_b32_e32 v161, 0
	v_add_u32_e32 v142, 0x2140, v106
	s_waitcnt lgkmcnt(2)
	v_and_b32_e32 v76, 0xf0f0f0f, v74
	v_lshrrev_b32_e32 v74, 4, v74
	v_and_b32_e32 v74, 0xf0f0f0f, v74
	v_dot4c_i32_i8_e32 v82, v76, v14
	v_dot4c_i32_i8_e32 v82, v74, v18
	v_and_b32_e32 v74, 0xf0f0f0f, v75
	v_lshrrev_b32_e32 v75, 4, v75
	v_and_b32_e32 v76, 0xf0f0f0f, v75
	v_dot4c_i32_i8_e32 v82, v74, v15
	ds_read2_b32 v[74:75], v106 offset0:18 offset1:19
	v_dot4c_i32_i8_e32 v82, v76, v19
	ds_read2_b32 v[76:77], v106 offset0:20 offset1:21
	ds_read2_b32 v[78:79], v106 offset0:22 offset1:23
	;; [unrolled: 1-line block ×3, first 2 shown]
	v_add_u32_e32 v144, 0x2148, v106
	v_mov_b32_e32 v162, 0
	s_waitcnt lgkmcnt(3)
	v_and_b32_e32 v83, 0xf0f0f0f, v74
	v_dot4c_i32_i8_e32 v82, v83, v16
	v_add_u32_e32 v83, 0x10c0, v106
	ds_read2_b32 v[84:85], v83 offset1:1
	v_lshrrev_b32_e32 v74, 4, v74
	v_and_b32_e32 v74, 0xf0f0f0f, v74
	v_dot4c_i32_i8_e32 v82, v74, v20
	v_and_b32_e32 v74, 0xf0f0f0f, v75
	v_lshrrev_b32_e32 v75, 4, v75
	v_and_b32_e32 v75, 0xf0f0f0f, v75
	v_dot4c_i32_i8_e32 v82, v74, v17
	v_dot4c_i32_i8_e32 v82, v75, v21
	ds_read2_b32 v[74:75], v110 offset0:6 offset1:7
	s_waitcnt lgkmcnt(1)
	v_and_b32_e32 v83, 0xf0f0f0f, v84
	v_lshrrev_b32_e32 v84, 4, v84
	v_and_b32_e32 v84, 0xf0f0f0f, v84
	v_dot4c_i32_i8_e32 v161, v83, v14
	v_dot4c_i32_i8_e32 v161, v84, v18
	v_and_b32_e32 v83, 0xf0f0f0f, v85
	v_lshrrev_b32_e32 v84, 4, v85
	v_and_b32_e32 v84, 0xf0f0f0f, v84
	v_dot4c_i32_i8_e32 v161, v83, v15
	v_add_u32_e32 v83, 0x10c8, v106
	v_dot4c_i32_i8_e32 v161, v84, v19
	ds_read2_b32 v[84:85], v83 offset1:1
	v_add_u32_e32 v83, 0x31c0, v106
	ds_read2_b32 v[142:143], v142 offset1:1
	ds_read2_b32 v[144:145], v144 offset1:1
	;; [unrolled: 1-line block ×3, first 2 shown]
	v_mov_b32_e32 v163, 0
	v_mov_b32_e32 v164, 0
	s_waitcnt lgkmcnt(3)
	v_and_b32_e32 v83, 0xf0f0f0f, v84
	v_lshrrev_b32_e32 v84, 4, v84
	v_and_b32_e32 v84, 0xf0f0f0f, v84
	v_dot4c_i32_i8_e32 v161, v83, v16
	v_dot4c_i32_i8_e32 v161, v84, v20
	v_and_b32_e32 v83, 0xf0f0f0f, v85
	v_lshrrev_b32_e32 v84, 4, v85
	v_and_b32_e32 v84, 0xf0f0f0f, v84
	v_dot4c_i32_i8_e32 v161, v83, v17
	s_waitcnt lgkmcnt(2)
	v_lshrrev_b32_e32 v83, 4, v142
	v_dot4c_i32_i8_e32 v161, v84, v21
	v_and_b32_e32 v84, 0xf0f0f0f, v142
	v_and_b32_e32 v85, 0xf0f0f0f, v83
	v_mov_b32_e32 v83, 0
	v_dot4c_i32_i8_e32 v83, v84, v14
	v_dot4c_i32_i8_e32 v83, v85, v18
	v_and_b32_e32 v84, 0xf0f0f0f, v143
	v_lshrrev_b32_e32 v85, 4, v143
	v_and_b32_e32 v85, 0xf0f0f0f, v85
	v_dot4c_i32_i8_e32 v83, v84, v15
	v_dot4c_i32_i8_e32 v83, v85, v19
	s_waitcnt lgkmcnt(1)
	v_and_b32_e32 v84, 0xf0f0f0f, v144
	v_lshrrev_b32_e32 v85, 4, v144
	v_and_b32_e32 v85, 0xf0f0f0f, v85
	v_dot4c_i32_i8_e32 v83, v84, v16
	v_dot4c_i32_i8_e32 v83, v85, v20
	v_and_b32_e32 v84, 0xf0f0f0f, v145
	v_lshrrev_b32_e32 v85, 4, v145
	v_and_b32_e32 v85, 0xf0f0f0f, v85
	v_dot4c_i32_i8_e32 v83, v84, v17
	s_waitcnt lgkmcnt(0)
	v_lshrrev_b32_e32 v84, 4, v146
	v_dot4c_i32_i8_e32 v83, v85, v21
	v_and_b32_e32 v85, 0xf0f0f0f, v146
	v_and_b32_e32 v142, 0xf0f0f0f, v84
	v_mov_b32_e32 v84, 0
	v_dot4c_i32_i8_e32 v84, v85, v14
	v_dot4c_i32_i8_e32 v84, v142, v18
	v_and_b32_e32 v14, 0xf0f0f0f, v147
	v_dot4c_i32_i8_e32 v84, v14, v15
	v_add_u32_e32 v14, 0x31c8, v106
	ds_read2_b32 v[14:15], v14 offset1:1
	v_lshrrev_b32_e32 v18, 4, v147
	v_and_b32_e32 v18, 0xf0f0f0f, v18
	v_dot4c_i32_i8_e32 v84, v18, v19
	v_add_u32_e32 v18, 0x10d0, v106
	v_add_u32_e32 v85, 0x10d8, v106
	;; [unrolled: 1-line block ×3, first 2 shown]
	ds_read2_b32 v[18:19], v18 offset1:1
	ds_read2_b32 v[142:143], v85 offset1:1
	;; [unrolled: 1-line block ×3, first 2 shown]
	s_waitcnt lgkmcnt(3)
	v_and_b32_e32 v85, 0xf0f0f0f, v14
	v_lshrrev_b32_e32 v14, 4, v14
	v_and_b32_e32 v14, 0xf0f0f0f, v14
	v_dot4c_i32_i8_e32 v84, v85, v16
	v_dot4c_i32_i8_e32 v84, v14, v20
	v_and_b32_e32 v14, 0xf0f0f0f, v15
	v_lshrrev_b32_e32 v15, 4, v15
	v_and_b32_e32 v15, 0xf0f0f0f, v15
	v_dot4c_i32_i8_e32 v84, v14, v17
	v_cvt_f32_f16_sdwa v16, v3 dst_sel:DWORD dst_unused:UNUSED_PAD src0_sel:WORD_1
	v_dot4c_i32_i8_e32 v84, v15, v21
	v_cvt_f32_f16_e32 v14, v3
	v_and_b32_e32 v3, 0xf0f0f0f, v76
	v_lshrrev_b32_e32 v15, 4, v76
	v_mov_b32_e32 v17, 0
	v_and_b32_e32 v15, 0xf0f0f0f, v15
	v_dot4c_i32_i8_e32 v17, v3, v6
	v_dot4c_i32_i8_e32 v17, v15, v10
	v_and_b32_e32 v3, 0xf0f0f0f, v77
	v_lshrrev_b32_e32 v15, 4, v77
	v_and_b32_e32 v15, 0xf0f0f0f, v15
	v_dot4c_i32_i8_e32 v17, v3, v7
	v_dot4c_i32_i8_e32 v17, v15, v11
	v_and_b32_e32 v3, 0xf0f0f0f, v78
	v_lshrrev_b32_e32 v15, 4, v78
	;; [unrolled: 5-line block ×3, first 2 shown]
	v_and_b32_e32 v15, 0xf0f0f0f, v15
	v_dot4c_i32_i8_e32 v17, v3, v9
	v_dot4c_i32_i8_e32 v17, v15, v13
	s_waitcnt lgkmcnt(2)
	v_and_b32_e32 v3, 0xf0f0f0f, v18
	v_lshrrev_b32_e32 v15, 4, v18
	v_mov_b32_e32 v85, 0
	v_and_b32_e32 v15, 0xf0f0f0f, v15
	v_dot4c_i32_i8_e32 v85, v3, v6
	v_dot4c_i32_i8_e32 v85, v15, v10
	v_and_b32_e32 v3, 0xf0f0f0f, v19
	v_lshrrev_b32_e32 v15, 4, v19
	v_and_b32_e32 v15, 0xf0f0f0f, v15
	v_dot4c_i32_i8_e32 v85, v3, v7
	v_dot4c_i32_i8_e32 v85, v15, v11
	s_waitcnt lgkmcnt(1)
	v_and_b32_e32 v3, 0xf0f0f0f, v142
	v_lshrrev_b32_e32 v15, 4, v142
	v_and_b32_e32 v15, 0xf0f0f0f, v15
	v_dot4c_i32_i8_e32 v85, v3, v8
	v_dot4c_i32_i8_e32 v85, v15, v12
	v_and_b32_e32 v3, 0xf0f0f0f, v143
	v_lshrrev_b32_e32 v15, 4, v143
	v_and_b32_e32 v15, 0xf0f0f0f, v15
	v_dot4c_i32_i8_e32 v85, v3, v9
	v_dot4c_i32_i8_e32 v85, v15, v13
	s_waitcnt lgkmcnt(0)
	v_and_b32_e32 v3, 0xf0f0f0f, v144
	v_lshrrev_b32_e32 v15, 4, v144
	v_and_b32_e32 v15, 0xf0f0f0f, v15
	v_dot4c_i32_i8_e32 v162, v3, v6
	v_dot4c_i32_i8_e32 v162, v15, v10
	v_and_b32_e32 v3, 0xf0f0f0f, v145
	v_dot4c_i32_i8_e32 v162, v3, v7
	v_add_u32_e32 v3, 0x2158, v106
	ds_read2_b32 v[18:19], v3 offset1:1
	v_lshrrev_b32_e32 v15, 4, v145
	v_and_b32_e32 v15, 0xf0f0f0f, v15
	v_dot4c_i32_i8_e32 v162, v15, v11
	v_add_u32_e32 v15, 0x31d0, v106
	v_add_u32_e32 v76, 0x31d8, v106
	;; [unrolled: 1-line block ×3, first 2 shown]
	ds_read2_b32 v[20:21], v15 offset1:1
	ds_read2_b32 v[76:77], v76 offset1:1
	ds_read2_b32 v[78:79], v3 offset1:1
	s_waitcnt lgkmcnt(3)
	v_and_b32_e32 v3, 0xf0f0f0f, v18
	v_lshrrev_b32_e32 v15, 4, v18
	v_and_b32_e32 v15, 0xf0f0f0f, v15
	v_dot4c_i32_i8_e32 v162, v3, v8
	v_dot4c_i32_i8_e32 v162, v15, v12
	v_and_b32_e32 v3, 0xf0f0f0f, v19
	v_lshrrev_b32_e32 v15, 4, v19
	v_and_b32_e32 v15, 0xf0f0f0f, v15
	v_dot4c_i32_i8_e32 v162, v3, v9
	v_dot4c_i32_i8_e32 v162, v15, v13
	s_waitcnt lgkmcnt(2)
	v_and_b32_e32 v3, 0xf0f0f0f, v20
	v_lshrrev_b32_e32 v15, 4, v20
	v_and_b32_e32 v15, 0xf0f0f0f, v15
	v_dot4c_i32_i8_e32 v163, v3, v6
	v_dot4c_i32_i8_e32 v163, v15, v10
	v_and_b32_e32 v3, 0xf0f0f0f, v21
	v_lshrrev_b32_e32 v6, 4, v21
	v_and_b32_e32 v6, 0xf0f0f0f, v6
	v_dot4c_i32_i8_e32 v163, v3, v7
	v_dot4c_i32_i8_e32 v163, v6, v11
	s_waitcnt lgkmcnt(1)
	v_and_b32_e32 v3, 0xf0f0f0f, v76
	v_lshrrev_b32_e32 v6, 4, v76
	v_and_b32_e32 v6, 0xf0f0f0f, v6
	v_dot4c_i32_i8_e32 v163, v3, v8
	v_dot4c_i32_i8_e32 v163, v6, v12
	v_and_b32_e32 v3, 0xf0f0f0f, v77
	v_dot4c_i32_i8_e32 v163, v3, v9
	v_cvt_f32_f16_sdwa v3, v4 dst_sel:DWORD dst_unused:UNUSED_PAD src0_sel:WORD_1
	ds_read_b128 v[142:145], v104 offset:64
	ds_read_b128 v[146:149], v104 offset:80
	v_lshrrev_b32_e32 v6, 4, v77
	v_and_b32_e32 v6, 0xf0f0f0f, v6
	ds_read2_b32 v[8:9], v109 offset0:4 offset1:5
	ds_read2_b32 v[18:19], v108 offset0:6 offset1:7
	;; [unrolled: 1-line block ×5, first 2 shown]
	v_dot4c_i32_i8_e32 v163, v6, v13
	v_mul_f32_e32 v6, 0x41000000, v3
	v_and_b32_e32 v3, 0xf0f0f0f, v80
	v_lshrrev_b32_e32 v7, 4, v80
	v_mov_b32_e32 v15, 0
	v_and_b32_e32 v7, 0xf0f0f0f, v7
	s_waitcnt lgkmcnt(6)
	v_dot4c_i32_i8_e32 v15, v3, v142
	s_waitcnt lgkmcnt(5)
	v_dot4c_i32_i8_e32 v15, v7, v146
	v_and_b32_e32 v3, 0xf0f0f0f, v81
	v_lshrrev_b32_e32 v7, 4, v81
	v_and_b32_e32 v7, 0xf0f0f0f, v7
	v_dot4c_i32_i8_e32 v15, v3, v143
	v_dot4c_i32_i8_e32 v15, v7, v147
	s_waitcnt lgkmcnt(0)
	v_and_b32_e32 v3, 0xf0f0f0f, v10
	v_lshrrev_b32_e32 v7, 4, v10
	v_and_b32_e32 v7, 0xf0f0f0f, v7
	v_dot4c_i32_i8_e32 v15, v3, v144
	v_dot4c_i32_i8_e32 v15, v7, v148
	v_and_b32_e32 v3, 0xf0f0f0f, v11
	v_lshrrev_b32_e32 v7, 4, v11
	v_and_b32_e32 v7, 0xf0f0f0f, v7
	v_dot4c_i32_i8_e32 v15, v3, v145
	v_dot4c_i32_i8_e32 v15, v7, v149
	;; [unrolled: 5-line block ×3, first 2 shown]
	v_and_b32_e32 v3, 0xf0f0f0f, v79
	v_dot4c_i32_i8_e32 v164, v3, v143
	v_add_u32_e32 v3, 0x10e8, v106
	ds_read2_b32 v[150:151], v106 offset0:28 offset1:29
	ds_read2_b32 v[152:153], v107 offset0:4 offset1:5
	;; [unrolled: 1-line block ×3, first 2 shown]
	ds_read2_b32 v[10:11], v3 offset1:1
	v_lshrrev_b32_e32 v7, 4, v79
	v_and_b32_e32 v7, 0xf0f0f0f, v7
	v_dot4c_i32_i8_e32 v164, v7, v147
	v_add_u32_e32 v7, 0x2160, v106
	v_add_u32_e32 v3, 0x31e0, v106
	;; [unrolled: 1-line block ×3, first 2 shown]
	ds_read2_b32 v[78:79], v7 offset1:1
	ds_read2_b32 v[80:81], v12 offset1:1
	;; [unrolled: 1-line block ×3, first 2 shown]
	s_waitcnt lgkmcnt(3)
	v_and_b32_e32 v3, 0xf0f0f0f, v10
	v_lshrrev_b32_e32 v7, 4, v10
	v_and_b32_e32 v7, 0xf0f0f0f, v7
	v_dot4c_i32_i8_e32 v164, v3, v144
	v_dot4c_i32_i8_e32 v164, v7, v148
	v_and_b32_e32 v3, 0xf0f0f0f, v11
	v_lshrrev_b32_e32 v7, 4, v11
	v_and_b32_e32 v7, 0xf0f0f0f, v7
	v_dot4c_i32_i8_e32 v164, v3, v145
	v_dot4c_i32_i8_e32 v164, v7, v149
	s_waitcnt lgkmcnt(2)
	v_and_b32_e32 v3, 0xf0f0f0f, v78
	v_lshrrev_b32_e32 v7, 4, v78
	v_mov_b32_e32 v165, 0
	v_and_b32_e32 v7, 0xf0f0f0f, v7
	v_dot4c_i32_i8_e32 v165, v3, v142
	v_dot4c_i32_i8_e32 v165, v7, v146
	v_and_b32_e32 v3, 0xf0f0f0f, v79
	v_lshrrev_b32_e32 v7, 4, v79
	v_and_b32_e32 v7, 0xf0f0f0f, v7
	v_dot4c_i32_i8_e32 v165, v3, v143
	v_dot4c_i32_i8_e32 v165, v7, v147
	s_waitcnt lgkmcnt(1)
	v_and_b32_e32 v3, 0xf0f0f0f, v80
	v_lshrrev_b32_e32 v7, 4, v80
	v_and_b32_e32 v7, 0xf0f0f0f, v7
	v_dot4c_i32_i8_e32 v165, v3, v144
	v_dot4c_i32_i8_e32 v165, v7, v148
	v_and_b32_e32 v3, 0xf0f0f0f, v81
	v_lshrrev_b32_e32 v7, 4, v81
	v_and_b32_e32 v7, 0xf0f0f0f, v7
	v_dot4c_i32_i8_e32 v165, v3, v145
	v_dot4c_i32_i8_e32 v165, v7, v149
	s_waitcnt lgkmcnt(0)
	v_and_b32_e32 v3, 0xf0f0f0f, v156
	v_lshrrev_b32_e32 v7, 4, v156
	v_mov_b32_e32 v166, 0
	v_and_b32_e32 v7, 0xf0f0f0f, v7
	v_dot4c_i32_i8_e32 v166, v3, v142
	v_dot4c_i32_i8_e32 v166, v7, v146
	v_and_b32_e32 v3, 0xf0f0f0f, v157
	v_dot4c_i32_i8_e32 v166, v3, v143
	v_add_u32_e32 v3, 0x31e8, v106
	ds_read2_b32 v[12:13], v110 offset0:4 offset1:5
	ds_read2_b32 v[10:11], v109 offset0:6 offset1:7
	ds_read2_b32 v[78:79], v3 offset1:1
	v_lshrrev_b32_e32 v7, 4, v157
	v_and_b32_e32 v7, 0xf0f0f0f, v7
	v_dot4c_i32_i8_e32 v166, v7, v147
	v_add_u32_e32 v7, 0x10f0, v106
	v_add_u32_e32 v3, 0x2170, v106
	;; [unrolled: 1-line block ×3, first 2 shown]
	ds_read2_b32 v[146:147], v7 offset1:1
	ds_read2_b32 v[156:157], v80 offset1:1
	;; [unrolled: 1-line block ×3, first 2 shown]
	s_waitcnt lgkmcnt(3)
	v_and_b32_e32 v3, 0xf0f0f0f, v78
	v_lshrrev_b32_e32 v7, 4, v78
	v_and_b32_e32 v7, 0xf0f0f0f, v7
	v_dot4c_i32_i8_e32 v166, v3, v144
	v_dot4c_i32_i8_e32 v166, v7, v148
	v_and_b32_e32 v3, 0xf0f0f0f, v79
	v_dot4c_i32_i8_e32 v166, v3, v145
	v_cvt_f32_f16_sdwa v3, v5 dst_sel:DWORD dst_unused:UNUSED_PAD src0_sel:WORD_1
	v_lshrrev_b32_e32 v7, 4, v79
	ds_read_b128 v[78:81], v104 offset:96
	ds_read_b128 v[142:145], v104 offset:112
	v_and_b32_e32 v7, 0xf0f0f0f, v7
	v_dot4c_i32_i8_e32 v166, v7, v149
	v_cvt_f32_f16_e32 v148, v5
	v_mul_f32_e32 v160, 0x41000000, v3
	v_and_b32_e32 v3, 0xf0f0f0f, v150
	v_lshrrev_b32_e32 v5, 4, v150
	v_mov_b32_e32 v7, 0
	v_and_b32_e32 v5, 0xf0f0f0f, v5
	s_waitcnt lgkmcnt(1)
	v_dot4c_i32_i8_e32 v7, v3, v78
	s_waitcnt lgkmcnt(0)
	v_dot4c_i32_i8_e32 v7, v5, v142
	v_and_b32_e32 v3, 0xf0f0f0f, v151
	v_lshrrev_b32_e32 v5, 4, v151
	v_and_b32_e32 v5, 0xf0f0f0f, v5
	v_dot4c_i32_i8_e32 v7, v3, v79
	v_dot4c_i32_i8_e32 v7, v5, v143
	v_and_b32_e32 v3, 0xf0f0f0f, v154
	v_lshrrev_b32_e32 v5, 4, v154
	v_and_b32_e32 v5, 0xf0f0f0f, v5
	v_dot4c_i32_i8_e32 v7, v3, v80
	;; [unrolled: 5-line block ×3, first 2 shown]
	v_dot4c_i32_i8_e32 v7, v5, v145
	v_and_b32_e32 v3, 0xf0f0f0f, v146
	v_lshrrev_b32_e32 v5, 4, v146
	v_mov_b32_e32 v149, 0
	v_cvt_f32_f16_sdwa v72, v2 dst_sel:DWORD dst_unused:UNUSED_PAD src0_sel:WORD_1
	v_and_b32_e32 v5, 0xf0f0f0f, v5
	v_dot4c_i32_i8_e32 v149, v3, v78
	v_cvt_f32_f16_e32 v2, v2
	v_dot4c_i32_i8_e32 v149, v5, v142
	v_and_b32_e32 v3, 0xf0f0f0f, v147
	v_lshrrev_b32_e32 v5, 4, v147
	v_cvt_f32_i32_e32 v147, v161
	v_cvt_f32_i32_e32 v146, v82
	v_and_b32_e32 v5, 0xf0f0f0f, v5
	v_dot4c_i32_i8_e32 v149, v3, v79
	v_dot4c_i32_i8_e32 v149, v5, v143
	v_and_b32_e32 v3, 0xf0f0f0f, v156
	v_mul_f32_e32 v72, 0x41000000, v72
	v_dot4c_i32_i8_e32 v149, v3, v80
	v_and_b32_e32 v3, 0xf0f0f0f, v157
	v_lshrrev_b32_e32 v5, 4, v156
	v_pk_fma_f32 v[146:147], v[2:3], v[146:147], v[72:73] op_sel_hi:[0,1,0] neg_lo:[0,0,1] neg_hi:[0,0,1]
	v_mov_b32_e32 v150, v152
	v_mov_b32_e32 v151, v76
	v_cvt_f32_i32_e32 v155, v85
	v_cvt_f32_i32_e32 v154, v17
	v_cvt_f32_f16_e32 v4, v4
	v_and_b32_e32 v5, 0xf0f0f0f, v5
	v_pk_fma_f32 v[22:23], v[150:151], v[146:147], v[22:23]
	v_cvt_f32_i32_e32 v147, v164
	v_cvt_f32_i32_e32 v146, v15
	v_dot4c_i32_i8_e32 v149, v5, v144
	v_lshrrev_b32_e32 v5, 4, v157
	v_mul_f32_e32 v16, 0x41000000, v16
	v_and_b32_e32 v5, 0xf0f0f0f, v5
	v_dot4c_i32_i8_e32 v149, v3, v81
	v_dot4c_i32_i8_e32 v149, v5, v145
	v_pk_fma_f32 v[150:151], v[14:15], v[154:155], v[16:17] op_sel_hi:[0,1,0] neg_lo:[0,0,1] neg_hi:[0,0,1]
	v_mov_b32_e32 v76, v153
	v_pk_fma_f32 v[22:23], v[76:77], v[150:151], v[22:23]
	v_pk_fma_f32 v[76:77], v[4:5], v[146:147], v[6:7] op_sel_hi:[0,1,0] neg_lo:[0,0,1] neg_hi:[0,0,1]
	v_cvt_f32_i32_e32 v147, v149
	v_cvt_f32_i32_e32 v146, v7
	v_and_b32_e32 v3, 0xf0f0f0f, v158
	v_lshrrev_b32_e32 v5, 4, v158
	v_mov_b32_e32 v17, 0
	v_and_b32_e32 v5, 0xf0f0f0f, v5
	v_dot4c_i32_i8_e32 v17, v3, v78
	v_mov_b32_e32 v150, v20
	v_mov_b32_e32 v151, v18
	v_dot4c_i32_i8_e32 v17, v5, v142
	v_and_b32_e32 v3, 0xf0f0f0f, v159
	v_pk_fma_f32 v[22:23], v[150:151], v[76:77], v[22:23]
	v_pk_fma_f32 v[76:77], v[148:149], v[146:147], v[160:161] op_sel_hi:[0,1,0] neg_lo:[0,0,1] neg_hi:[0,0,1]
	v_mov_b32_e32 v18, v21
	v_dot4c_i32_i8_e32 v17, v3, v79
	v_add_u32_e32 v3, 0x2178, v106
	v_pk_fma_f32 v[22:23], v[18:19], v[76:77], v[22:23]
	ds_read2_b32 v[18:19], v3 offset1:1
	v_lshrrev_b32_e32 v5, 4, v159
	v_and_b32_e32 v5, 0xf0f0f0f, v5
	v_dot4c_i32_i8_e32 v17, v5, v143
	v_add_u32_e32 v3, 0x31f0, v106
	v_add_u32_e32 v5, 0x31f8, v106
	ds_read2_b32 v[20:21], v3 offset1:1
	ds_read2_b32 v[76:77], v5 offset1:1
	s_waitcnt lgkmcnt(2)
	v_and_b32_e32 v3, 0xf0f0f0f, v18
	v_lshrrev_b32_e32 v5, 4, v18
	v_and_b32_e32 v5, 0xf0f0f0f, v5
	v_dot4c_i32_i8_e32 v17, v3, v80
	v_dot4c_i32_i8_e32 v17, v5, v144
	v_and_b32_e32 v3, 0xf0f0f0f, v19
	v_lshrrev_b32_e32 v5, 4, v19
	v_and_b32_e32 v5, 0xf0f0f0f, v5
	v_dot4c_i32_i8_e32 v17, v3, v81
	v_dot4c_i32_i8_e32 v17, v5, v145
	s_waitcnt lgkmcnt(1)
	v_and_b32_e32 v3, 0xf0f0f0f, v20
	v_lshrrev_b32_e32 v5, 4, v20
	v_mov_b32_e32 v7, 0
	v_and_b32_e32 v5, 0xf0f0f0f, v5
	v_dot4c_i32_i8_e32 v7, v3, v78
	v_dot4c_i32_i8_e32 v7, v5, v142
	v_and_b32_e32 v3, 0xf0f0f0f, v21
	v_lshrrev_b32_e32 v5, 4, v21
	v_and_b32_e32 v5, 0xf0f0f0f, v5
	v_dot4c_i32_i8_e32 v7, v3, v79
	v_cvt_f32_i32_e32 v19, v84
	v_cvt_f32_i32_e32 v18, v83
	v_dot4c_i32_i8_e32 v7, v5, v143
	s_waitcnt lgkmcnt(0)
	v_and_b32_e32 v3, 0xf0f0f0f, v76
	v_lshrrev_b32_e32 v5, 4, v76
	v_and_b32_e32 v5, 0xf0f0f0f, v5
	v_dot4c_i32_i8_e32 v7, v3, v80
	v_dot4c_i32_i8_e32 v7, v5, v144
	v_and_b32_e32 v3, 0xf0f0f0f, v77
	v_dot4c_i32_i8_e32 v7, v3, v81
	v_pk_fma_f32 v[2:3], v[2:3], v[18:19], v[72:73] op_sel_hi:[0,1,0] neg_lo:[0,0,1] neg_hi:[0,0,1]
	v_mov_b32_e32 v18, v8
	v_mov_b32_e32 v19, v12
	v_pk_fma_f32 v[2:3], v[18:19], v[2:3], v[70:71]
	v_cvt_f32_i32_e32 v19, v166
	v_cvt_f32_i32_e32 v18, v165
	v_lshrrev_b32_e32 v5, 4, v77
	v_and_b32_e32 v5, 0xf0f0f0f, v5
	v_cvt_f32_i32_e32 v21, v163
	v_cvt_f32_i32_e32 v20, v162
	v_dot4c_i32_i8_e32 v7, v5, v145
	v_mov_b32_e32 v12, v9
	v_mov_b32_e32 v8, v10
	v_pk_fma_f32 v[14:15], v[14:15], v[20:21], v[16:17] op_sel_hi:[0,1,0] neg_lo:[0,0,1] neg_hi:[0,0,1]
	v_pk_fma_f32 v[4:5], v[4:5], v[18:19], v[6:7] op_sel_hi:[0,1,0] neg_lo:[0,0,1] neg_hi:[0,0,1]
	v_cvt_f32_i32_e32 v7, v7
	v_cvt_f32_i32_e32 v6, v17
	v_pk_fma_f32 v[2:3], v[12:13], v[14:15], v[2:3]
	v_mov_b32_e32 v9, v74
	v_pk_fma_f32 v[2:3], v[8:9], v[4:5], v[2:3]
	v_pk_fma_f32 v[4:5], v[148:149], v[6:7], v[160:161] op_sel_hi:[0,1,0] neg_lo:[0,0,1] neg_hi:[0,0,1]
	v_mov_b32_e32 v74, v11
	v_pk_fma_f32 v[70:71], v[74:75], v[4:5], v[2:3]
	s_barrier
.LBB177_5:                              ;   in Loop: Header=BB177_6 Depth=1
	s_add_i32 s14, s14, 8
	s_addk_i32 s24, 0x100
	v_lshl_add_u64 v[28:29], v[28:29], 0, s[8:9]
	v_lshl_add_u64 v[30:31], v[30:31], 0, s[18:19]
	;; [unrolled: 1-line block ×20, first 2 shown]
	s_cmp_ge_i32 s14, s23
	v_lshl_add_u64 v[68:69], v[68:69], 0, s[18:19]
	s_cbranch_scc1 .LBB177_19
.LBB177_6:                              ; =>This Inner Loop Header: Depth=1
	v_lshl_add_u64 v[2:3], v[30:31], 0, s[16:17]
	global_load_dword v4, v[2:3], off
	v_lshl_add_u64 v[2:3], v[32:33], 0, s[16:17]
	global_load_dword v5, v[2:3], off
	;; [unrolled: 2-line block ×16, first 2 shown]
	v_lshl_add_u64 v[2:3], v[62:63], 0, s[16:17]
	global_load_ushort v20, v[2:3], off
	v_lshl_add_u64 v[2:3], v[64:65], 0, s[16:17]
	global_load_ushort v21, v[2:3], off
	;; [unrolled: 2-line block ×4, first 2 shown]
	s_add_i32 s2, s24, 0xffffff80
	s_cmp_lt_i32 s2, s15
	s_waitcnt vmcnt(19)
	ds_write_b32 v73, v4
	s_waitcnt vmcnt(18)
	ds_write_b32 v86, v5
	;; [unrolled: 2-line block ×16, first 2 shown]
	s_waitcnt vmcnt(3)
	v_cvt_f32_f16_e32 v3, v20
	s_waitcnt vmcnt(2)
	v_cvt_f32_f16_e32 v4, v21
	;; [unrolled: 2-line block ×4, first 2 shown]
	ds_write_b32 v114, v3
	ds_write_b32 v115, v4
	;; [unrolled: 1-line block ×4, first 2 shown]
	s_cbranch_scc0 .LBB177_5
; %bb.7:                                ;   in Loop: Header=BB177_6 Depth=1
	v_add_u32_e32 v2, s14, v101
	v_cmp_gt_i32_e64 s[2:3], s5, v2
	s_and_b64 s[20:21], s[0:1], s[2:3]
	s_and_saveexec_b64 s[2:3], s[20:21]
	s_cbranch_execz .LBB177_9
; %bb.8:                                ;   in Loop: Header=BB177_6 Depth=1
	v_add_u32_e32 v2, s14, v113
	v_mad_i64_i32 v[2:3], s[20:21], v2, 36, v[26:27]
	global_load_dword v2, v[2:3], off offset:4
	s_waitcnt vmcnt(0)
	ds_write_b32 v102, v2
.LBB177_9:                              ;   in Loop: Header=BB177_6 Depth=1
	s_or_b64 exec, exec, s[2:3]
	s_and_saveexec_b64 s[20:21], vcc
	s_cbranch_execz .LBB177_12
; %bb.10:                               ;   in Loop: Header=BB177_6 Depth=1
	v_add_u32_e32 v2, s14, v24
	v_cmp_gt_i32_e64 s[2:3], s5, v2
	s_and_b64 s[2:3], s[0:1], s[2:3]
	s_and_b64 exec, exec, s[2:3]
	s_cbranch_execz .LBB177_12
; %bb.11:                               ;   in Loop: Header=BB177_6 Depth=1
	v_add_u32_e32 v2, s14, v25
	v_mad_i64_i32 v[2:3], s[2:3], v2, 36, s[10:11]
	global_load_dword v2, v[2:3], off
	s_waitcnt vmcnt(0)
	ds_write_b32 v103, v2
.LBB177_12:                             ;   in Loop: Header=BB177_6 Depth=1
	s_or_b64 exec, exec, s[20:21]
	s_waitcnt lgkmcnt(0)
	s_barrier
	ds_read_b128 v[2:5], v105
	ds_read_b128 v[14:17], v104
	ds_read_b128 v[18:21], v104 offset:16
	ds_read2_b32 v[74:75], v106 offset1:1
	v_mov_b32_e32 v146, 0
	ds_read_b128 v[6:9], v104 offset:32
	ds_read_b128 v[10:13], v104 offset:48
	v_mov_b32_e32 v147, 0
	v_mov_b32_e32 v163, 0
	s_waitcnt lgkmcnt(2)
	v_and_b32_e32 v76, 0xf0f0f0f, v74
	v_lshrrev_b32_e32 v74, 4, v74
	v_and_b32_e32 v74, 0xf0f0f0f, v74
	v_dot4c_i32_i8_e32 v146, v76, v14
	v_dot4c_i32_i8_e32 v146, v74, v18
	v_and_b32_e32 v74, 0xf0f0f0f, v75
	v_lshrrev_b32_e32 v75, 4, v75
	v_and_b32_e32 v76, 0xf0f0f0f, v75
	v_dot4c_i32_i8_e32 v146, v74, v15
	ds_read2_b32 v[74:75], v106 offset0:2 offset1:3
	v_dot4c_i32_i8_e32 v146, v76, v19
	ds_read2_b32 v[78:79], v106 offset0:4 offset1:5
	ds_read2_b32 v[80:81], v106 offset0:6 offset1:7
	;; [unrolled: 1-line block ×3, first 2 shown]
	v_mov_b32_e32 v165, 0
	v_cvt_f32_f16_e32 v162, v5
	s_waitcnt lgkmcnt(3)
	v_and_b32_e32 v76, 0xf0f0f0f, v74
	v_dot4c_i32_i8_e32 v146, v76, v16
	ds_read2_b32 v[76:77], v118 offset1:1
	v_lshrrev_b32_e32 v74, 4, v74
	v_and_b32_e32 v74, 0xf0f0f0f, v74
	v_dot4c_i32_i8_e32 v146, v74, v20
	v_and_b32_e32 v74, 0xf0f0f0f, v75
	v_lshrrev_b32_e32 v75, 4, v75
	v_and_b32_e32 v75, 0xf0f0f0f, v75
	v_dot4c_i32_i8_e32 v146, v74, v17
	v_dot4c_i32_i8_e32 v146, v75, v21
	ds_read2_b32 v[74:75], v110 offset0:2 offset1:3
	s_waitcnt lgkmcnt(1)
	v_and_b32_e32 v84, 0xf0f0f0f, v76
	v_lshrrev_b32_e32 v76, 4, v76
	v_and_b32_e32 v76, 0xf0f0f0f, v76
	v_dot4c_i32_i8_e32 v147, v84, v14
	v_dot4c_i32_i8_e32 v147, v76, v18
	v_and_b32_e32 v76, 0xf0f0f0f, v77
	v_lshrrev_b32_e32 v77, 4, v77
	v_and_b32_e32 v84, 0xf0f0f0f, v77
	v_dot4c_i32_i8_e32 v147, v76, v15
	ds_read2_b32 v[76:77], v119 offset1:1
	v_dot4c_i32_i8_e32 v147, v84, v19
	ds_read2_b32 v[84:85], v120 offset1:1
	ds_read2_b32 v[142:143], v121 offset1:1
	;; [unrolled: 1-line block ×3, first 2 shown]
	v_cvt_f32_f16_sdwa v72, v2 dst_sel:DWORD dst_unused:UNUSED_PAD src0_sel:WORD_1
	v_cvt_f32_f16_e32 v2, v2
	s_waitcnt lgkmcnt(3)
	v_and_b32_e32 v148, 0xf0f0f0f, v76
	v_lshrrev_b32_e32 v76, 4, v76
	v_and_b32_e32 v76, 0xf0f0f0f, v76
	v_dot4c_i32_i8_e32 v147, v148, v16
	v_dot4c_i32_i8_e32 v147, v76, v20
	v_and_b32_e32 v76, 0xf0f0f0f, v77
	v_lshrrev_b32_e32 v77, 4, v77
	v_and_b32_e32 v77, 0xf0f0f0f, v77
	v_dot4c_i32_i8_e32 v147, v76, v17
	v_dot4c_i32_i8_e32 v147, v77, v21
	v_cvt_f32_i32_e32 v76, v146
	s_waitcnt lgkmcnt(2)
	v_and_b32_e32 v146, 0xf0f0f0f, v84
	v_lshrrev_b32_e32 v84, 4, v84
	v_cvt_f32_i32_e32 v77, v147
	v_mov_b32_e32 v147, 0
	v_and_b32_e32 v84, 0xf0f0f0f, v84
	v_dot4c_i32_i8_e32 v147, v146, v14
	v_dot4c_i32_i8_e32 v147, v84, v18
	v_and_b32_e32 v84, 0xf0f0f0f, v85
	v_lshrrev_b32_e32 v85, 4, v85
	v_and_b32_e32 v85, 0xf0f0f0f, v85
	v_dot4c_i32_i8_e32 v147, v84, v15
	v_dot4c_i32_i8_e32 v147, v85, v19
	s_waitcnt lgkmcnt(1)
	v_and_b32_e32 v84, 0xf0f0f0f, v142
	v_lshrrev_b32_e32 v85, 4, v142
	v_and_b32_e32 v85, 0xf0f0f0f, v85
	v_dot4c_i32_i8_e32 v147, v84, v16
	v_dot4c_i32_i8_e32 v147, v85, v20
	v_and_b32_e32 v84, 0xf0f0f0f, v143
	v_lshrrev_b32_e32 v85, 4, v143
	v_and_b32_e32 v85, 0xf0f0f0f, v85
	v_dot4c_i32_i8_e32 v147, v84, v17
	v_dot4c_i32_i8_e32 v147, v85, v21
	s_waitcnt lgkmcnt(0)
	v_and_b32_e32 v84, 0xf0f0f0f, v144
	v_lshrrev_b32_e32 v85, 4, v144
	v_mov_b32_e32 v146, 0
	v_and_b32_e32 v85, 0xf0f0f0f, v85
	v_dot4c_i32_i8_e32 v146, v84, v14
	v_dot4c_i32_i8_e32 v146, v85, v18
	v_and_b32_e32 v14, 0xf0f0f0f, v145
	v_dot4c_i32_i8_e32 v146, v14, v15
	ds_read2_b32 v[14:15], v123 offset1:1
	v_lshrrev_b32_e32 v18, 4, v145
	v_and_b32_e32 v18, 0xf0f0f0f, v18
	v_dot4c_i32_i8_e32 v146, v18, v19
	ds_read2_b32 v[84:85], v124 offset1:1
	ds_read2_b32 v[142:143], v125 offset1:1
	;; [unrolled: 1-line block ×3, first 2 shown]
	s_waitcnt lgkmcnt(3)
	v_and_b32_e32 v18, 0xf0f0f0f, v14
	v_lshrrev_b32_e32 v14, 4, v14
	v_and_b32_e32 v14, 0xf0f0f0f, v14
	v_dot4c_i32_i8_e32 v146, v18, v16
	v_dot4c_i32_i8_e32 v146, v14, v20
	v_and_b32_e32 v14, 0xf0f0f0f, v15
	v_lshrrev_b32_e32 v15, 4, v15
	v_and_b32_e32 v15, 0xf0f0f0f, v15
	v_dot4c_i32_i8_e32 v146, v14, v17
	v_dot4c_i32_i8_e32 v146, v15, v21
	v_cvt_f32_f16_sdwa v15, v3 dst_sel:DWORD dst_unused:UNUSED_PAD src0_sel:WORD_1
	v_cvt_f32_f16_e32 v14, v3
	v_and_b32_e32 v3, 0xf0f0f0f, v78
	v_mov_b32_e32 v17, 0
	v_mul_f32_e32 v16, 0x41000000, v15
	v_lshrrev_b32_e32 v15, 4, v78
	v_and_b32_e32 v15, 0xf0f0f0f, v15
	v_dot4c_i32_i8_e32 v17, v3, v6
	v_dot4c_i32_i8_e32 v17, v15, v10
	v_and_b32_e32 v3, 0xf0f0f0f, v79
	v_lshrrev_b32_e32 v15, 4, v79
	v_and_b32_e32 v15, 0xf0f0f0f, v15
	v_dot4c_i32_i8_e32 v17, v3, v7
	v_dot4c_i32_i8_e32 v17, v15, v11
	v_and_b32_e32 v3, 0xf0f0f0f, v80
	;; [unrolled: 5-line block ×3, first 2 shown]
	v_lshrrev_b32_e32 v15, 4, v81
	v_and_b32_e32 v15, 0xf0f0f0f, v15
	v_dot4c_i32_i8_e32 v17, v3, v9
	v_dot4c_i32_i8_e32 v17, v15, v13
	s_waitcnt lgkmcnt(2)
	v_and_b32_e32 v3, 0xf0f0f0f, v84
	v_lshrrev_b32_e32 v15, 4, v84
	v_mov_b32_e32 v20, 0
	v_and_b32_e32 v15, 0xf0f0f0f, v15
	v_dot4c_i32_i8_e32 v20, v3, v6
	v_dot4c_i32_i8_e32 v20, v15, v10
	v_and_b32_e32 v3, 0xf0f0f0f, v85
	v_lshrrev_b32_e32 v15, 4, v85
	v_and_b32_e32 v15, 0xf0f0f0f, v15
	v_dot4c_i32_i8_e32 v20, v3, v7
	v_dot4c_i32_i8_e32 v20, v15, v11
	s_waitcnt lgkmcnt(1)
	v_and_b32_e32 v3, 0xf0f0f0f, v142
	v_lshrrev_b32_e32 v15, 4, v142
	v_and_b32_e32 v15, 0xf0f0f0f, v15
	v_dot4c_i32_i8_e32 v20, v3, v8
	v_dot4c_i32_i8_e32 v20, v15, v12
	v_and_b32_e32 v3, 0xf0f0f0f, v143
	v_lshrrev_b32_e32 v15, 4, v143
	v_and_b32_e32 v15, 0xf0f0f0f, v15
	v_dot4c_i32_i8_e32 v20, v3, v9
	v_dot4c_i32_i8_e32 v20, v15, v13
	ds_read2_b32 v[78:79], v127 offset1:1
	s_waitcnt lgkmcnt(1)
	v_and_b32_e32 v3, 0xf0f0f0f, v144
	v_lshrrev_b32_e32 v15, 4, v144
	v_cvt_f32_i32_e32 v21, v20
	v_cvt_f32_i32_e32 v20, v17
	v_mov_b32_e32 v17, 0
	v_and_b32_e32 v15, 0xf0f0f0f, v15
	v_dot4c_i32_i8_e32 v17, v3, v6
	v_dot4c_i32_i8_e32 v17, v15, v10
	v_and_b32_e32 v3, 0xf0f0f0f, v145
	v_lshrrev_b32_e32 v15, 4, v145
	v_and_b32_e32 v15, 0xf0f0f0f, v15
	v_dot4c_i32_i8_e32 v17, v3, v7
	v_dot4c_i32_i8_e32 v17, v15, v11
	s_waitcnt lgkmcnt(0)
	v_and_b32_e32 v3, 0xf0f0f0f, v78
	v_lshrrev_b32_e32 v15, 4, v78
	ds_read2_b32 v[80:81], v128 offset1:1
	ds_read2_b32 v[84:85], v129 offset1:1
	;; [unrolled: 1-line block ×3, first 2 shown]
	v_and_b32_e32 v15, 0xf0f0f0f, v15
	v_dot4c_i32_i8_e32 v17, v3, v8
	v_dot4c_i32_i8_e32 v17, v15, v12
	v_and_b32_e32 v3, 0xf0f0f0f, v79
	v_lshrrev_b32_e32 v15, 4, v79
	v_and_b32_e32 v15, 0xf0f0f0f, v15
	v_dot4c_i32_i8_e32 v17, v3, v9
	v_dot4c_i32_i8_e32 v17, v15, v13
	s_waitcnt lgkmcnt(2)
	v_and_b32_e32 v3, 0xf0f0f0f, v80
	v_lshrrev_b32_e32 v15, 4, v80
	v_mov_b32_e32 v78, 0
	v_and_b32_e32 v15, 0xf0f0f0f, v15
	v_dot4c_i32_i8_e32 v78, v3, v6
	v_dot4c_i32_i8_e32 v78, v15, v10
	v_and_b32_e32 v3, 0xf0f0f0f, v81
	v_lshrrev_b32_e32 v6, 4, v81
	v_and_b32_e32 v6, 0xf0f0f0f, v6
	v_dot4c_i32_i8_e32 v78, v3, v7
	v_dot4c_i32_i8_e32 v78, v6, v11
	s_waitcnt lgkmcnt(1)
	v_and_b32_e32 v3, 0xf0f0f0f, v84
	v_lshrrev_b32_e32 v6, 4, v84
	v_and_b32_e32 v6, 0xf0f0f0f, v6
	v_dot4c_i32_i8_e32 v78, v3, v8
	v_dot4c_i32_i8_e32 v78, v6, v12
	v_and_b32_e32 v3, 0xf0f0f0f, v85
	v_lshrrev_b32_e32 v6, 4, v85
	v_dot4c_i32_i8_e32 v78, v3, v9
	v_cvt_f32_f16_sdwa v3, v4 dst_sel:DWORD dst_unused:UNUSED_PAD src0_sel:WORD_1
	v_cvt_f32_i32_e32 v19, v146
	v_cvt_f32_i32_e32 v18, v147
	v_and_b32_e32 v6, 0xf0f0f0f, v6
	ds_read_b128 v[142:145], v104 offset:64
	ds_read_b128 v[146:149], v104 offset:80
	v_dot4c_i32_i8_e32 v78, v6, v13
	v_mul_f32_e32 v8, 0x41000000, v3
	v_and_b32_e32 v3, 0xf0f0f0f, v82
	v_lshrrev_b32_e32 v9, 4, v82
	v_cvt_f32_i32_e32 v7, v78
	ds_read2_b32 v[10:11], v109 offset1:1
	ds_read2_b32 v[78:79], v108 offset0:2 offset1:3
	ds_read2_b32 v[84:85], v108 offset1:1
	ds_read2_b32 v[80:81], v107 offset0:2 offset1:3
	ds_read2_b32 v[12:13], v106 offset0:10 offset1:11
	v_mov_b32_e32 v15, 0
	v_and_b32_e32 v9, 0xf0f0f0f, v9
	s_waitcnt lgkmcnt(6)
	v_dot4c_i32_i8_e32 v15, v3, v142
	s_waitcnt lgkmcnt(5)
	v_dot4c_i32_i8_e32 v15, v9, v146
	v_and_b32_e32 v3, 0xf0f0f0f, v83
	v_lshrrev_b32_e32 v9, 4, v83
	v_and_b32_e32 v9, 0xf0f0f0f, v9
	v_dot4c_i32_i8_e32 v15, v3, v143
	v_dot4c_i32_i8_e32 v15, v9, v147
	s_waitcnt lgkmcnt(0)
	v_and_b32_e32 v3, 0xf0f0f0f, v12
	v_lshrrev_b32_e32 v9, 4, v12
	v_and_b32_e32 v9, 0xf0f0f0f, v9
	v_dot4c_i32_i8_e32 v15, v3, v144
	v_dot4c_i32_i8_e32 v15, v9, v148
	v_and_b32_e32 v3, 0xf0f0f0f, v13
	v_lshrrev_b32_e32 v9, 4, v13
	ds_read2_b32 v[152:153], v106 offset0:12 offset1:13
	ds_read2_b32 v[154:155], v107 offset1:1
	ds_read2_b32 v[156:157], v106 offset0:14 offset1:15
	v_and_b32_e32 v9, 0xf0f0f0f, v9
	v_dot4c_i32_i8_e32 v15, v3, v145
	ds_read2_b32 v[12:13], v131 offset1:1
	v_cvt_f32_i32_e32 v6, v17
	v_dot4c_i32_i8_e32 v15, v9, v149
	v_and_b32_e32 v3, 0xf0f0f0f, v150
	v_lshrrev_b32_e32 v9, 4, v150
	v_mov_b32_e32 v17, 0
	v_and_b32_e32 v9, 0xf0f0f0f, v9
	v_dot4c_i32_i8_e32 v17, v3, v142
	v_dot4c_i32_i8_e32 v17, v9, v146
	v_and_b32_e32 v3, 0xf0f0f0f, v151
	v_lshrrev_b32_e32 v9, 4, v151
	v_and_b32_e32 v9, 0xf0f0f0f, v9
	v_dot4c_i32_i8_e32 v17, v3, v143
	v_dot4c_i32_i8_e32 v17, v9, v147
	s_waitcnt lgkmcnt(0)
	v_and_b32_e32 v3, 0xf0f0f0f, v12
	v_lshrrev_b32_e32 v9, 4, v12
	ds_read2_b32 v[150:151], v132 offset1:1
	ds_read2_b32 v[158:159], v133 offset1:1
	;; [unrolled: 1-line block ×3, first 2 shown]
	v_and_b32_e32 v9, 0xf0f0f0f, v9
	v_dot4c_i32_i8_e32 v17, v3, v144
	v_dot4c_i32_i8_e32 v17, v9, v148
	v_and_b32_e32 v3, 0xf0f0f0f, v13
	v_lshrrev_b32_e32 v9, 4, v13
	v_and_b32_e32 v9, 0xf0f0f0f, v9
	v_dot4c_i32_i8_e32 v17, v3, v145
	v_dot4c_i32_i8_e32 v17, v9, v149
	s_waitcnt lgkmcnt(2)
	v_and_b32_e32 v3, 0xf0f0f0f, v150
	v_lshrrev_b32_e32 v9, 4, v150
	v_and_b32_e32 v9, 0xf0f0f0f, v9
	v_dot4c_i32_i8_e32 v163, v3, v142
	v_dot4c_i32_i8_e32 v163, v9, v146
	v_and_b32_e32 v3, 0xf0f0f0f, v151
	v_lshrrev_b32_e32 v9, 4, v151
	v_and_b32_e32 v9, 0xf0f0f0f, v9
	v_dot4c_i32_i8_e32 v163, v3, v143
	v_dot4c_i32_i8_e32 v163, v9, v147
	s_waitcnt lgkmcnt(1)
	v_and_b32_e32 v3, 0xf0f0f0f, v158
	v_lshrrev_b32_e32 v9, 4, v158
	;; [unrolled: 11-line block ×3, first 2 shown]
	v_and_b32_e32 v9, 0xf0f0f0f, v9
	v_dot4c_i32_i8_e32 v165, v3, v142
	v_dot4c_i32_i8_e32 v165, v9, v146
	v_and_b32_e32 v3, 0xf0f0f0f, v161
	ds_read2_b32 v[82:83], v110 offset1:1
	ds_read2_b32 v[12:13], v109 offset0:2 offset1:3
	v_dot4c_i32_i8_e32 v165, v3, v143
	ds_read2_b32 v[142:143], v135 offset1:1
	v_lshrrev_b32_e32 v9, 4, v161
	v_and_b32_e32 v9, 0xf0f0f0f, v9
	v_dot4c_i32_i8_e32 v165, v9, v147
	ds_read2_b32 v[150:151], v136 offset1:1
	ds_read2_b32 v[158:159], v137 offset1:1
	;; [unrolled: 1-line block ×3, first 2 shown]
	s_waitcnt lgkmcnt(3)
	v_and_b32_e32 v3, 0xf0f0f0f, v142
	v_lshrrev_b32_e32 v9, 4, v142
	v_and_b32_e32 v9, 0xf0f0f0f, v9
	v_dot4c_i32_i8_e32 v165, v3, v144
	v_dot4c_i32_i8_e32 v165, v9, v148
	v_and_b32_e32 v3, 0xf0f0f0f, v143
	v_lshrrev_b32_e32 v9, 4, v143
	v_and_b32_e32 v9, 0xf0f0f0f, v9
	v_dot4c_i32_i8_e32 v165, v3, v145
	v_cvt_f32_f16_sdwa v3, v5 dst_sel:DWORD dst_unused:UNUSED_PAD src0_sel:WORD_1
	v_dot4c_i32_i8_e32 v165, v9, v149
	ds_read_b128 v[142:145], v104 offset:96
	ds_read_b128 v[146:149], v104 offset:112
	v_lshrrev_b32_e32 v5, 4, v152
	v_mul_f32_e32 v164, 0x41000000, v3
	v_and_b32_e32 v3, 0xf0f0f0f, v152
	v_mov_b32_e32 v9, 0
	v_and_b32_e32 v5, 0xf0f0f0f, v5
	s_waitcnt lgkmcnt(1)
	v_dot4c_i32_i8_e32 v9, v3, v142
	s_waitcnt lgkmcnt(0)
	v_dot4c_i32_i8_e32 v9, v5, v146
	v_and_b32_e32 v3, 0xf0f0f0f, v153
	v_lshrrev_b32_e32 v5, 4, v153
	v_and_b32_e32 v5, 0xf0f0f0f, v5
	v_dot4c_i32_i8_e32 v9, v3, v143
	v_dot4c_i32_i8_e32 v9, v5, v147
	v_and_b32_e32 v3, 0xf0f0f0f, v156
	v_lshrrev_b32_e32 v5, 4, v156
	v_and_b32_e32 v5, 0xf0f0f0f, v5
	v_dot4c_i32_i8_e32 v9, v3, v144
	;; [unrolled: 5-line block ×3, first 2 shown]
	v_dot4c_i32_i8_e32 v9, v5, v149
	v_and_b32_e32 v3, 0xf0f0f0f, v150
	v_lshrrev_b32_e32 v5, 4, v150
	v_mov_b32_e32 v152, 0
	v_and_b32_e32 v5, 0xf0f0f0f, v5
	v_dot4c_i32_i8_e32 v152, v3, v142
	v_dot4c_i32_i8_e32 v152, v5, v146
	v_and_b32_e32 v3, 0xf0f0f0f, v151
	v_lshrrev_b32_e32 v5, 4, v151
	v_and_b32_e32 v5, 0xf0f0f0f, v5
	v_dot4c_i32_i8_e32 v152, v3, v143
	v_dot4c_i32_i8_e32 v152, v5, v147
	v_and_b32_e32 v3, 0xf0f0f0f, v158
	v_mul_f32_e32 v72, 0x41000000, v72
	v_dot4c_i32_i8_e32 v152, v3, v144
	v_and_b32_e32 v3, 0xf0f0f0f, v159
	v_lshrrev_b32_e32 v5, 4, v158
	v_pk_fma_f32 v[76:77], v[2:3], v[76:77], v[72:73] op_sel_hi:[0,1,0] neg_lo:[0,0,1] neg_hi:[0,0,1]
	v_mov_b32_e32 v150, v154
	v_mov_b32_e32 v151, v84
	v_cvt_f32_f16_e32 v4, v4
	v_and_b32_e32 v5, 0xf0f0f0f, v5
	v_pk_fma_f32 v[22:23], v[150:151], v[76:77], v[22:23]
	v_cvt_f32_i32_e32 v77, v17
	v_cvt_f32_i32_e32 v76, v15
	v_dot4c_i32_i8_e32 v152, v5, v148
	v_lshrrev_b32_e32 v5, 4, v159
	v_and_b32_e32 v5, 0xf0f0f0f, v5
	v_dot4c_i32_i8_e32 v152, v3, v145
	v_dot4c_i32_i8_e32 v152, v5, v149
	v_pk_fma_f32 v[20:21], v[14:15], v[20:21], v[16:17] op_sel_hi:[0,1,0] neg_lo:[0,0,1] neg_hi:[0,0,1]
	v_mov_b32_e32 v84, v155
	v_pk_fma_f32 v[20:21], v[84:85], v[20:21], v[22:23]
	v_pk_fma_f32 v[22:23], v[4:5], v[76:77], v[8:9] op_sel_hi:[0,1,0] neg_lo:[0,0,1] neg_hi:[0,0,1]
	v_cvt_f32_i32_e32 v77, v152
	v_cvt_f32_i32_e32 v76, v9
	v_mov_b32_e32 v84, v80
	v_mov_b32_e32 v85, v78
	v_pk_fma_f32 v[20:21], v[84:85], v[22:23], v[20:21]
	v_pk_fma_f32 v[22:23], v[162:163], v[76:77], v[164:165] op_sel_hi:[0,1,0] neg_lo:[0,0,1] neg_hi:[0,0,1]
	v_mov_b32_e32 v78, v81
	v_pk_fma_f32 v[22:23], v[78:79], v[22:23], v[20:21]
	ds_read2_b32 v[20:21], v139 offset1:1
	v_and_b32_e32 v3, 0xf0f0f0f, v160
	v_lshrrev_b32_e32 v5, 4, v160
	v_mov_b32_e32 v9, 0
	v_and_b32_e32 v5, 0xf0f0f0f, v5
	v_dot4c_i32_i8_e32 v9, v3, v142
	v_dot4c_i32_i8_e32 v9, v5, v146
	v_and_b32_e32 v3, 0xf0f0f0f, v161
	v_lshrrev_b32_e32 v5, 4, v161
	v_and_b32_e32 v5, 0xf0f0f0f, v5
	v_dot4c_i32_i8_e32 v9, v3, v143
	v_dot4c_i32_i8_e32 v9, v5, v147
	ds_read2_b32 v[76:77], v140 offset1:1
	ds_read2_b32 v[78:79], v141 offset1:1
	s_waitcnt lgkmcnt(2)
	v_and_b32_e32 v3, 0xf0f0f0f, v20
	v_lshrrev_b32_e32 v5, 4, v20
	v_and_b32_e32 v5, 0xf0f0f0f, v5
	v_dot4c_i32_i8_e32 v9, v3, v144
	v_dot4c_i32_i8_e32 v9, v5, v148
	v_and_b32_e32 v3, 0xf0f0f0f, v21
	v_lshrrev_b32_e32 v5, 4, v21
	v_and_b32_e32 v5, 0xf0f0f0f, v5
	v_dot4c_i32_i8_e32 v9, v3, v145
	v_dot4c_i32_i8_e32 v9, v5, v149
	s_waitcnt lgkmcnt(1)
	v_and_b32_e32 v3, 0xf0f0f0f, v76
	v_lshrrev_b32_e32 v5, 4, v76
	v_mov_b32_e32 v15, 0
	v_and_b32_e32 v5, 0xf0f0f0f, v5
	v_dot4c_i32_i8_e32 v15, v3, v142
	v_dot4c_i32_i8_e32 v15, v5, v146
	v_and_b32_e32 v3, 0xf0f0f0f, v77
	v_lshrrev_b32_e32 v5, 4, v77
	v_and_b32_e32 v5, 0xf0f0f0f, v5
	v_dot4c_i32_i8_e32 v15, v3, v143
	v_dot4c_i32_i8_e32 v15, v5, v147
	s_waitcnt lgkmcnt(0)
	v_and_b32_e32 v3, 0xf0f0f0f, v78
	v_lshrrev_b32_e32 v5, 4, v78
	v_and_b32_e32 v5, 0xf0f0f0f, v5
	v_dot4c_i32_i8_e32 v15, v3, v144
	v_dot4c_i32_i8_e32 v15, v5, v148
	v_and_b32_e32 v3, 0xf0f0f0f, v79
	v_lshrrev_b32_e32 v5, 4, v79
	v_and_b32_e32 v5, 0xf0f0f0f, v5
	v_dot4c_i32_i8_e32 v15, v3, v145
	v_dot4c_i32_i8_e32 v15, v5, v149
	v_pk_fma_f32 v[2:3], v[2:3], v[18:19], v[72:73] op_sel_hi:[0,1,0] neg_lo:[0,0,1] neg_hi:[0,0,1]
	v_mov_b32_e32 v18, v10
	v_mov_b32_e32 v19, v82
	v_pk_fma_f32 v[2:3], v[18:19], v[2:3], v[70:71]
	v_cvt_f32_i32_e32 v19, v165
	v_cvt_f32_i32_e32 v18, v163
	v_pk_fma_f32 v[6:7], v[14:15], v[6:7], v[16:17] op_sel_hi:[0,1,0] neg_lo:[0,0,1] neg_hi:[0,0,1]
	v_mov_b32_e32 v82, v11
	v_pk_fma_f32 v[2:3], v[82:83], v[6:7], v[2:3]
	v_cvt_f32_i32_e32 v7, v15
	v_cvt_f32_i32_e32 v6, v9
	v_pk_fma_f32 v[4:5], v[4:5], v[18:19], v[8:9] op_sel_hi:[0,1,0] neg_lo:[0,0,1] neg_hi:[0,0,1]
	v_mov_b32_e32 v8, v12
	v_mov_b32_e32 v9, v74
	v_pk_fma_f32 v[2:3], v[8:9], v[4:5], v[2:3]
	v_pk_fma_f32 v[4:5], v[162:163], v[6:7], v[164:165] op_sel_hi:[0,1,0] neg_lo:[0,0,1] neg_hi:[0,0,1]
	v_mov_b32_e32 v74, v13
	v_pk_fma_f32 v[70:71], v[74:75], v[4:5], v[2:3]
	s_cmp_ge_i32 s24, s15
	s_barrier
	s_cbranch_scc1 .LBB177_5
; %bb.13:                               ;   in Loop: Header=BB177_6 Depth=1
	v_add_u32_e32 v2, s14, v111
	v_cmp_gt_i32_e64 s[2:3], s5, v2
	s_and_b64 s[20:21], s[0:1], s[2:3]
	s_and_saveexec_b64 s[2:3], s[20:21]
	s_cbranch_execz .LBB177_15
; %bb.14:                               ;   in Loop: Header=BB177_6 Depth=1
	v_add_u32_e32 v2, s14, v112
	v_mad_i64_i32 v[2:3], s[20:21], v2, 36, v[26:27]
	global_load_dword v2, v[2:3], off offset:4
	s_waitcnt vmcnt(0)
	ds_write_b32 v102, v2
.LBB177_15:                             ;   in Loop: Header=BB177_6 Depth=1
	s_or_b64 exec, exec, s[2:3]
	s_and_saveexec_b64 s[20:21], vcc
	s_cbranch_execz .LBB177_4
; %bb.16:                               ;   in Loop: Header=BB177_6 Depth=1
	v_add3_u32 v2, v24, s14, 4
	v_cmp_gt_i32_e64 s[2:3], s5, v2
	s_and_b64 s[2:3], s[0:1], s[2:3]
	s_and_b64 exec, exec, s[2:3]
	s_cbranch_execz .LBB177_4
; %bb.17:                               ;   in Loop: Header=BB177_6 Depth=1
	global_load_dword v2, v[28:29], off
	s_waitcnt vmcnt(0)
	ds_write_b32 v103, v2
	s_branch .LBB177_4
.LBB177_18:
	v_mov_b32_e32 v70, v71
	v_mov_b32_e32 v23, v71
	;; [unrolled: 1-line block ×3, first 2 shown]
.LBB177_19:
	s_mul_i32 s0, s7, s4
	s_waitcnt vmcnt(0)
	v_cmp_gt_i32_e32 vcc, s0, v1
	s_and_saveexec_b64 s[0:1], vcc
	s_cbranch_execz .LBB177_28
; %bb.20:
	v_and_b32_e32 v0, 0x3ff, v0
	v_add_u32_e32 v2, s22, v0
	v_mul_lo_u32 v0, v1, s6
	v_cmp_gt_u32_e32 vcc, s6, v2
	s_and_saveexec_b64 s[0:1], vcc
	s_cbranch_execz .LBB177_22
; %bb.21:
	v_add_u32_e32 v4, v0, v2
	v_mov_b32_e32 v5, 0
	v_lshl_add_u64 v[4:5], v[4:5], 2, s[12:13]
	global_store_dword v[4:5], v22, off
.LBB177_22:
	s_or_b64 exec, exec, s[0:1]
	v_add_u32_e32 v1, 32, v2
	v_cmp_gt_u32_e32 vcc, s6, v1
	s_and_saveexec_b64 s[0:1], vcc
	s_cbranch_execz .LBB177_24
; %bb.23:
	v_add_u32_e32 v4, v0, v1
	v_mov_b32_e32 v5, 0
	v_lshl_add_u64 v[4:5], v[4:5], 2, s[12:13]
	global_store_dword v[4:5], v23, off
.LBB177_24:
	s_or_b64 exec, exec, s[0:1]
	v_add_u32_e32 v1, 64, v2
	;; [unrolled: 11-line block ×3, first 2 shown]
	v_cmp_gt_u32_e32 vcc, s6, v1
	s_and_b64 exec, exec, vcc
	s_cbranch_execz .LBB177_28
; %bb.27:
	v_add_u32_e32 v0, v0, v1
	v_mov_b32_e32 v1, 0
	v_lshl_add_u64 v[0:1], v[0:1], 2, s[12:13]
	global_store_dword v[0:1], v71, off
.LBB177_28:
	s_endpgm
	.section	.rodata,"a",@progbits
	.p2align	6, 0x0
	.amdhsa_kernel _ZL8moe_q4_0IfLb0EEvPKvS1_PT_PKiS5_S5_iiiiiii
		.amdhsa_group_segment_fixed_size 22272
		.amdhsa_private_segment_fixed_size 0
		.amdhsa_kernarg_size 76
		.amdhsa_user_sgpr_count 2
		.amdhsa_user_sgpr_dispatch_ptr 0
		.amdhsa_user_sgpr_queue_ptr 0
		.amdhsa_user_sgpr_kernarg_segment_ptr 1
		.amdhsa_user_sgpr_dispatch_id 0
		.amdhsa_user_sgpr_kernarg_preload_length 0
		.amdhsa_user_sgpr_kernarg_preload_offset 0
		.amdhsa_user_sgpr_private_segment_size 0
		.amdhsa_uses_dynamic_stack 0
		.amdhsa_enable_private_segment 0
		.amdhsa_system_sgpr_workgroup_id_x 1
		.amdhsa_system_sgpr_workgroup_id_y 1
		.amdhsa_system_sgpr_workgroup_id_z 0
		.amdhsa_system_sgpr_workgroup_info 0
		.amdhsa_system_vgpr_workitem_id 1
		.amdhsa_next_free_vgpr 167
		.amdhsa_next_free_sgpr 25
		.amdhsa_accum_offset 168
		.amdhsa_reserve_vcc 1
		.amdhsa_float_round_mode_32 0
		.amdhsa_float_round_mode_16_64 0
		.amdhsa_float_denorm_mode_32 3
		.amdhsa_float_denorm_mode_16_64 3
		.amdhsa_dx10_clamp 1
		.amdhsa_ieee_mode 1
		.amdhsa_fp16_overflow 0
		.amdhsa_tg_split 0
		.amdhsa_exception_fp_ieee_invalid_op 0
		.amdhsa_exception_fp_denorm_src 0
		.amdhsa_exception_fp_ieee_div_zero 0
		.amdhsa_exception_fp_ieee_overflow 0
		.amdhsa_exception_fp_ieee_underflow 0
		.amdhsa_exception_fp_ieee_inexact 0
		.amdhsa_exception_int_div_zero 0
	.end_amdhsa_kernel
	.section	.text._ZL8moe_q4_0IfLb0EEvPKvS1_PT_PKiS5_S5_iiiiiii,"axG",@progbits,_ZL8moe_q4_0IfLb0EEvPKvS1_PT_PKiS5_S5_iiiiiii,comdat
.Lfunc_end177:
	.size	_ZL8moe_q4_0IfLb0EEvPKvS1_PT_PKiS5_S5_iiiiiii, .Lfunc_end177-_ZL8moe_q4_0IfLb0EEvPKvS1_PT_PKiS5_S5_iiiiiii
                                        ; -- End function
	.section	.AMDGPU.csdata,"",@progbits
; Kernel info:
; codeLenInByte = 8744
; NumSgprs: 31
; NumVgprs: 167
; NumAgprs: 0
; TotalNumVgprs: 167
; ScratchSize: 0
; MemoryBound: 0
; FloatMode: 240
; IeeeMode: 1
; LDSByteSize: 22272 bytes/workgroup (compile time only)
; SGPRBlocks: 3
; VGPRBlocks: 20
; NumSGPRsForWavesPerEU: 31
; NumVGPRsForWavesPerEU: 167
; AccumOffset: 168
; Occupancy: 2
; WaveLimiterHint : 1
; COMPUTE_PGM_RSRC2:SCRATCH_EN: 0
; COMPUTE_PGM_RSRC2:USER_SGPR: 2
; COMPUTE_PGM_RSRC2:TRAP_HANDLER: 0
; COMPUTE_PGM_RSRC2:TGID_X_EN: 1
; COMPUTE_PGM_RSRC2:TGID_Y_EN: 1
; COMPUTE_PGM_RSRC2:TGID_Z_EN: 0
; COMPUTE_PGM_RSRC2:TIDIG_COMP_CNT: 1
; COMPUTE_PGM_RSRC3_GFX90A:ACCUM_OFFSET: 41
; COMPUTE_PGM_RSRC3_GFX90A:TG_SPLIT: 0
	.section	.text._ZL8moe_q4_0IfLb1EEvPKvS1_PT_PKiS5_S5_iiiiiii,"axG",@progbits,_ZL8moe_q4_0IfLb1EEvPKvS1_PT_PKiS5_S5_iiiiiii,comdat
	.globl	_ZL8moe_q4_0IfLb1EEvPKvS1_PT_PKiS5_S5_iiiiiii ; -- Begin function _ZL8moe_q4_0IfLb1EEvPKvS1_PT_PKiS5_S5_iiiiiii
	.p2align	8
	.type	_ZL8moe_q4_0IfLb1EEvPKvS1_PT_PKiS5_S5_iiiiiii,@function
_ZL8moe_q4_0IfLb1EEvPKvS1_PT_PKiS5_S5_iiiiiii: ; @_ZL8moe_q4_0IfLb1EEvPKvS1_PT_PKiS5_S5_iiiiiii
; %bb.0:
	s_load_dwordx4 s[4:7], s[0:1], 0x18
	s_mov_b32 s8, s3
	s_mov_b32 s9, 0
	s_lshl_b64 s[10:11], s[8:9], 2
	s_waitcnt lgkmcnt(0)
	s_add_u32 s6, s6, s10
	s_addc_u32 s7, s7, s11
	s_load_dword s3, s[6:7], 0x0
	s_waitcnt lgkmcnt(0)
	s_cmpk_gt_u32 s3, 0xff
	s_cbranch_scc1 .LBB178_28
; %bb.1:
	s_load_dwordx2 s[6:7], s[0:1], 0x28
	s_waitcnt lgkmcnt(0)
	s_load_dword s7, s[6:7], 0x0
	s_lshl_b32 s6, s8, 3
	s_waitcnt lgkmcnt(0)
	s_cmp_gt_u32 s6, s7
	s_cbranch_scc1 .LBB178_28
; %bb.2:
	v_bfe_u32 v2, v0, 10, 10
	v_mov_b32_e32 v4, s4
	v_mov_b32_e32 v5, s5
	v_add_u32_e32 v102, s6, v2
	v_mov_b32_e32 v103, 0
	v_lshl_add_u64 v[4:5], v[102:103], 2, v[4:5]
	global_load_dword v1, v[4:5], off
	s_load_dwordx8 s[4:11], s[0:1], 0x30
	s_load_dwordx2 s[16:17], s[0:1], 0x10
	s_waitcnt lgkmcnt(0)
	s_lshl_b32 s11, s2, 7
	s_cmp_lt_i32 s5, 32
	s_cbranch_scc1 .LBB178_18
; %bb.3:
	s_load_dwordx4 s[12:15], s[0:1], 0x0
	s_ashr_i32 s0, s5, 31
	s_lshr_b32 s0, s0, 27
	s_add_i32 s0, s5, s0
	s_ashr_i32 s24, s0, 5
	s_ashr_i32 s0, s8, 31
	s_lshr_b32 s0, s0, 27
	s_add_i32 s0, s8, s0
	s_ashr_i32 s8, s0, 5
	s_not_b32 s0, s11
	s_mul_i32 s18, s3, s4
	s_add_i32 s3, s0, s6
	v_and_b32_e32 v24, 0x3ff, v0
	v_lshlrev_b32_e32 v4, 2, v24
	v_min_i32_e32 v3, s3, v2
	s_movk_i32 s6, 0x84
	v_mul_lo_u32 v9, v3, s24
	v_mad_u64_u32 v[26:27], s[0:1], v3, s6, v[4:5]
	v_add_u32_e32 v3, 8, v2
	v_min_i32_e32 v3, s3, v3
	v_mul_lo_u32 v10, v3, s24
	v_mad_u64_u32 v[28:29], s[0:1], v3, s6, v[4:5]
	v_add_u32_e32 v3, 16, v2
	v_min_i32_e32 v3, s3, v3
	;; [unrolled: 4-line block ×15, first 2 shown]
	v_mul_lo_u32 v55, v3, s24
	v_mad_u64_u32 v[56:57], s[0:1], v3, s6, v[4:5]
	v_lshlrev_b32_e32 v3, 2, v2
	v_lshrrev_b32_e32 v27, 3, v24
	v_add_u32_e32 v5, v27, v3
	v_min_i32_e32 v6, s3, v5
	v_ashrrev_i32_e32 v7, 31, v6
	v_lshrrev_b32_e32 v7, 30, v7
	v_and_b32_e32 v57, 7, v24
	v_mul_lo_u32 v94, v6, s24
	v_add_u32_e32 v7, v6, v7
	v_lshlrev_b32_e32 v103, 5, v6
	v_add_u32_e32 v6, 32, v5
	v_and_b32_e32 v7, -4, v7
	v_lshlrev_b32_e32 v25, 2, v57
	s_movk_i32 s0, 0x4200
	v_min_i32_e32 v6, s3, v6
	v_add3_u32 v102, v7, v25, s0
	v_ashrrev_i32_e32 v7, 31, v6
	v_lshrrev_b32_e32 v7, 30, v7
	v_mul_lo_u32 v96, v6, s24
	v_add_u32_e32 v7, v6, v7
	v_lshlrev_b32_e32 v105, 5, v6
	v_add_u32_e32 v6, 64, v5
	v_and_b32_e32 v7, -4, v7
	v_min_i32_e32 v6, s3, v6
	v_add3_u32 v104, v7, v25, s0
	v_ashrrev_i32_e32 v7, 31, v6
	v_add_u32_e32 v5, 0x60, v5
	v_lshrrev_b32_e32 v7, 30, v7
	v_min_i32_e32 v5, s3, v5
	v_mul_lo_u32 v98, v6, s24
	v_add_u32_e32 v7, v6, v7
	v_lshlrev_b32_e32 v107, 5, v6
	v_ashrrev_i32_e32 v6, 31, v5
	v_lshrrev_b32_e32 v6, 30, v6
	v_mov_b32_e32 v23, 0
	v_add_u32_e32 v6, v5, v6
	v_and_b32_e32 v22, 12, v4
	v_mul_lo_u32 v100, v5, s24
	v_and_b32_e32 v6, -4, v6
	v_lshlrev_b32_e32 v109, 5, v5
	v_and_b32_e32 v4, 28, v4
	v_mov_b32_e32 v5, v23
	v_add3_u32 v108, v6, v25, s0
	v_and_b32_e32 v6, 31, v24
	s_waitcnt lgkmcnt(0)
	v_lshl_add_u64 v[58:59], s[14:15], 0, v[4:5]
	v_lshlrev_b32_e32 v4, 7, v2
	v_lshl_or_b32 v5, v6, 2, v4
	v_add_u32_e32 v29, 0x5280, v5
	v_or_b32_e32 v3, v3, v24
	v_mov_b32_e32 v5, 0x5680
	v_lshl_add_u32 v31, v3, 2, v5
	v_lshl_add_u32 v35, v2, 4, v5
	v_and_b32_e32 v2, 0xfc, v24
	v_lshlrev_b32_e32 v3, 5, v24
	v_add3_u32 v39, v3, v2, s0
	v_add_u32_e32 v2, 32, v24
	v_add_u32_e32 v33, 0x5280, v4
	v_and_b32_e32 v3, 0x1fc, v2
	v_lshlrev_b32_e32 v4, 5, v2
	v_add3_u32 v41, v4, v3, s0
	v_add_u32_e32 v3, 64, v24
	v_and_b32_e32 v4, 0x1fc, v3
	v_lshlrev_b32_e32 v3, 5, v3
	s_abs_i32 s3, s10
	v_add3_u32 v43, v3, v4, s0
	v_cvt_f32_u32_e32 v4, s3
	v_add_u32_e32 v3, 0x60, v24
	v_and_b32_e32 v5, 0x1fc, v3
	v_lshlrev_b32_e32 v3, 5, v3
	v_add3_u32 v45, v3, v5, s0
	v_rcp_iflag_f32_e32 v3, v4
	v_and_b32_e32 v7, -4, v7
	v_add3_u32 v106, v7, v25, s0
	s_sub_i32 s0, 0, s3
	v_mul_f32_e32 v3, 0x4f7ffffe, v3
	v_cvt_u32_f32_e32 v3, v3
	s_waitcnt vmcnt(0)
	v_sub_u32_e32 v4, 0, v1
	v_max_i32_e32 v4, v1, v4
	v_lshrrev_b32_e32 v47, 3, v2
	v_mul_lo_u32 v5, s0, v3
	v_mul_hi_u32 v5, v3, v5
	v_add_u32_e32 v3, v3, v5
	v_mul_hi_u32 v3, v4, v3
	v_mul_lo_u32 v5, v3, s3
	v_sub_u32_e32 v4, v4, v5
	v_add_u32_e32 v5, 1, v3
	v_cmp_le_u32_e64 s[0:1], s3, v4
	v_xor_b32_e32 v2, s10, v1
	v_ashrrev_i32_e32 v2, 31, v2
	v_cndmask_b32_e64 v3, v3, v5, s[0:1]
	v_subrev_u32_e32 v5, s3, v4
	v_cndmask_b32_e64 v4, v4, v5, s[0:1]
	v_add_u32_e32 v5, 1, v3
	v_cmp_le_u32_e64 s[0:1], s3, v4
	s_mul_i32 s2, s24, s11
	v_mov_b32_e32 v25, v23
	v_cndmask_b32_e64 v3, v3, v5, s[0:1]
	v_xor_b32_e32 v3, v3, v2
	v_sub_u32_e32 v2, v3, v2
	v_cmp_gt_i32_e64 s[0:1], s7, v2
	v_mul_lo_u32 v2, v2, s8
	v_ashrrev_i32_e32 v3, 31, v2
	s_mul_hi_i32 s3, s2, 18
	s_mul_i32 s6, s2, 18
	v_lshrrev_b32_e32 v8, 2, v24
	v_lshl_add_u64 v[4:5], v[2:3], 0, v[24:25]
	v_add_u32_e32 v25, v24, v2
	v_add_u32_e32 v49, v47, v2
	v_add_u32_e32 v51, v27, v2
	v_mov_b32_e32 v2, s6
	v_mov_b32_e32 v3, s3
	v_mad_u64_u32 v[6:7], s[20:21], v4, 36, s[14:15]
	v_mad_u64_u32 v[2:3], s[22:23], v8, 18, v[2:3]
	v_mad_i32_i24 v7, v5, 36, v7
	v_mad_i64_i32 v[4:5], s[22:23], v9, 18, v[2:3]
	v_lshl_add_u64 v[4:5], v[4:5], 0, v[22:23]
	v_lshl_add_u64 v[4:5], v[4:5], 0, s[12:13]
	v_lshl_add_u64 v[62:63], v[4:5], 0, 2
	v_mad_i64_i32 v[4:5], s[22:23], v10, 18, v[2:3]
	v_lshl_add_u64 v[4:5], v[4:5], 0, v[22:23]
	v_lshl_add_u64 v[4:5], v[4:5], 0, s[12:13]
	v_lshl_add_u64 v[64:65], v[4:5], 0, 2
	;; [unrolled: 4-line block ×14, first 2 shown]
	v_mad_i64_i32 v[4:5], s[22:23], v53, 18, v[2:3]
	v_mad_i64_i32 v[2:3], s[22:23], v55, 18, v[2:3]
	v_lshl_add_u64 v[2:3], v[2:3], 0, v[22:23]
	v_lshl_add_u64 v[2:3], v[2:3], 0, s[12:13]
	;; [unrolled: 1-line block ×3, first 2 shown]
	v_mad_i64_i32 v[2:3], s[22:23], v94, 18, 0
	v_mad_i64_i32 v[2:3], s[22:23], s2, 18, v[2:3]
	v_mad_u64_u32 v[2:3], s[22:23], v57, 18, v[2:3]
	v_lshl_add_u64 v[94:95], s[12:13], 0, v[2:3]
	v_mad_i64_i32 v[2:3], s[22:23], v96, 18, 0
	v_mad_i64_i32 v[2:3], s[22:23], s2, 18, v[2:3]
	v_mad_u64_u32 v[2:3], s[22:23], v57, 18, v[2:3]
	v_lshl_add_u64 v[96:97], s[12:13], 0, v[2:3]
	v_mad_i64_i32 v[2:3], s[22:23], v98, 18, 0
	v_mad_i64_i32 v[2:3], s[22:23], s2, 18, v[2:3]
	v_mad_u64_u32 v[2:3], s[22:23], v57, 18, v[2:3]
	v_lshl_add_u64 v[98:99], s[12:13], 0, v[2:3]
	v_mad_i64_i32 v[2:3], s[22:23], v100, 18, 0
	v_lshl_add_u64 v[4:5], v[4:5], 0, v[22:23]
	v_mad_i64_i32 v[2:3], s[2:3], s2, 18, v[2:3]
	v_mul_u32_u24_e32 v37, 0x84, v24
	s_mov_b64 s[20:21], 0x90
	v_lshl_add_u64 v[4:5], v[4:5], 0, s[12:13]
	v_mad_u64_u32 v[2:3], s[2:3], v57, 18, v[2:3]
	s_ashr_i32 s19, s18, 31
	s_mov_b32 s4, 0
	v_cmp_gt_u32_e32 vcc, 4, v24
	v_lshl_add_u64 v[60:61], v[6:7], 0, s[20:21]
	v_lshl_add_u64 v[90:91], v[4:5], 0, 2
	;; [unrolled: 1-line block ×3, first 2 shown]
	s_movk_i32 s6, 0x80
	v_add_u32_e32 v53, v102, v103
	v_add_u32_e32 v55, v104, v105
	;; [unrolled: 1-line block ×28, first 2 shown]
	s_mov_b64 s[12:13], 0x120
	v_mov_b32_e32 v22, v23
	v_mov_b32_e32 v102, v23
	;; [unrolled: 1-line block ×3, first 2 shown]
	s_branch .LBB178_6
.LBB178_4:                              ;   in Loop: Header=BB178_6 Depth=1
	s_or_b64 exec, exec, s[22:23]
	s_waitcnt lgkmcnt(0)
	s_barrier
	ds_read_b128 v[2:5], v35
	ds_read_b128 v[14:17], v33
	ds_read_b128 v[18:21], v33 offset:16
	ds_read2_b32 v[106:107], v37 offset0:16 offset1:17
	v_mov_b32_e32 v114, 0
	ds_read_b128 v[6:9], v33 offset:32
	ds_read_b128 v[10:13], v33 offset:48
	v_mov_b32_e32 v161, 0
	v_add_u32_e32 v142, 0x2140, v37
	s_waitcnt lgkmcnt(2)
	v_and_b32_e32 v108, 0xf0f0f0f, v106
	v_lshrrev_b32_e32 v106, 4, v106
	v_and_b32_e32 v106, 0xf0f0f0f, v106
	v_dot4c_i32_i8_e32 v114, v108, v14
	v_dot4c_i32_i8_e32 v114, v106, v18
	v_and_b32_e32 v106, 0xf0f0f0f, v107
	v_lshrrev_b32_e32 v107, 4, v107
	v_and_b32_e32 v108, 0xf0f0f0f, v107
	v_dot4c_i32_i8_e32 v114, v106, v15
	ds_read2_b32 v[106:107], v37 offset0:18 offset1:19
	v_dot4c_i32_i8_e32 v114, v108, v19
	ds_read2_b32 v[108:109], v37 offset0:20 offset1:21
	ds_read2_b32 v[110:111], v37 offset0:22 offset1:23
	;; [unrolled: 1-line block ×3, first 2 shown]
	v_add_u32_e32 v144, 0x2148, v37
	v_mov_b32_e32 v162, 0
	s_waitcnt lgkmcnt(3)
	v_and_b32_e32 v115, 0xf0f0f0f, v106
	v_dot4c_i32_i8_e32 v114, v115, v16
	v_add_u32_e32 v115, 0x10c0, v37
	ds_read2_b32 v[116:117], v115 offset1:1
	v_lshrrev_b32_e32 v106, 4, v106
	v_and_b32_e32 v106, 0xf0f0f0f, v106
	v_dot4c_i32_i8_e32 v114, v106, v20
	v_and_b32_e32 v106, 0xf0f0f0f, v107
	v_lshrrev_b32_e32 v107, 4, v107
	v_and_b32_e32 v107, 0xf0f0f0f, v107
	v_dot4c_i32_i8_e32 v114, v106, v17
	v_dot4c_i32_i8_e32 v114, v107, v21
	ds_read2_b32 v[106:107], v45 offset0:6 offset1:7
	s_waitcnt lgkmcnt(1)
	v_and_b32_e32 v115, 0xf0f0f0f, v116
	v_lshrrev_b32_e32 v116, 4, v116
	v_and_b32_e32 v116, 0xf0f0f0f, v116
	v_dot4c_i32_i8_e32 v161, v115, v14
	v_dot4c_i32_i8_e32 v161, v116, v18
	v_and_b32_e32 v115, 0xf0f0f0f, v117
	v_lshrrev_b32_e32 v116, 4, v117
	v_and_b32_e32 v116, 0xf0f0f0f, v116
	v_dot4c_i32_i8_e32 v161, v115, v15
	v_add_u32_e32 v115, 0x10c8, v37
	v_dot4c_i32_i8_e32 v161, v116, v19
	ds_read2_b32 v[116:117], v115 offset1:1
	v_add_u32_e32 v115, 0x31c0, v37
	ds_read2_b32 v[142:143], v142 offset1:1
	ds_read2_b32 v[144:145], v144 offset1:1
	;; [unrolled: 1-line block ×3, first 2 shown]
	v_mov_b32_e32 v163, 0
	v_mov_b32_e32 v164, 0
	s_waitcnt lgkmcnt(3)
	v_and_b32_e32 v115, 0xf0f0f0f, v116
	v_lshrrev_b32_e32 v116, 4, v116
	v_and_b32_e32 v116, 0xf0f0f0f, v116
	v_dot4c_i32_i8_e32 v161, v115, v16
	v_dot4c_i32_i8_e32 v161, v116, v20
	v_and_b32_e32 v115, 0xf0f0f0f, v117
	v_lshrrev_b32_e32 v116, 4, v117
	v_and_b32_e32 v116, 0xf0f0f0f, v116
	v_dot4c_i32_i8_e32 v161, v115, v17
	s_waitcnt lgkmcnt(2)
	v_lshrrev_b32_e32 v115, 4, v142
	v_dot4c_i32_i8_e32 v161, v116, v21
	v_and_b32_e32 v116, 0xf0f0f0f, v142
	v_and_b32_e32 v117, 0xf0f0f0f, v115
	v_mov_b32_e32 v115, 0
	v_dot4c_i32_i8_e32 v115, v116, v14
	v_dot4c_i32_i8_e32 v115, v117, v18
	v_and_b32_e32 v116, 0xf0f0f0f, v143
	v_lshrrev_b32_e32 v117, 4, v143
	v_and_b32_e32 v117, 0xf0f0f0f, v117
	v_dot4c_i32_i8_e32 v115, v116, v15
	v_dot4c_i32_i8_e32 v115, v117, v19
	s_waitcnt lgkmcnt(1)
	v_and_b32_e32 v116, 0xf0f0f0f, v144
	v_lshrrev_b32_e32 v117, 4, v144
	v_and_b32_e32 v117, 0xf0f0f0f, v117
	v_dot4c_i32_i8_e32 v115, v116, v16
	v_dot4c_i32_i8_e32 v115, v117, v20
	v_and_b32_e32 v116, 0xf0f0f0f, v145
	v_lshrrev_b32_e32 v117, 4, v145
	v_and_b32_e32 v117, 0xf0f0f0f, v117
	v_dot4c_i32_i8_e32 v115, v116, v17
	s_waitcnt lgkmcnt(0)
	v_lshrrev_b32_e32 v116, 4, v146
	v_dot4c_i32_i8_e32 v115, v117, v21
	v_and_b32_e32 v117, 0xf0f0f0f, v146
	v_and_b32_e32 v142, 0xf0f0f0f, v116
	v_mov_b32_e32 v116, 0
	v_dot4c_i32_i8_e32 v116, v117, v14
	v_dot4c_i32_i8_e32 v116, v142, v18
	v_and_b32_e32 v14, 0xf0f0f0f, v147
	v_dot4c_i32_i8_e32 v116, v14, v15
	v_add_u32_e32 v14, 0x31c8, v37
	ds_read2_b32 v[14:15], v14 offset1:1
	v_lshrrev_b32_e32 v18, 4, v147
	v_and_b32_e32 v18, 0xf0f0f0f, v18
	v_dot4c_i32_i8_e32 v116, v18, v19
	v_add_u32_e32 v18, 0x10d0, v37
	v_add_u32_e32 v117, 0x10d8, v37
	;; [unrolled: 1-line block ×3, first 2 shown]
	ds_read2_b32 v[18:19], v18 offset1:1
	ds_read2_b32 v[142:143], v117 offset1:1
	;; [unrolled: 1-line block ×3, first 2 shown]
	s_waitcnt lgkmcnt(3)
	v_and_b32_e32 v117, 0xf0f0f0f, v14
	v_lshrrev_b32_e32 v14, 4, v14
	v_and_b32_e32 v14, 0xf0f0f0f, v14
	v_dot4c_i32_i8_e32 v116, v117, v16
	v_dot4c_i32_i8_e32 v116, v14, v20
	v_and_b32_e32 v14, 0xf0f0f0f, v15
	v_lshrrev_b32_e32 v15, 4, v15
	v_and_b32_e32 v15, 0xf0f0f0f, v15
	v_dot4c_i32_i8_e32 v116, v14, v17
	v_cvt_f32_f16_sdwa v16, v3 dst_sel:DWORD dst_unused:UNUSED_PAD src0_sel:WORD_1
	v_dot4c_i32_i8_e32 v116, v15, v21
	v_cvt_f32_f16_e32 v14, v3
	v_and_b32_e32 v3, 0xf0f0f0f, v108
	v_lshrrev_b32_e32 v15, 4, v108
	v_mov_b32_e32 v17, 0
	v_and_b32_e32 v15, 0xf0f0f0f, v15
	v_dot4c_i32_i8_e32 v17, v3, v6
	v_dot4c_i32_i8_e32 v17, v15, v10
	v_and_b32_e32 v3, 0xf0f0f0f, v109
	v_lshrrev_b32_e32 v15, 4, v109
	v_and_b32_e32 v15, 0xf0f0f0f, v15
	v_dot4c_i32_i8_e32 v17, v3, v7
	v_dot4c_i32_i8_e32 v17, v15, v11
	v_and_b32_e32 v3, 0xf0f0f0f, v110
	v_lshrrev_b32_e32 v15, 4, v110
	;; [unrolled: 5-line block ×3, first 2 shown]
	v_and_b32_e32 v15, 0xf0f0f0f, v15
	v_dot4c_i32_i8_e32 v17, v3, v9
	v_dot4c_i32_i8_e32 v17, v15, v13
	s_waitcnt lgkmcnt(2)
	v_and_b32_e32 v3, 0xf0f0f0f, v18
	v_lshrrev_b32_e32 v15, 4, v18
	v_mov_b32_e32 v117, 0
	v_and_b32_e32 v15, 0xf0f0f0f, v15
	v_dot4c_i32_i8_e32 v117, v3, v6
	v_dot4c_i32_i8_e32 v117, v15, v10
	v_and_b32_e32 v3, 0xf0f0f0f, v19
	v_lshrrev_b32_e32 v15, 4, v19
	v_and_b32_e32 v15, 0xf0f0f0f, v15
	v_dot4c_i32_i8_e32 v117, v3, v7
	v_dot4c_i32_i8_e32 v117, v15, v11
	s_waitcnt lgkmcnt(1)
	v_and_b32_e32 v3, 0xf0f0f0f, v142
	v_lshrrev_b32_e32 v15, 4, v142
	v_and_b32_e32 v15, 0xf0f0f0f, v15
	v_dot4c_i32_i8_e32 v117, v3, v8
	v_dot4c_i32_i8_e32 v117, v15, v12
	v_and_b32_e32 v3, 0xf0f0f0f, v143
	v_lshrrev_b32_e32 v15, 4, v143
	v_and_b32_e32 v15, 0xf0f0f0f, v15
	v_dot4c_i32_i8_e32 v117, v3, v9
	v_dot4c_i32_i8_e32 v117, v15, v13
	s_waitcnt lgkmcnt(0)
	v_and_b32_e32 v3, 0xf0f0f0f, v144
	v_lshrrev_b32_e32 v15, 4, v144
	v_and_b32_e32 v15, 0xf0f0f0f, v15
	v_dot4c_i32_i8_e32 v162, v3, v6
	v_dot4c_i32_i8_e32 v162, v15, v10
	v_and_b32_e32 v3, 0xf0f0f0f, v145
	v_dot4c_i32_i8_e32 v162, v3, v7
	v_add_u32_e32 v3, 0x2158, v37
	ds_read2_b32 v[18:19], v3 offset1:1
	v_lshrrev_b32_e32 v15, 4, v145
	v_and_b32_e32 v15, 0xf0f0f0f, v15
	v_dot4c_i32_i8_e32 v162, v15, v11
	v_add_u32_e32 v15, 0x31d0, v37
	v_add_u32_e32 v108, 0x31d8, v37
	;; [unrolled: 1-line block ×3, first 2 shown]
	ds_read2_b32 v[20:21], v15 offset1:1
	ds_read2_b32 v[108:109], v108 offset1:1
	;; [unrolled: 1-line block ×3, first 2 shown]
	s_waitcnt lgkmcnt(3)
	v_and_b32_e32 v3, 0xf0f0f0f, v18
	v_lshrrev_b32_e32 v15, 4, v18
	v_and_b32_e32 v15, 0xf0f0f0f, v15
	v_dot4c_i32_i8_e32 v162, v3, v8
	v_dot4c_i32_i8_e32 v162, v15, v12
	v_and_b32_e32 v3, 0xf0f0f0f, v19
	v_lshrrev_b32_e32 v15, 4, v19
	v_and_b32_e32 v15, 0xf0f0f0f, v15
	v_dot4c_i32_i8_e32 v162, v3, v9
	v_dot4c_i32_i8_e32 v162, v15, v13
	s_waitcnt lgkmcnt(2)
	v_and_b32_e32 v3, 0xf0f0f0f, v20
	v_lshrrev_b32_e32 v15, 4, v20
	v_and_b32_e32 v15, 0xf0f0f0f, v15
	v_dot4c_i32_i8_e32 v163, v3, v6
	v_dot4c_i32_i8_e32 v163, v15, v10
	v_and_b32_e32 v3, 0xf0f0f0f, v21
	v_lshrrev_b32_e32 v6, 4, v21
	v_and_b32_e32 v6, 0xf0f0f0f, v6
	v_dot4c_i32_i8_e32 v163, v3, v7
	v_dot4c_i32_i8_e32 v163, v6, v11
	s_waitcnt lgkmcnt(1)
	v_and_b32_e32 v3, 0xf0f0f0f, v108
	v_lshrrev_b32_e32 v6, 4, v108
	v_and_b32_e32 v6, 0xf0f0f0f, v6
	v_dot4c_i32_i8_e32 v163, v3, v8
	v_dot4c_i32_i8_e32 v163, v6, v12
	v_and_b32_e32 v3, 0xf0f0f0f, v109
	v_dot4c_i32_i8_e32 v163, v3, v9
	v_cvt_f32_f16_sdwa v3, v4 dst_sel:DWORD dst_unused:UNUSED_PAD src0_sel:WORD_1
	ds_read_b128 v[142:145], v33 offset:64
	ds_read_b128 v[146:149], v33 offset:80
	v_lshrrev_b32_e32 v6, 4, v109
	v_and_b32_e32 v6, 0xf0f0f0f, v6
	ds_read2_b32 v[8:9], v43 offset0:4 offset1:5
	ds_read2_b32 v[18:19], v41 offset0:6 offset1:7
	;; [unrolled: 1-line block ×5, first 2 shown]
	v_dot4c_i32_i8_e32 v163, v6, v13
	v_mul_f32_e32 v6, 0x41000000, v3
	v_and_b32_e32 v3, 0xf0f0f0f, v112
	v_lshrrev_b32_e32 v7, 4, v112
	v_mov_b32_e32 v15, 0
	v_and_b32_e32 v7, 0xf0f0f0f, v7
	s_waitcnt lgkmcnt(6)
	v_dot4c_i32_i8_e32 v15, v3, v142
	s_waitcnt lgkmcnt(5)
	v_dot4c_i32_i8_e32 v15, v7, v146
	v_and_b32_e32 v3, 0xf0f0f0f, v113
	v_lshrrev_b32_e32 v7, 4, v113
	v_and_b32_e32 v7, 0xf0f0f0f, v7
	v_dot4c_i32_i8_e32 v15, v3, v143
	v_dot4c_i32_i8_e32 v15, v7, v147
	s_waitcnt lgkmcnt(0)
	v_and_b32_e32 v3, 0xf0f0f0f, v10
	v_lshrrev_b32_e32 v7, 4, v10
	v_and_b32_e32 v7, 0xf0f0f0f, v7
	v_dot4c_i32_i8_e32 v15, v3, v144
	v_dot4c_i32_i8_e32 v15, v7, v148
	v_and_b32_e32 v3, 0xf0f0f0f, v11
	v_lshrrev_b32_e32 v7, 4, v11
	v_and_b32_e32 v7, 0xf0f0f0f, v7
	v_dot4c_i32_i8_e32 v15, v3, v145
	v_dot4c_i32_i8_e32 v15, v7, v149
	;; [unrolled: 5-line block ×3, first 2 shown]
	v_and_b32_e32 v3, 0xf0f0f0f, v111
	v_dot4c_i32_i8_e32 v164, v3, v143
	v_add_u32_e32 v3, 0x10e8, v37
	ds_read2_b32 v[150:151], v37 offset0:28 offset1:29
	ds_read2_b32 v[152:153], v39 offset0:4 offset1:5
	;; [unrolled: 1-line block ×3, first 2 shown]
	ds_read2_b32 v[10:11], v3 offset1:1
	v_lshrrev_b32_e32 v7, 4, v111
	v_and_b32_e32 v7, 0xf0f0f0f, v7
	v_dot4c_i32_i8_e32 v164, v7, v147
	v_add_u32_e32 v7, 0x2160, v37
	v_add_u32_e32 v3, 0x31e0, v37
	v_add_u32_e32 v12, 0x2168, v37
	ds_read2_b32 v[110:111], v7 offset1:1
	ds_read2_b32 v[112:113], v12 offset1:1
	;; [unrolled: 1-line block ×3, first 2 shown]
	s_waitcnt lgkmcnt(3)
	v_and_b32_e32 v3, 0xf0f0f0f, v10
	v_lshrrev_b32_e32 v7, 4, v10
	v_and_b32_e32 v7, 0xf0f0f0f, v7
	v_dot4c_i32_i8_e32 v164, v3, v144
	v_dot4c_i32_i8_e32 v164, v7, v148
	v_and_b32_e32 v3, 0xf0f0f0f, v11
	v_lshrrev_b32_e32 v7, 4, v11
	v_and_b32_e32 v7, 0xf0f0f0f, v7
	v_dot4c_i32_i8_e32 v164, v3, v145
	v_dot4c_i32_i8_e32 v164, v7, v149
	s_waitcnt lgkmcnt(2)
	v_and_b32_e32 v3, 0xf0f0f0f, v110
	v_lshrrev_b32_e32 v7, 4, v110
	v_mov_b32_e32 v165, 0
	v_and_b32_e32 v7, 0xf0f0f0f, v7
	v_dot4c_i32_i8_e32 v165, v3, v142
	v_dot4c_i32_i8_e32 v165, v7, v146
	v_and_b32_e32 v3, 0xf0f0f0f, v111
	v_lshrrev_b32_e32 v7, 4, v111
	v_and_b32_e32 v7, 0xf0f0f0f, v7
	v_dot4c_i32_i8_e32 v165, v3, v143
	v_dot4c_i32_i8_e32 v165, v7, v147
	s_waitcnt lgkmcnt(1)
	v_and_b32_e32 v3, 0xf0f0f0f, v112
	v_lshrrev_b32_e32 v7, 4, v112
	v_and_b32_e32 v7, 0xf0f0f0f, v7
	v_dot4c_i32_i8_e32 v165, v3, v144
	v_dot4c_i32_i8_e32 v165, v7, v148
	v_and_b32_e32 v3, 0xf0f0f0f, v113
	v_lshrrev_b32_e32 v7, 4, v113
	v_and_b32_e32 v7, 0xf0f0f0f, v7
	v_dot4c_i32_i8_e32 v165, v3, v145
	v_dot4c_i32_i8_e32 v165, v7, v149
	s_waitcnt lgkmcnt(0)
	v_and_b32_e32 v3, 0xf0f0f0f, v156
	v_lshrrev_b32_e32 v7, 4, v156
	v_mov_b32_e32 v166, 0
	v_and_b32_e32 v7, 0xf0f0f0f, v7
	v_dot4c_i32_i8_e32 v166, v3, v142
	v_dot4c_i32_i8_e32 v166, v7, v146
	v_and_b32_e32 v3, 0xf0f0f0f, v157
	v_dot4c_i32_i8_e32 v166, v3, v143
	v_add_u32_e32 v3, 0x31e8, v37
	ds_read2_b32 v[12:13], v45 offset0:4 offset1:5
	ds_read2_b32 v[10:11], v43 offset0:6 offset1:7
	ds_read2_b32 v[110:111], v3 offset1:1
	v_lshrrev_b32_e32 v7, 4, v157
	v_and_b32_e32 v7, 0xf0f0f0f, v7
	v_dot4c_i32_i8_e32 v166, v7, v147
	v_add_u32_e32 v7, 0x10f0, v37
	v_add_u32_e32 v3, 0x2170, v37
	;; [unrolled: 1-line block ×3, first 2 shown]
	ds_read2_b32 v[146:147], v7 offset1:1
	ds_read2_b32 v[156:157], v112 offset1:1
	;; [unrolled: 1-line block ×3, first 2 shown]
	s_waitcnt lgkmcnt(3)
	v_and_b32_e32 v3, 0xf0f0f0f, v110
	v_lshrrev_b32_e32 v7, 4, v110
	v_and_b32_e32 v7, 0xf0f0f0f, v7
	v_dot4c_i32_i8_e32 v166, v3, v144
	v_dot4c_i32_i8_e32 v166, v7, v148
	v_and_b32_e32 v3, 0xf0f0f0f, v111
	v_dot4c_i32_i8_e32 v166, v3, v145
	v_cvt_f32_f16_sdwa v3, v5 dst_sel:DWORD dst_unused:UNUSED_PAD src0_sel:WORD_1
	v_lshrrev_b32_e32 v7, 4, v111
	ds_read_b128 v[110:113], v33 offset:96
	ds_read_b128 v[142:145], v33 offset:112
	v_and_b32_e32 v7, 0xf0f0f0f, v7
	v_dot4c_i32_i8_e32 v166, v7, v149
	v_cvt_f32_f16_e32 v148, v5
	v_mul_f32_e32 v160, 0x41000000, v3
	v_and_b32_e32 v3, 0xf0f0f0f, v150
	v_lshrrev_b32_e32 v5, 4, v150
	v_mov_b32_e32 v7, 0
	v_and_b32_e32 v5, 0xf0f0f0f, v5
	s_waitcnt lgkmcnt(1)
	v_dot4c_i32_i8_e32 v7, v3, v110
	s_waitcnt lgkmcnt(0)
	v_dot4c_i32_i8_e32 v7, v5, v142
	v_and_b32_e32 v3, 0xf0f0f0f, v151
	v_lshrrev_b32_e32 v5, 4, v151
	v_and_b32_e32 v5, 0xf0f0f0f, v5
	v_dot4c_i32_i8_e32 v7, v3, v111
	v_dot4c_i32_i8_e32 v7, v5, v143
	v_and_b32_e32 v3, 0xf0f0f0f, v154
	v_lshrrev_b32_e32 v5, 4, v154
	v_and_b32_e32 v5, 0xf0f0f0f, v5
	v_dot4c_i32_i8_e32 v7, v3, v112
	;; [unrolled: 5-line block ×3, first 2 shown]
	v_dot4c_i32_i8_e32 v7, v5, v145
	v_and_b32_e32 v3, 0xf0f0f0f, v146
	v_lshrrev_b32_e32 v5, 4, v146
	v_mov_b32_e32 v149, 0
	v_cvt_f32_f16_sdwa v104, v2 dst_sel:DWORD dst_unused:UNUSED_PAD src0_sel:WORD_1
	v_and_b32_e32 v5, 0xf0f0f0f, v5
	v_dot4c_i32_i8_e32 v149, v3, v110
	v_cvt_f32_f16_e32 v2, v2
	v_dot4c_i32_i8_e32 v149, v5, v142
	v_and_b32_e32 v3, 0xf0f0f0f, v147
	v_lshrrev_b32_e32 v5, 4, v147
	v_cvt_f32_i32_e32 v147, v161
	v_cvt_f32_i32_e32 v146, v114
	v_and_b32_e32 v5, 0xf0f0f0f, v5
	v_dot4c_i32_i8_e32 v149, v3, v111
	v_dot4c_i32_i8_e32 v149, v5, v143
	v_and_b32_e32 v3, 0xf0f0f0f, v156
	v_mul_f32_e32 v104, 0x41000000, v104
	v_dot4c_i32_i8_e32 v149, v3, v112
	v_and_b32_e32 v3, 0xf0f0f0f, v157
	v_lshrrev_b32_e32 v5, 4, v156
	v_pk_fma_f32 v[146:147], v[2:3], v[146:147], v[104:105] op_sel_hi:[0,1,0] neg_lo:[0,0,1] neg_hi:[0,0,1]
	v_mov_b32_e32 v150, v152
	v_mov_b32_e32 v151, v108
	v_cvt_f32_i32_e32 v155, v117
	v_cvt_f32_i32_e32 v154, v17
	v_cvt_f32_f16_e32 v4, v4
	v_and_b32_e32 v5, 0xf0f0f0f, v5
	v_pk_fma_f32 v[22:23], v[150:151], v[146:147], v[22:23]
	v_cvt_f32_i32_e32 v147, v164
	v_cvt_f32_i32_e32 v146, v15
	v_dot4c_i32_i8_e32 v149, v5, v144
	v_lshrrev_b32_e32 v5, 4, v157
	v_mul_f32_e32 v16, 0x41000000, v16
	v_and_b32_e32 v5, 0xf0f0f0f, v5
	v_dot4c_i32_i8_e32 v149, v3, v113
	v_dot4c_i32_i8_e32 v149, v5, v145
	v_pk_fma_f32 v[150:151], v[14:15], v[154:155], v[16:17] op_sel_hi:[0,1,0] neg_lo:[0,0,1] neg_hi:[0,0,1]
	v_mov_b32_e32 v108, v153
	v_pk_fma_f32 v[22:23], v[108:109], v[150:151], v[22:23]
	v_pk_fma_f32 v[108:109], v[4:5], v[146:147], v[6:7] op_sel_hi:[0,1,0] neg_lo:[0,0,1] neg_hi:[0,0,1]
	v_cvt_f32_i32_e32 v147, v149
	v_cvt_f32_i32_e32 v146, v7
	v_and_b32_e32 v3, 0xf0f0f0f, v158
	v_lshrrev_b32_e32 v5, 4, v158
	v_mov_b32_e32 v17, 0
	v_and_b32_e32 v5, 0xf0f0f0f, v5
	v_dot4c_i32_i8_e32 v17, v3, v110
	v_mov_b32_e32 v150, v20
	v_mov_b32_e32 v151, v18
	v_dot4c_i32_i8_e32 v17, v5, v142
	v_and_b32_e32 v3, 0xf0f0f0f, v159
	v_pk_fma_f32 v[22:23], v[150:151], v[108:109], v[22:23]
	v_pk_fma_f32 v[108:109], v[148:149], v[146:147], v[160:161] op_sel_hi:[0,1,0] neg_lo:[0,0,1] neg_hi:[0,0,1]
	v_mov_b32_e32 v18, v21
	v_dot4c_i32_i8_e32 v17, v3, v111
	v_add_u32_e32 v3, 0x2178, v37
	v_pk_fma_f32 v[22:23], v[18:19], v[108:109], v[22:23]
	ds_read2_b32 v[18:19], v3 offset1:1
	v_lshrrev_b32_e32 v5, 4, v159
	v_and_b32_e32 v5, 0xf0f0f0f, v5
	v_dot4c_i32_i8_e32 v17, v5, v143
	v_add_u32_e32 v3, 0x31f0, v37
	v_add_u32_e32 v5, 0x31f8, v37
	ds_read2_b32 v[20:21], v3 offset1:1
	ds_read2_b32 v[108:109], v5 offset1:1
	s_waitcnt lgkmcnt(2)
	v_and_b32_e32 v3, 0xf0f0f0f, v18
	v_lshrrev_b32_e32 v5, 4, v18
	v_and_b32_e32 v5, 0xf0f0f0f, v5
	v_dot4c_i32_i8_e32 v17, v3, v112
	v_dot4c_i32_i8_e32 v17, v5, v144
	v_and_b32_e32 v3, 0xf0f0f0f, v19
	v_lshrrev_b32_e32 v5, 4, v19
	v_and_b32_e32 v5, 0xf0f0f0f, v5
	v_dot4c_i32_i8_e32 v17, v3, v113
	v_dot4c_i32_i8_e32 v17, v5, v145
	s_waitcnt lgkmcnt(1)
	v_and_b32_e32 v3, 0xf0f0f0f, v20
	v_lshrrev_b32_e32 v5, 4, v20
	v_mov_b32_e32 v7, 0
	v_and_b32_e32 v5, 0xf0f0f0f, v5
	v_dot4c_i32_i8_e32 v7, v3, v110
	v_dot4c_i32_i8_e32 v7, v5, v142
	v_and_b32_e32 v3, 0xf0f0f0f, v21
	v_lshrrev_b32_e32 v5, 4, v21
	v_and_b32_e32 v5, 0xf0f0f0f, v5
	v_dot4c_i32_i8_e32 v7, v3, v111
	v_cvt_f32_i32_e32 v19, v116
	v_cvt_f32_i32_e32 v18, v115
	v_dot4c_i32_i8_e32 v7, v5, v143
	s_waitcnt lgkmcnt(0)
	v_and_b32_e32 v3, 0xf0f0f0f, v108
	v_lshrrev_b32_e32 v5, 4, v108
	v_and_b32_e32 v5, 0xf0f0f0f, v5
	v_dot4c_i32_i8_e32 v7, v3, v112
	v_dot4c_i32_i8_e32 v7, v5, v144
	v_and_b32_e32 v3, 0xf0f0f0f, v109
	v_dot4c_i32_i8_e32 v7, v3, v113
	v_pk_fma_f32 v[2:3], v[2:3], v[18:19], v[104:105] op_sel_hi:[0,1,0] neg_lo:[0,0,1] neg_hi:[0,0,1]
	v_mov_b32_e32 v18, v8
	v_mov_b32_e32 v19, v12
	v_pk_fma_f32 v[2:3], v[18:19], v[2:3], v[102:103]
	v_cvt_f32_i32_e32 v19, v166
	v_cvt_f32_i32_e32 v18, v165
	v_lshrrev_b32_e32 v5, 4, v109
	v_and_b32_e32 v5, 0xf0f0f0f, v5
	v_cvt_f32_i32_e32 v21, v163
	v_cvt_f32_i32_e32 v20, v162
	v_dot4c_i32_i8_e32 v7, v5, v145
	v_mov_b32_e32 v12, v9
	v_mov_b32_e32 v8, v10
	v_pk_fma_f32 v[14:15], v[14:15], v[20:21], v[16:17] op_sel_hi:[0,1,0] neg_lo:[0,0,1] neg_hi:[0,0,1]
	v_pk_fma_f32 v[4:5], v[4:5], v[18:19], v[6:7] op_sel_hi:[0,1,0] neg_lo:[0,0,1] neg_hi:[0,0,1]
	v_cvt_f32_i32_e32 v7, v7
	v_cvt_f32_i32_e32 v6, v17
	v_pk_fma_f32 v[2:3], v[12:13], v[14:15], v[2:3]
	v_mov_b32_e32 v9, v106
	v_pk_fma_f32 v[2:3], v[8:9], v[4:5], v[2:3]
	v_pk_fma_f32 v[4:5], v[148:149], v[6:7], v[160:161] op_sel_hi:[0,1,0] neg_lo:[0,0,1] neg_hi:[0,0,1]
	v_mov_b32_e32 v106, v11
	v_pk_fma_f32 v[102:103], v[106:107], v[4:5], v[2:3]
	s_barrier
.LBB178_5:                              ;   in Loop: Header=BB178_6 Depth=1
	s_add_i32 s4, s4, 8
	s_addk_i32 s6, 0x100
	v_lshl_add_u64 v[60:61], v[60:61], 0, s[12:13]
	v_lshl_add_u64 v[62:63], v[62:63], 0, s[20:21]
	;; [unrolled: 1-line block ×20, first 2 shown]
	s_cmp_ge_i32 s4, s24
	v_lshl_add_u64 v[100:101], v[100:101], 0, s[20:21]
	s_cbranch_scc1 .LBB178_19
.LBB178_6:                              ; =>This Inner Loop Header: Depth=1
	v_lshl_add_u64 v[2:3], v[62:63], 0, s[18:19]
	global_load_dword v4, v[2:3], off
	v_lshl_add_u64 v[2:3], v[64:65], 0, s[18:19]
	global_load_dword v5, v[2:3], off
	;; [unrolled: 2-line block ×16, first 2 shown]
	v_lshl_add_u64 v[2:3], v[94:95], 0, s[18:19]
	global_load_ushort v20, v[2:3], off
	v_lshl_add_u64 v[2:3], v[96:97], 0, s[18:19]
	global_load_ushort v21, v[2:3], off
	;; [unrolled: 2-line block ×4, first 2 shown]
	s_add_i32 s2, s6, 0xffffff80
	s_cmp_lt_i32 s2, s5
	s_waitcnt vmcnt(19)
	ds_write_b32 v26, v4
	s_waitcnt vmcnt(18)
	ds_write_b32 v28, v5
	;; [unrolled: 2-line block ×16, first 2 shown]
	s_waitcnt vmcnt(3)
	v_cvt_f32_f16_e32 v3, v20
	s_waitcnt vmcnt(2)
	v_cvt_f32_f16_e32 v4, v21
	;; [unrolled: 2-line block ×4, first 2 shown]
	ds_write_b32 v53, v3
	ds_write_b32 v55, v4
	;; [unrolled: 1-line block ×4, first 2 shown]
	s_cbranch_scc0 .LBB178_5
; %bb.7:                                ;   in Loop: Header=BB178_6 Depth=1
	v_add_u32_e32 v2, s4, v27
	v_cmp_gt_i32_e64 s[2:3], s8, v2
	s_and_b64 s[22:23], s[0:1], s[2:3]
	s_and_saveexec_b64 s[2:3], s[22:23]
	s_cbranch_execz .LBB178_9
; %bb.8:                                ;   in Loop: Header=BB178_6 Depth=1
	v_add_u32_e32 v2, s4, v51
	v_mad_i64_i32 v[2:3], s[22:23], v2, 36, v[58:59]
	global_load_dword v2, v[2:3], off offset:4
	s_waitcnt vmcnt(0)
	ds_write_b32 v29, v2
.LBB178_9:                              ;   in Loop: Header=BB178_6 Depth=1
	s_or_b64 exec, exec, s[2:3]
	s_and_saveexec_b64 s[22:23], vcc
	s_cbranch_execz .LBB178_12
; %bb.10:                               ;   in Loop: Header=BB178_6 Depth=1
	v_add_u32_e32 v2, s4, v24
	v_cmp_gt_i32_e64 s[2:3], s8, v2
	s_and_b64 s[2:3], s[0:1], s[2:3]
	s_and_b64 exec, exec, s[2:3]
	s_cbranch_execz .LBB178_12
; %bb.11:                               ;   in Loop: Header=BB178_6 Depth=1
	v_add_u32_e32 v2, s4, v25
	v_mad_i64_i32 v[2:3], s[2:3], v2, 36, s[14:15]
	global_load_dword v2, v[2:3], off
	s_waitcnt vmcnt(0)
	ds_write_b32 v31, v2
.LBB178_12:                             ;   in Loop: Header=BB178_6 Depth=1
	s_or_b64 exec, exec, s[22:23]
	s_waitcnt lgkmcnt(0)
	s_barrier
	ds_read_b128 v[2:5], v35
	ds_read_b128 v[14:17], v33
	ds_read_b128 v[18:21], v33 offset:16
	ds_read2_b32 v[106:107], v37 offset1:1
	v_mov_b32_e32 v146, 0
	ds_read_b128 v[6:9], v33 offset:32
	ds_read_b128 v[10:13], v33 offset:48
	v_mov_b32_e32 v147, 0
	v_mov_b32_e32 v163, 0
	s_waitcnt lgkmcnt(2)
	v_and_b32_e32 v108, 0xf0f0f0f, v106
	v_lshrrev_b32_e32 v106, 4, v106
	v_and_b32_e32 v106, 0xf0f0f0f, v106
	v_dot4c_i32_i8_e32 v146, v108, v14
	v_dot4c_i32_i8_e32 v146, v106, v18
	v_and_b32_e32 v106, 0xf0f0f0f, v107
	v_lshrrev_b32_e32 v107, 4, v107
	v_and_b32_e32 v108, 0xf0f0f0f, v107
	v_dot4c_i32_i8_e32 v146, v106, v15
	ds_read2_b32 v[106:107], v37 offset0:2 offset1:3
	v_dot4c_i32_i8_e32 v146, v108, v19
	ds_read2_b32 v[110:111], v37 offset0:4 offset1:5
	ds_read2_b32 v[112:113], v37 offset0:6 offset1:7
	;; [unrolled: 1-line block ×3, first 2 shown]
	v_mov_b32_e32 v165, 0
	v_cvt_f32_f16_e32 v162, v5
	s_waitcnt lgkmcnt(3)
	v_and_b32_e32 v108, 0xf0f0f0f, v106
	v_dot4c_i32_i8_e32 v146, v108, v16
	ds_read2_b32 v[108:109], v118 offset1:1
	v_lshrrev_b32_e32 v106, 4, v106
	v_and_b32_e32 v106, 0xf0f0f0f, v106
	v_dot4c_i32_i8_e32 v146, v106, v20
	v_and_b32_e32 v106, 0xf0f0f0f, v107
	v_lshrrev_b32_e32 v107, 4, v107
	v_and_b32_e32 v107, 0xf0f0f0f, v107
	v_dot4c_i32_i8_e32 v146, v106, v17
	v_dot4c_i32_i8_e32 v146, v107, v21
	ds_read2_b32 v[106:107], v45 offset0:2 offset1:3
	s_waitcnt lgkmcnt(1)
	v_and_b32_e32 v116, 0xf0f0f0f, v108
	v_lshrrev_b32_e32 v108, 4, v108
	v_and_b32_e32 v108, 0xf0f0f0f, v108
	v_dot4c_i32_i8_e32 v147, v116, v14
	v_dot4c_i32_i8_e32 v147, v108, v18
	v_and_b32_e32 v108, 0xf0f0f0f, v109
	v_lshrrev_b32_e32 v109, 4, v109
	v_and_b32_e32 v116, 0xf0f0f0f, v109
	v_dot4c_i32_i8_e32 v147, v108, v15
	ds_read2_b32 v[108:109], v119 offset1:1
	v_dot4c_i32_i8_e32 v147, v116, v19
	ds_read2_b32 v[116:117], v120 offset1:1
	ds_read2_b32 v[142:143], v121 offset1:1
	;; [unrolled: 1-line block ×3, first 2 shown]
	v_cvt_f32_f16_sdwa v104, v2 dst_sel:DWORD dst_unused:UNUSED_PAD src0_sel:WORD_1
	v_cvt_f32_f16_e32 v2, v2
	s_waitcnt lgkmcnt(3)
	v_and_b32_e32 v148, 0xf0f0f0f, v108
	v_lshrrev_b32_e32 v108, 4, v108
	v_and_b32_e32 v108, 0xf0f0f0f, v108
	v_dot4c_i32_i8_e32 v147, v148, v16
	v_dot4c_i32_i8_e32 v147, v108, v20
	v_and_b32_e32 v108, 0xf0f0f0f, v109
	v_lshrrev_b32_e32 v109, 4, v109
	v_and_b32_e32 v109, 0xf0f0f0f, v109
	v_dot4c_i32_i8_e32 v147, v108, v17
	v_dot4c_i32_i8_e32 v147, v109, v21
	v_cvt_f32_i32_e32 v108, v146
	s_waitcnt lgkmcnt(2)
	v_and_b32_e32 v146, 0xf0f0f0f, v116
	v_lshrrev_b32_e32 v116, 4, v116
	v_cvt_f32_i32_e32 v109, v147
	v_mov_b32_e32 v147, 0
	v_and_b32_e32 v116, 0xf0f0f0f, v116
	v_dot4c_i32_i8_e32 v147, v146, v14
	v_dot4c_i32_i8_e32 v147, v116, v18
	v_and_b32_e32 v116, 0xf0f0f0f, v117
	v_lshrrev_b32_e32 v117, 4, v117
	v_and_b32_e32 v117, 0xf0f0f0f, v117
	v_dot4c_i32_i8_e32 v147, v116, v15
	v_dot4c_i32_i8_e32 v147, v117, v19
	s_waitcnt lgkmcnt(1)
	v_and_b32_e32 v116, 0xf0f0f0f, v142
	v_lshrrev_b32_e32 v117, 4, v142
	v_and_b32_e32 v117, 0xf0f0f0f, v117
	v_dot4c_i32_i8_e32 v147, v116, v16
	v_dot4c_i32_i8_e32 v147, v117, v20
	v_and_b32_e32 v116, 0xf0f0f0f, v143
	v_lshrrev_b32_e32 v117, 4, v143
	v_and_b32_e32 v117, 0xf0f0f0f, v117
	v_dot4c_i32_i8_e32 v147, v116, v17
	v_dot4c_i32_i8_e32 v147, v117, v21
	s_waitcnt lgkmcnt(0)
	v_and_b32_e32 v116, 0xf0f0f0f, v144
	v_lshrrev_b32_e32 v117, 4, v144
	v_mov_b32_e32 v146, 0
	v_and_b32_e32 v117, 0xf0f0f0f, v117
	v_dot4c_i32_i8_e32 v146, v116, v14
	v_dot4c_i32_i8_e32 v146, v117, v18
	v_and_b32_e32 v14, 0xf0f0f0f, v145
	v_dot4c_i32_i8_e32 v146, v14, v15
	ds_read2_b32 v[14:15], v123 offset1:1
	v_lshrrev_b32_e32 v18, 4, v145
	v_and_b32_e32 v18, 0xf0f0f0f, v18
	v_dot4c_i32_i8_e32 v146, v18, v19
	ds_read2_b32 v[116:117], v124 offset1:1
	ds_read2_b32 v[142:143], v125 offset1:1
	;; [unrolled: 1-line block ×3, first 2 shown]
	s_waitcnt lgkmcnt(3)
	v_and_b32_e32 v18, 0xf0f0f0f, v14
	v_lshrrev_b32_e32 v14, 4, v14
	v_and_b32_e32 v14, 0xf0f0f0f, v14
	v_dot4c_i32_i8_e32 v146, v18, v16
	v_dot4c_i32_i8_e32 v146, v14, v20
	v_and_b32_e32 v14, 0xf0f0f0f, v15
	v_lshrrev_b32_e32 v15, 4, v15
	v_and_b32_e32 v15, 0xf0f0f0f, v15
	v_dot4c_i32_i8_e32 v146, v14, v17
	v_dot4c_i32_i8_e32 v146, v15, v21
	v_cvt_f32_f16_sdwa v15, v3 dst_sel:DWORD dst_unused:UNUSED_PAD src0_sel:WORD_1
	v_cvt_f32_f16_e32 v14, v3
	v_and_b32_e32 v3, 0xf0f0f0f, v110
	v_mov_b32_e32 v17, 0
	v_mul_f32_e32 v16, 0x41000000, v15
	v_lshrrev_b32_e32 v15, 4, v110
	v_and_b32_e32 v15, 0xf0f0f0f, v15
	v_dot4c_i32_i8_e32 v17, v3, v6
	v_dot4c_i32_i8_e32 v17, v15, v10
	v_and_b32_e32 v3, 0xf0f0f0f, v111
	v_lshrrev_b32_e32 v15, 4, v111
	v_and_b32_e32 v15, 0xf0f0f0f, v15
	v_dot4c_i32_i8_e32 v17, v3, v7
	v_dot4c_i32_i8_e32 v17, v15, v11
	v_and_b32_e32 v3, 0xf0f0f0f, v112
	;; [unrolled: 5-line block ×3, first 2 shown]
	v_lshrrev_b32_e32 v15, 4, v113
	v_and_b32_e32 v15, 0xf0f0f0f, v15
	v_dot4c_i32_i8_e32 v17, v3, v9
	v_dot4c_i32_i8_e32 v17, v15, v13
	s_waitcnt lgkmcnt(2)
	v_and_b32_e32 v3, 0xf0f0f0f, v116
	v_lshrrev_b32_e32 v15, 4, v116
	v_mov_b32_e32 v20, 0
	v_and_b32_e32 v15, 0xf0f0f0f, v15
	v_dot4c_i32_i8_e32 v20, v3, v6
	v_dot4c_i32_i8_e32 v20, v15, v10
	v_and_b32_e32 v3, 0xf0f0f0f, v117
	v_lshrrev_b32_e32 v15, 4, v117
	v_and_b32_e32 v15, 0xf0f0f0f, v15
	v_dot4c_i32_i8_e32 v20, v3, v7
	v_dot4c_i32_i8_e32 v20, v15, v11
	s_waitcnt lgkmcnt(1)
	v_and_b32_e32 v3, 0xf0f0f0f, v142
	v_lshrrev_b32_e32 v15, 4, v142
	v_and_b32_e32 v15, 0xf0f0f0f, v15
	v_dot4c_i32_i8_e32 v20, v3, v8
	v_dot4c_i32_i8_e32 v20, v15, v12
	v_and_b32_e32 v3, 0xf0f0f0f, v143
	v_lshrrev_b32_e32 v15, 4, v143
	v_and_b32_e32 v15, 0xf0f0f0f, v15
	v_dot4c_i32_i8_e32 v20, v3, v9
	v_dot4c_i32_i8_e32 v20, v15, v13
	ds_read2_b32 v[110:111], v127 offset1:1
	s_waitcnt lgkmcnt(1)
	v_and_b32_e32 v3, 0xf0f0f0f, v144
	v_lshrrev_b32_e32 v15, 4, v144
	v_cvt_f32_i32_e32 v21, v20
	v_cvt_f32_i32_e32 v20, v17
	v_mov_b32_e32 v17, 0
	v_and_b32_e32 v15, 0xf0f0f0f, v15
	v_dot4c_i32_i8_e32 v17, v3, v6
	v_dot4c_i32_i8_e32 v17, v15, v10
	v_and_b32_e32 v3, 0xf0f0f0f, v145
	v_lshrrev_b32_e32 v15, 4, v145
	v_and_b32_e32 v15, 0xf0f0f0f, v15
	v_dot4c_i32_i8_e32 v17, v3, v7
	v_dot4c_i32_i8_e32 v17, v15, v11
	s_waitcnt lgkmcnt(0)
	v_and_b32_e32 v3, 0xf0f0f0f, v110
	v_lshrrev_b32_e32 v15, 4, v110
	ds_read2_b32 v[112:113], v128 offset1:1
	ds_read2_b32 v[116:117], v129 offset1:1
	;; [unrolled: 1-line block ×3, first 2 shown]
	v_and_b32_e32 v15, 0xf0f0f0f, v15
	v_dot4c_i32_i8_e32 v17, v3, v8
	v_dot4c_i32_i8_e32 v17, v15, v12
	v_and_b32_e32 v3, 0xf0f0f0f, v111
	v_lshrrev_b32_e32 v15, 4, v111
	v_and_b32_e32 v15, 0xf0f0f0f, v15
	v_dot4c_i32_i8_e32 v17, v3, v9
	v_dot4c_i32_i8_e32 v17, v15, v13
	s_waitcnt lgkmcnt(2)
	v_and_b32_e32 v3, 0xf0f0f0f, v112
	v_lshrrev_b32_e32 v15, 4, v112
	v_mov_b32_e32 v110, 0
	v_and_b32_e32 v15, 0xf0f0f0f, v15
	v_dot4c_i32_i8_e32 v110, v3, v6
	v_dot4c_i32_i8_e32 v110, v15, v10
	v_and_b32_e32 v3, 0xf0f0f0f, v113
	v_lshrrev_b32_e32 v6, 4, v113
	v_and_b32_e32 v6, 0xf0f0f0f, v6
	v_dot4c_i32_i8_e32 v110, v3, v7
	v_dot4c_i32_i8_e32 v110, v6, v11
	s_waitcnt lgkmcnt(1)
	v_and_b32_e32 v3, 0xf0f0f0f, v116
	v_lshrrev_b32_e32 v6, 4, v116
	v_and_b32_e32 v6, 0xf0f0f0f, v6
	v_dot4c_i32_i8_e32 v110, v3, v8
	v_dot4c_i32_i8_e32 v110, v6, v12
	v_and_b32_e32 v3, 0xf0f0f0f, v117
	v_lshrrev_b32_e32 v6, 4, v117
	v_dot4c_i32_i8_e32 v110, v3, v9
	v_cvt_f32_f16_sdwa v3, v4 dst_sel:DWORD dst_unused:UNUSED_PAD src0_sel:WORD_1
	v_cvt_f32_i32_e32 v19, v146
	v_cvt_f32_i32_e32 v18, v147
	v_and_b32_e32 v6, 0xf0f0f0f, v6
	ds_read_b128 v[142:145], v33 offset:64
	ds_read_b128 v[146:149], v33 offset:80
	v_dot4c_i32_i8_e32 v110, v6, v13
	v_mul_f32_e32 v8, 0x41000000, v3
	v_and_b32_e32 v3, 0xf0f0f0f, v114
	v_lshrrev_b32_e32 v9, 4, v114
	v_cvt_f32_i32_e32 v7, v110
	ds_read2_b32 v[10:11], v43 offset1:1
	ds_read2_b32 v[110:111], v41 offset0:2 offset1:3
	ds_read2_b32 v[116:117], v41 offset1:1
	ds_read2_b32 v[112:113], v39 offset0:2 offset1:3
	ds_read2_b32 v[12:13], v37 offset0:10 offset1:11
	v_mov_b32_e32 v15, 0
	v_and_b32_e32 v9, 0xf0f0f0f, v9
	s_waitcnt lgkmcnt(6)
	v_dot4c_i32_i8_e32 v15, v3, v142
	s_waitcnt lgkmcnt(5)
	v_dot4c_i32_i8_e32 v15, v9, v146
	v_and_b32_e32 v3, 0xf0f0f0f, v115
	v_lshrrev_b32_e32 v9, 4, v115
	v_and_b32_e32 v9, 0xf0f0f0f, v9
	v_dot4c_i32_i8_e32 v15, v3, v143
	v_dot4c_i32_i8_e32 v15, v9, v147
	s_waitcnt lgkmcnt(0)
	v_and_b32_e32 v3, 0xf0f0f0f, v12
	v_lshrrev_b32_e32 v9, 4, v12
	v_and_b32_e32 v9, 0xf0f0f0f, v9
	v_dot4c_i32_i8_e32 v15, v3, v144
	v_dot4c_i32_i8_e32 v15, v9, v148
	v_and_b32_e32 v3, 0xf0f0f0f, v13
	v_lshrrev_b32_e32 v9, 4, v13
	ds_read2_b32 v[152:153], v37 offset0:12 offset1:13
	ds_read2_b32 v[154:155], v39 offset1:1
	ds_read2_b32 v[156:157], v37 offset0:14 offset1:15
	v_and_b32_e32 v9, 0xf0f0f0f, v9
	v_dot4c_i32_i8_e32 v15, v3, v145
	ds_read2_b32 v[12:13], v131 offset1:1
	v_cvt_f32_i32_e32 v6, v17
	v_dot4c_i32_i8_e32 v15, v9, v149
	v_and_b32_e32 v3, 0xf0f0f0f, v150
	v_lshrrev_b32_e32 v9, 4, v150
	v_mov_b32_e32 v17, 0
	v_and_b32_e32 v9, 0xf0f0f0f, v9
	v_dot4c_i32_i8_e32 v17, v3, v142
	v_dot4c_i32_i8_e32 v17, v9, v146
	v_and_b32_e32 v3, 0xf0f0f0f, v151
	v_lshrrev_b32_e32 v9, 4, v151
	v_and_b32_e32 v9, 0xf0f0f0f, v9
	v_dot4c_i32_i8_e32 v17, v3, v143
	v_dot4c_i32_i8_e32 v17, v9, v147
	s_waitcnt lgkmcnt(0)
	v_and_b32_e32 v3, 0xf0f0f0f, v12
	v_lshrrev_b32_e32 v9, 4, v12
	ds_read2_b32 v[150:151], v132 offset1:1
	ds_read2_b32 v[158:159], v133 offset1:1
	;; [unrolled: 1-line block ×3, first 2 shown]
	v_and_b32_e32 v9, 0xf0f0f0f, v9
	v_dot4c_i32_i8_e32 v17, v3, v144
	v_dot4c_i32_i8_e32 v17, v9, v148
	v_and_b32_e32 v3, 0xf0f0f0f, v13
	v_lshrrev_b32_e32 v9, 4, v13
	v_and_b32_e32 v9, 0xf0f0f0f, v9
	v_dot4c_i32_i8_e32 v17, v3, v145
	v_dot4c_i32_i8_e32 v17, v9, v149
	s_waitcnt lgkmcnt(2)
	v_and_b32_e32 v3, 0xf0f0f0f, v150
	v_lshrrev_b32_e32 v9, 4, v150
	v_and_b32_e32 v9, 0xf0f0f0f, v9
	v_dot4c_i32_i8_e32 v163, v3, v142
	v_dot4c_i32_i8_e32 v163, v9, v146
	v_and_b32_e32 v3, 0xf0f0f0f, v151
	v_lshrrev_b32_e32 v9, 4, v151
	v_and_b32_e32 v9, 0xf0f0f0f, v9
	v_dot4c_i32_i8_e32 v163, v3, v143
	v_dot4c_i32_i8_e32 v163, v9, v147
	s_waitcnt lgkmcnt(1)
	v_and_b32_e32 v3, 0xf0f0f0f, v158
	v_lshrrev_b32_e32 v9, 4, v158
	;; [unrolled: 11-line block ×3, first 2 shown]
	v_and_b32_e32 v9, 0xf0f0f0f, v9
	v_dot4c_i32_i8_e32 v165, v3, v142
	v_dot4c_i32_i8_e32 v165, v9, v146
	v_and_b32_e32 v3, 0xf0f0f0f, v161
	ds_read2_b32 v[114:115], v45 offset1:1
	ds_read2_b32 v[12:13], v43 offset0:2 offset1:3
	v_dot4c_i32_i8_e32 v165, v3, v143
	ds_read2_b32 v[142:143], v135 offset1:1
	v_lshrrev_b32_e32 v9, 4, v161
	v_and_b32_e32 v9, 0xf0f0f0f, v9
	v_dot4c_i32_i8_e32 v165, v9, v147
	ds_read2_b32 v[150:151], v136 offset1:1
	ds_read2_b32 v[158:159], v137 offset1:1
	;; [unrolled: 1-line block ×3, first 2 shown]
	s_waitcnt lgkmcnt(3)
	v_and_b32_e32 v3, 0xf0f0f0f, v142
	v_lshrrev_b32_e32 v9, 4, v142
	v_and_b32_e32 v9, 0xf0f0f0f, v9
	v_dot4c_i32_i8_e32 v165, v3, v144
	v_dot4c_i32_i8_e32 v165, v9, v148
	v_and_b32_e32 v3, 0xf0f0f0f, v143
	v_lshrrev_b32_e32 v9, 4, v143
	v_and_b32_e32 v9, 0xf0f0f0f, v9
	v_dot4c_i32_i8_e32 v165, v3, v145
	v_cvt_f32_f16_sdwa v3, v5 dst_sel:DWORD dst_unused:UNUSED_PAD src0_sel:WORD_1
	v_dot4c_i32_i8_e32 v165, v9, v149
	ds_read_b128 v[142:145], v33 offset:96
	ds_read_b128 v[146:149], v33 offset:112
	v_lshrrev_b32_e32 v5, 4, v152
	v_mul_f32_e32 v164, 0x41000000, v3
	v_and_b32_e32 v3, 0xf0f0f0f, v152
	v_mov_b32_e32 v9, 0
	v_and_b32_e32 v5, 0xf0f0f0f, v5
	s_waitcnt lgkmcnt(1)
	v_dot4c_i32_i8_e32 v9, v3, v142
	s_waitcnt lgkmcnt(0)
	v_dot4c_i32_i8_e32 v9, v5, v146
	v_and_b32_e32 v3, 0xf0f0f0f, v153
	v_lshrrev_b32_e32 v5, 4, v153
	v_and_b32_e32 v5, 0xf0f0f0f, v5
	v_dot4c_i32_i8_e32 v9, v3, v143
	v_dot4c_i32_i8_e32 v9, v5, v147
	v_and_b32_e32 v3, 0xf0f0f0f, v156
	v_lshrrev_b32_e32 v5, 4, v156
	v_and_b32_e32 v5, 0xf0f0f0f, v5
	v_dot4c_i32_i8_e32 v9, v3, v144
	;; [unrolled: 5-line block ×3, first 2 shown]
	v_dot4c_i32_i8_e32 v9, v5, v149
	v_and_b32_e32 v3, 0xf0f0f0f, v150
	v_lshrrev_b32_e32 v5, 4, v150
	v_mov_b32_e32 v152, 0
	v_and_b32_e32 v5, 0xf0f0f0f, v5
	v_dot4c_i32_i8_e32 v152, v3, v142
	v_dot4c_i32_i8_e32 v152, v5, v146
	v_and_b32_e32 v3, 0xf0f0f0f, v151
	v_lshrrev_b32_e32 v5, 4, v151
	v_and_b32_e32 v5, 0xf0f0f0f, v5
	v_dot4c_i32_i8_e32 v152, v3, v143
	v_dot4c_i32_i8_e32 v152, v5, v147
	v_and_b32_e32 v3, 0xf0f0f0f, v158
	v_mul_f32_e32 v104, 0x41000000, v104
	v_dot4c_i32_i8_e32 v152, v3, v144
	v_and_b32_e32 v3, 0xf0f0f0f, v159
	v_lshrrev_b32_e32 v5, 4, v158
	v_pk_fma_f32 v[108:109], v[2:3], v[108:109], v[104:105] op_sel_hi:[0,1,0] neg_lo:[0,0,1] neg_hi:[0,0,1]
	v_mov_b32_e32 v150, v154
	v_mov_b32_e32 v151, v116
	v_cvt_f32_f16_e32 v4, v4
	v_and_b32_e32 v5, 0xf0f0f0f, v5
	v_pk_fma_f32 v[22:23], v[150:151], v[108:109], v[22:23]
	v_cvt_f32_i32_e32 v109, v17
	v_cvt_f32_i32_e32 v108, v15
	v_dot4c_i32_i8_e32 v152, v5, v148
	v_lshrrev_b32_e32 v5, 4, v159
	v_and_b32_e32 v5, 0xf0f0f0f, v5
	v_dot4c_i32_i8_e32 v152, v3, v145
	v_dot4c_i32_i8_e32 v152, v5, v149
	v_pk_fma_f32 v[20:21], v[14:15], v[20:21], v[16:17] op_sel_hi:[0,1,0] neg_lo:[0,0,1] neg_hi:[0,0,1]
	v_mov_b32_e32 v116, v155
	v_pk_fma_f32 v[20:21], v[116:117], v[20:21], v[22:23]
	v_pk_fma_f32 v[22:23], v[4:5], v[108:109], v[8:9] op_sel_hi:[0,1,0] neg_lo:[0,0,1] neg_hi:[0,0,1]
	v_cvt_f32_i32_e32 v109, v152
	v_cvt_f32_i32_e32 v108, v9
	v_mov_b32_e32 v116, v112
	v_mov_b32_e32 v117, v110
	v_pk_fma_f32 v[20:21], v[116:117], v[22:23], v[20:21]
	v_pk_fma_f32 v[22:23], v[162:163], v[108:109], v[164:165] op_sel_hi:[0,1,0] neg_lo:[0,0,1] neg_hi:[0,0,1]
	v_mov_b32_e32 v110, v113
	v_pk_fma_f32 v[22:23], v[110:111], v[22:23], v[20:21]
	ds_read2_b32 v[20:21], v139 offset1:1
	v_and_b32_e32 v3, 0xf0f0f0f, v160
	v_lshrrev_b32_e32 v5, 4, v160
	v_mov_b32_e32 v9, 0
	v_and_b32_e32 v5, 0xf0f0f0f, v5
	v_dot4c_i32_i8_e32 v9, v3, v142
	v_dot4c_i32_i8_e32 v9, v5, v146
	v_and_b32_e32 v3, 0xf0f0f0f, v161
	v_lshrrev_b32_e32 v5, 4, v161
	v_and_b32_e32 v5, 0xf0f0f0f, v5
	v_dot4c_i32_i8_e32 v9, v3, v143
	v_dot4c_i32_i8_e32 v9, v5, v147
	ds_read2_b32 v[108:109], v140 offset1:1
	ds_read2_b32 v[110:111], v141 offset1:1
	s_waitcnt lgkmcnt(2)
	v_and_b32_e32 v3, 0xf0f0f0f, v20
	v_lshrrev_b32_e32 v5, 4, v20
	v_and_b32_e32 v5, 0xf0f0f0f, v5
	v_dot4c_i32_i8_e32 v9, v3, v144
	v_dot4c_i32_i8_e32 v9, v5, v148
	v_and_b32_e32 v3, 0xf0f0f0f, v21
	v_lshrrev_b32_e32 v5, 4, v21
	v_and_b32_e32 v5, 0xf0f0f0f, v5
	v_dot4c_i32_i8_e32 v9, v3, v145
	v_dot4c_i32_i8_e32 v9, v5, v149
	s_waitcnt lgkmcnt(1)
	v_and_b32_e32 v3, 0xf0f0f0f, v108
	v_lshrrev_b32_e32 v5, 4, v108
	v_mov_b32_e32 v15, 0
	v_and_b32_e32 v5, 0xf0f0f0f, v5
	v_dot4c_i32_i8_e32 v15, v3, v142
	v_dot4c_i32_i8_e32 v15, v5, v146
	v_and_b32_e32 v3, 0xf0f0f0f, v109
	v_lshrrev_b32_e32 v5, 4, v109
	v_and_b32_e32 v5, 0xf0f0f0f, v5
	v_dot4c_i32_i8_e32 v15, v3, v143
	v_dot4c_i32_i8_e32 v15, v5, v147
	s_waitcnt lgkmcnt(0)
	v_and_b32_e32 v3, 0xf0f0f0f, v110
	v_lshrrev_b32_e32 v5, 4, v110
	v_and_b32_e32 v5, 0xf0f0f0f, v5
	v_dot4c_i32_i8_e32 v15, v3, v144
	v_dot4c_i32_i8_e32 v15, v5, v148
	v_and_b32_e32 v3, 0xf0f0f0f, v111
	v_lshrrev_b32_e32 v5, 4, v111
	v_and_b32_e32 v5, 0xf0f0f0f, v5
	v_dot4c_i32_i8_e32 v15, v3, v145
	v_dot4c_i32_i8_e32 v15, v5, v149
	v_pk_fma_f32 v[2:3], v[2:3], v[18:19], v[104:105] op_sel_hi:[0,1,0] neg_lo:[0,0,1] neg_hi:[0,0,1]
	v_mov_b32_e32 v18, v10
	v_mov_b32_e32 v19, v114
	v_pk_fma_f32 v[2:3], v[18:19], v[2:3], v[102:103]
	v_cvt_f32_i32_e32 v19, v165
	v_cvt_f32_i32_e32 v18, v163
	v_pk_fma_f32 v[6:7], v[14:15], v[6:7], v[16:17] op_sel_hi:[0,1,0] neg_lo:[0,0,1] neg_hi:[0,0,1]
	v_mov_b32_e32 v114, v11
	v_pk_fma_f32 v[2:3], v[114:115], v[6:7], v[2:3]
	v_cvt_f32_i32_e32 v7, v15
	v_cvt_f32_i32_e32 v6, v9
	v_pk_fma_f32 v[4:5], v[4:5], v[18:19], v[8:9] op_sel_hi:[0,1,0] neg_lo:[0,0,1] neg_hi:[0,0,1]
	v_mov_b32_e32 v8, v12
	v_mov_b32_e32 v9, v106
	v_pk_fma_f32 v[2:3], v[8:9], v[4:5], v[2:3]
	v_pk_fma_f32 v[4:5], v[162:163], v[6:7], v[164:165] op_sel_hi:[0,1,0] neg_lo:[0,0,1] neg_hi:[0,0,1]
	v_mov_b32_e32 v106, v13
	v_pk_fma_f32 v[102:103], v[106:107], v[4:5], v[2:3]
	s_cmp_ge_i32 s6, s5
	s_barrier
	s_cbranch_scc1 .LBB178_5
; %bb.13:                               ;   in Loop: Header=BB178_6 Depth=1
	v_add_u32_e32 v2, s4, v47
	v_cmp_gt_i32_e64 s[2:3], s8, v2
	s_and_b64 s[22:23], s[0:1], s[2:3]
	s_and_saveexec_b64 s[2:3], s[22:23]
	s_cbranch_execz .LBB178_15
; %bb.14:                               ;   in Loop: Header=BB178_6 Depth=1
	v_add_u32_e32 v2, s4, v49
	v_mad_i64_i32 v[2:3], s[22:23], v2, 36, v[58:59]
	global_load_dword v2, v[2:3], off offset:4
	s_waitcnt vmcnt(0)
	ds_write_b32 v29, v2
.LBB178_15:                             ;   in Loop: Header=BB178_6 Depth=1
	s_or_b64 exec, exec, s[2:3]
	s_and_saveexec_b64 s[22:23], vcc
	s_cbranch_execz .LBB178_4
; %bb.16:                               ;   in Loop: Header=BB178_6 Depth=1
	v_add3_u32 v2, v24, s4, 4
	v_cmp_gt_i32_e64 s[2:3], s8, v2
	s_and_b64 s[2:3], s[0:1], s[2:3]
	s_and_b64 exec, exec, s[2:3]
	s_cbranch_execz .LBB178_4
; %bb.17:                               ;   in Loop: Header=BB178_6 Depth=1
	global_load_dword v2, v[60:61], off
	s_waitcnt vmcnt(0)
	ds_write_b32 v31, v2
	s_branch .LBB178_4
.LBB178_18:
	v_mov_b32_e32 v102, v103
	v_mov_b32_e32 v23, v103
	;; [unrolled: 1-line block ×3, first 2 shown]
.LBB178_19:
	s_mul_i32 s0, s10, s7
	s_waitcnt vmcnt(0)
	v_cmp_gt_i32_e32 vcc, s0, v1
	s_and_saveexec_b64 s[0:1], vcc
	s_cbranch_execz .LBB178_28
; %bb.20:
	v_and_b32_e32 v0, 0x3ff, v0
	v_add_u32_e32 v2, s11, v0
	v_mul_lo_u32 v0, v1, s9
	v_cmp_gt_u32_e32 vcc, s9, v2
	s_and_saveexec_b64 s[0:1], vcc
	s_cbranch_execz .LBB178_22
; %bb.21:
	v_add_u32_e32 v4, v0, v2
	v_mov_b32_e32 v5, 0
	v_lshl_add_u64 v[4:5], v[4:5], 2, s[16:17]
	global_store_dword v[4:5], v22, off
.LBB178_22:
	s_or_b64 exec, exec, s[0:1]
	v_add_u32_e32 v1, 32, v2
	v_cmp_gt_u32_e32 vcc, s9, v1
	s_and_saveexec_b64 s[0:1], vcc
	s_cbranch_execz .LBB178_24
; %bb.23:
	v_add_u32_e32 v4, v0, v1
	v_mov_b32_e32 v5, 0
	v_lshl_add_u64 v[4:5], v[4:5], 2, s[16:17]
	global_store_dword v[4:5], v23, off
.LBB178_24:
	s_or_b64 exec, exec, s[0:1]
	v_add_u32_e32 v1, 64, v2
	;; [unrolled: 11-line block ×3, first 2 shown]
	v_cmp_gt_u32_e32 vcc, s9, v1
	s_and_b64 exec, exec, vcc
	s_cbranch_execz .LBB178_28
; %bb.27:
	v_add_u32_e32 v0, v0, v1
	v_mov_b32_e32 v1, 0
	v_lshl_add_u64 v[0:1], v[0:1], 2, s[16:17]
	global_store_dword v[0:1], v103, off
.LBB178_28:
	s_endpgm
	.section	.rodata,"a",@progbits
	.p2align	6, 0x0
	.amdhsa_kernel _ZL8moe_q4_0IfLb1EEvPKvS1_PT_PKiS5_S5_iiiiiii
		.amdhsa_group_segment_fixed_size 22272
		.amdhsa_private_segment_fixed_size 0
		.amdhsa_kernarg_size 76
		.amdhsa_user_sgpr_count 2
		.amdhsa_user_sgpr_dispatch_ptr 0
		.amdhsa_user_sgpr_queue_ptr 0
		.amdhsa_user_sgpr_kernarg_segment_ptr 1
		.amdhsa_user_sgpr_dispatch_id 0
		.amdhsa_user_sgpr_kernarg_preload_length 0
		.amdhsa_user_sgpr_kernarg_preload_offset 0
		.amdhsa_user_sgpr_private_segment_size 0
		.amdhsa_uses_dynamic_stack 0
		.amdhsa_enable_private_segment 0
		.amdhsa_system_sgpr_workgroup_id_x 1
		.amdhsa_system_sgpr_workgroup_id_y 1
		.amdhsa_system_sgpr_workgroup_id_z 0
		.amdhsa_system_sgpr_workgroup_info 0
		.amdhsa_system_vgpr_workitem_id 1
		.amdhsa_next_free_vgpr 167
		.amdhsa_next_free_sgpr 25
		.amdhsa_accum_offset 168
		.amdhsa_reserve_vcc 1
		.amdhsa_float_round_mode_32 0
		.amdhsa_float_round_mode_16_64 0
		.amdhsa_float_denorm_mode_32 3
		.amdhsa_float_denorm_mode_16_64 3
		.amdhsa_dx10_clamp 1
		.amdhsa_ieee_mode 1
		.amdhsa_fp16_overflow 0
		.amdhsa_tg_split 0
		.amdhsa_exception_fp_ieee_invalid_op 0
		.amdhsa_exception_fp_denorm_src 0
		.amdhsa_exception_fp_ieee_div_zero 0
		.amdhsa_exception_fp_ieee_overflow 0
		.amdhsa_exception_fp_ieee_underflow 0
		.amdhsa_exception_fp_ieee_inexact 0
		.amdhsa_exception_int_div_zero 0
	.end_amdhsa_kernel
	.section	.text._ZL8moe_q4_0IfLb1EEvPKvS1_PT_PKiS5_S5_iiiiiii,"axG",@progbits,_ZL8moe_q4_0IfLb1EEvPKvS1_PT_PKiS5_S5_iiiiiii,comdat
.Lfunc_end178:
	.size	_ZL8moe_q4_0IfLb1EEvPKvS1_PT_PKiS5_S5_iiiiiii, .Lfunc_end178-_ZL8moe_q4_0IfLb1EEvPKvS1_PT_PKiS5_S5_iiiiiii
                                        ; -- End function
	.section	.AMDGPU.csdata,"",@progbits
; Kernel info:
; codeLenInByte = 9008
; NumSgprs: 31
; NumVgprs: 167
; NumAgprs: 0
; TotalNumVgprs: 167
; ScratchSize: 0
; MemoryBound: 0
; FloatMode: 240
; IeeeMode: 1
; LDSByteSize: 22272 bytes/workgroup (compile time only)
; SGPRBlocks: 3
; VGPRBlocks: 20
; NumSGPRsForWavesPerEU: 31
; NumVGPRsForWavesPerEU: 167
; AccumOffset: 168
; Occupancy: 2
; WaveLimiterHint : 1
; COMPUTE_PGM_RSRC2:SCRATCH_EN: 0
; COMPUTE_PGM_RSRC2:USER_SGPR: 2
; COMPUTE_PGM_RSRC2:TRAP_HANDLER: 0
; COMPUTE_PGM_RSRC2:TGID_X_EN: 1
; COMPUTE_PGM_RSRC2:TGID_Y_EN: 1
; COMPUTE_PGM_RSRC2:TGID_Z_EN: 0
; COMPUTE_PGM_RSRC2:TIDIG_COMP_CNT: 1
; COMPUTE_PGM_RSRC3_GFX90A:ACCUM_OFFSET: 41
; COMPUTE_PGM_RSRC3_GFX90A:TG_SPLIT: 0
	.section	.text._ZL8moe_q4_1IfLb0EEvPKvS1_PT_PKiS5_S5_iiiiiii,"axG",@progbits,_ZL8moe_q4_1IfLb0EEvPKvS1_PT_PKiS5_S5_iiiiiii,comdat
	.globl	_ZL8moe_q4_1IfLb0EEvPKvS1_PT_PKiS5_S5_iiiiiii ; -- Begin function _ZL8moe_q4_1IfLb0EEvPKvS1_PT_PKiS5_S5_iiiiiii
	.p2align	8
	.type	_ZL8moe_q4_1IfLb0EEvPKvS1_PT_PKiS5_S5_iiiiiii,@function
_ZL8moe_q4_1IfLb0EEvPKvS1_PT_PKiS5_S5_iiiiiii: ; @_ZL8moe_q4_1IfLb0EEvPKvS1_PT_PKiS5_S5_iiiiiii
; %bb.0:
	s_load_dwordx4 s[4:7], s[0:1], 0x18
	s_mov_b32 s8, s3
	s_mov_b32 s9, 0
	s_lshl_b64 s[10:11], s[8:9], 2
	s_waitcnt lgkmcnt(0)
	s_add_u32 s6, s6, s10
	s_addc_u32 s7, s7, s11
	s_load_dword s3, s[6:7], 0x0
	s_waitcnt lgkmcnt(0)
	s_cmpk_gt_u32 s3, 0xff
	s_cbranch_scc1 .LBB179_28
; %bb.1:
	s_load_dwordx2 s[6:7], s[0:1], 0x28
	s_waitcnt lgkmcnt(0)
	s_load_dword s7, s[6:7], 0x0
	s_lshl_b32 s6, s8, 3
	s_waitcnt lgkmcnt(0)
	s_cmp_gt_u32 s6, s7
	s_cbranch_scc1 .LBB179_28
; %bb.2:
	v_bfe_u32 v2, v0, 10, 10
	v_mov_b32_e32 v4, s4
	v_mov_b32_e32 v5, s5
	v_add_u32_e32 v70, s6, v2
	v_mov_b32_e32 v71, 0
	v_lshl_add_u64 v[4:5], v[70:71], 2, v[4:5]
	global_load_dword v1, v[4:5], off
	s_load_dwordx2 s[14:15], s[0:1], 0x30
	s_load_dwordx2 s[12:13], s[0:1], 0x10
	s_load_dwordx4 s[4:7], s[0:1], 0x3c
	s_lshl_b32 s22, s2, 7
	s_waitcnt lgkmcnt(0)
	s_cmp_lt_i32 s15, 32
	s_cbranch_scc1 .LBB179_18
; %bb.3:
	s_load_dwordx4 s[8:11], s[0:1], 0x0
	s_ashr_i32 s0, s15, 31
	s_ashr_i32 s1, s5, 31
	s_lshr_b32 s0, s0, 27
	s_lshr_b32 s1, s1, 27
	s_add_i32 s0, s15, s0
	s_add_i32 s1, s5, s1
	v_and_b32_e32 v24, 0x3ff, v0
	s_ashr_i32 s23, s0, 5
	s_ashr_i32 s5, s1, 5
	v_lshlrev_b32_e32 v3, 2, v24
	s_movk_i32 s1, 0x84
	v_mul_lo_u32 v9, s23, v2
	v_mad_u32_u24 v98, v2, s1, v3
	s_lshl_b32 s1, s23, 3
	v_add_u32_e32 v10, s1, v9
	v_add_u32_e32 v11, s1, v10
	;; [unrolled: 1-line block ×13, first 2 shown]
	v_lshlrev_b32_e32 v6, 2, v2
	v_lshrrev_b32_e32 v114, 3, v24
	v_add_u32_e32 v58, s1, v56
	v_and_b32_e32 v68, 7, v24
	v_add_u32_e32 v4, v114, v6
	v_add_u32_e32 v60, s1, v58
	v_and_b32_e32 v5, 0x1ffc, v4
	v_lshlrev_b32_e32 v7, 2, v68
	s_movk_i32 s1, 0x4200
	v_add3_u32 v70, v5, v7, s1
	v_add_u32_e32 v5, 32, v4
	v_mul_lo_u32 v62, s23, v4
	v_lshlrev_b32_e32 v71, 5, v4
	v_and_b32_e32 v25, 0x3ffc, v5
	v_lshlrev_b32_e32 v73, 5, v5
	v_add_u32_e32 v5, 64, v4
	v_add_u32_e32 v4, 0x60, v4
	v_mov_b32_e32 v23, 0
	v_add3_u32 v72, v25, v7, s1
	v_and_b32_e32 v25, 0x3ffc, v5
	v_lshlrev_b32_e32 v75, 5, v5
	v_and_b32_e32 v5, 0x3ffc, v4
	v_add3_u32 v76, v5, v7, s1
	v_lshlrev_b32_e32 v77, 5, v4
	v_and_b32_e32 v4, 28, v3
	v_mov_b32_e32 v5, v23
	v_and_b32_e32 v22, 12, v3
	v_add3_u32 v74, v25, v7, s1
	v_and_b32_e32 v7, 31, v24
	s_waitcnt lgkmcnt(0)
	v_lshl_add_u64 v[26:27], s[10:11], 0, v[4:5]
	v_lshlrev_b32_e32 v3, 7, v2
	v_mov_b32_e32 v5, 0x5680
	v_lshl_or_b32 v4, v7, 2, v3
	v_add_u32_e32 v117, 0x5280, v3
	v_lshl_add_u32 v118, v2, 4, v5
	v_and_b32_e32 v2, 0xfc, v24
	v_lshlrev_b32_e32 v3, 5, v24
	v_add_u32_e32 v115, 0x5280, v4
	v_or_b32_e32 v4, v6, v24
	v_add3_u32 v120, v3, v2, s1
	v_add_u32_e32 v2, 32, v24
	v_lshl_add_u32 v116, v4, 2, v5
	v_and_b32_e32 v3, 0x1fc, v2
	v_lshlrev_b32_e32 v4, 5, v2
	v_add3_u32 v121, v4, v3, s1
	v_add_u32_e32 v3, 64, v24
	s_mul_i32 s16, s3, s14
	v_and_b32_e32 v4, 0x1fc, v3
	v_lshlrev_b32_e32 v3, 5, v3
	s_abs_i32 s3, s7
	v_add3_u32 v122, v3, v4, s1
	v_cvt_f32_u32_e32 v4, s3
	v_add_u32_e32 v3, 0x60, v24
	v_and_b32_e32 v5, 0x1fc, v3
	v_lshlrev_b32_e32 v3, 5, v3
	v_add3_u32 v123, v3, v5, s1
	v_rcp_iflag_f32_e32 v3, v4
	s_andn2_b32 s0, s0, 31
	v_add_u32_e32 v64, s0, v62
	v_add_u32_e32 v66, s0, v64
	v_mul_f32_e32 v3, 0x4f7ffffe, v3
	v_cvt_u32_f32_e32 v3, v3
	v_add_u32_e32 v69, s0, v66
	s_sub_i32 s0, 0, s3
	s_waitcnt vmcnt(0)
	v_sub_u32_e32 v4, 0, v1
	v_mul_lo_u32 v5, s0, v3
	v_mul_hi_u32 v5, v3, v5
	v_max_i32_e32 v4, v1, v4
	v_add_u32_e32 v3, v3, v5
	v_mul_hi_u32 v3, v4, v3
	v_mul_lo_u32 v5, v3, s3
	v_sub_u32_e32 v4, v4, v5
	v_add_u32_e32 v5, 1, v3
	v_cmp_le_u32_e64 s[0:1], s3, v4
	v_lshrrev_b32_e32 v124, 3, v2
	v_xor_b32_e32 v2, s7, v1
	v_cndmask_b32_e64 v3, v3, v5, s[0:1]
	v_subrev_u32_e32 v5, s3, v4
	v_cndmask_b32_e64 v4, v4, v5, s[0:1]
	v_add_u32_e32 v5, 1, v3
	v_cmp_le_u32_e64 s[0:1], s3, v4
	v_ashrrev_i32_e32 v2, 31, v2
	v_mov_b32_e32 v25, v23
	v_cndmask_b32_e64 v3, v3, v5, s[0:1]
	v_xor_b32_e32 v3, v3, v2
	v_sub_u32_e32 v2, v3, v2
	v_cmp_gt_i32_e64 s[0:1], s4, v2
	v_mul_lo_u32 v2, v2, s5
	v_ashrrev_i32_e32 v3, 31, v2
	v_lshl_add_u64 v[4:5], v[2:3], 0, v[24:25]
	v_mad_u64_u32 v[6:7], s[18:19], v4, 36, s[10:11]
	s_mul_i32 s2, s23, s22
	v_mad_i32_i24 v7, v5, 36, v7
	s_mov_b64 s[18:19], 0x90
	v_lshl_add_u64 v[28:29], v[6:7], 0, s[18:19]
	s_mul_hi_i32 s3, s2, 20
	s_mul_i32 s18, s2, 20
	v_lshrrev_b32_e32 v8, 2, v24
	v_add_u32_e32 v25, v24, v2
	v_add_u32_e32 v125, v124, v2
	;; [unrolled: 1-line block ×3, first 2 shown]
	v_mov_b32_e32 v2, s18
	v_mov_b32_e32 v3, s3
	v_mad_u64_u32 v[2:3], s[18:19], v8, 20, v[2:3]
	v_mad_u64_u32 v[4:5], s[18:19], v9, 20, v[2:3]
	v_lshl_add_u64 v[4:5], v[4:5], 0, v[22:23]
	v_lshl_add_u64 v[4:5], v[4:5], 0, s[8:9]
	v_lshl_add_u64 v[30:31], v[4:5], 0, 4
	v_mad_u64_u32 v[4:5], s[18:19], v10, 20, v[2:3]
	v_lshl_add_u64 v[4:5], v[4:5], 0, v[22:23]
	v_lshl_add_u64 v[4:5], v[4:5], 0, s[8:9]
	v_lshl_add_u64 v[32:33], v[4:5], 0, 4
	;; [unrolled: 4-line block ×14, first 2 shown]
	v_mad_u64_u32 v[4:5], s[18:19], v58, 20, v[2:3]
	v_mad_u64_u32 v[2:3], s[18:19], v60, 20, v[2:3]
	v_lshl_add_u64 v[2:3], v[2:3], 0, v[22:23]
	v_lshl_add_u64 v[2:3], v[2:3], 0, s[8:9]
	;; [unrolled: 1-line block ×3, first 2 shown]
	v_mad_u64_u32 v[2:3], s[18:19], v62, 20, 0
	v_mad_i64_i32 v[2:3], s[18:19], s2, 20, v[2:3]
	v_mad_u64_u32 v[2:3], s[18:19], v68, 20, v[2:3]
	v_lshl_add_u64 v[62:63], s[8:9], 0, v[2:3]
	v_mad_u64_u32 v[2:3], s[18:19], v64, 20, 0
	v_mad_i64_i32 v[2:3], s[18:19], s2, 20, v[2:3]
	v_mad_u64_u32 v[2:3], s[18:19], v68, 20, v[2:3]
	v_lshl_add_u64 v[64:65], s[8:9], 0, v[2:3]
	;; [unrolled: 4-line block ×3, first 2 shown]
	v_mad_u64_u32 v[2:3], s[18:19], v69, 20, 0
	v_lshl_add_u64 v[4:5], v[4:5], 0, v[22:23]
	v_mad_i64_i32 v[2:3], s[2:3], s2, 20, v[2:3]
	v_mul_u32_u24_e32 v119, 0x84, v24
	v_lshl_add_u64 v[4:5], v[4:5], 0, s[8:9]
	v_mad_u64_u32 v[2:3], s[2:3], v68, 20, v[2:3]
	s_ashr_i32 s17, s16, 31
	s_mov_b32 s14, 0
	v_add_u32_e32 v99, 0x420, v98
	v_add_u32_e32 v100, 0x840, v98
	;; [unrolled: 1-line block ×15, first 2 shown]
	v_cmp_gt_u32_e32 vcc, 4, v24
	v_lshl_add_u64 v[58:59], v[4:5], 0, 4
	v_lshl_add_u64 v[68:69], s[8:9], 0, v[2:3]
	s_movk_i32 s24, 0x80
	v_add_u32_e32 v127, v70, v71
	v_add_u32_e32 v128, v72, v73
	;; [unrolled: 1-line block ×28, first 2 shown]
	s_mov_b64 s[8:9], 0x120
	s_mov_b64 s[18:19], 0xa0
	v_mov_b32_e32 v22, v23
	v_mov_b32_e32 v70, v23
	;; [unrolled: 1-line block ×3, first 2 shown]
	s_branch .LBB179_6
.LBB179_4:                              ;   in Loop: Header=BB179_6 Depth=1
	s_or_b64 exec, exec, s[20:21]
	s_waitcnt lgkmcnt(0)
	s_barrier
	ds_read_b128 v[2:5], v118
	ds_read2_b32 v[72:73], v119 offset0:16 offset1:17
	ds_read_b128 v[14:17], v117
	ds_read_b128 v[18:21], v117 offset:16
	ds_read_b128 v[6:9], v117 offset:32
	;; [unrolled: 1-line block ×3, first 2 shown]
	ds_read2_b32 v[74:75], v120 offset0:4 offset1:5
	s_waitcnt lgkmcnt(5)
	v_and_b32_e32 v76, 0xf0f0f0f, v72
	v_lshrrev_b32_e32 v72, 4, v72
	v_mov_b32_e32 v92, 0
	v_and_b32_e32 v72, 0xf0f0f0f, v72
	s_waitcnt lgkmcnt(4)
	v_dot4c_i32_i8_e32 v92, v76, v14
	s_waitcnt lgkmcnt(3)
	v_dot4c_i32_i8_e32 v92, v72, v18
	v_and_b32_e32 v72, 0xf0f0f0f, v73
	v_lshrrev_b32_e32 v73, 4, v73
	v_and_b32_e32 v76, 0xf0f0f0f, v73
	v_dot4c_i32_i8_e32 v92, v72, v15
	ds_read2_b32 v[72:73], v119 offset0:18 offset1:19
	v_dot4c_i32_i8_e32 v92, v76, v19
	ds_read2_b32 v[82:83], v119 offset0:20 offset1:21
	ds_read2_b32 v[84:85], v119 offset0:22 offset1:23
	;; [unrolled: 1-line block ×3, first 2 shown]
	s_waitcnt lgkmcnt(4)
	v_pk_mul_f16 v93, v2, v74
	v_mov_b32_e32 v155, 0
	s_waitcnt lgkmcnt(3)
	v_and_b32_e32 v76, 0xf0f0f0f, v72
	v_lshrrev_b32_e32 v72, 4, v72
	v_and_b32_e32 v72, 0xf0f0f0f, v72
	v_dot4c_i32_i8_e32 v92, v76, v16
	v_dot4c_i32_i8_e32 v92, v72, v20
	v_and_b32_e32 v72, 0xf0f0f0f, v73
	v_dot4c_i32_i8_e32 v92, v72, v17
	v_add_u32_e32 v72, 0x10c0, v119
	ds_read2_b32 v[78:79], v72 offset1:1
	ds_read2_b32 v[90:91], v119 offset0:26 offset1:27
	ds_read2_b32 v[76:77], v119 offset0:28 offset1:29
	;; [unrolled: 1-line block ×3, first 2 shown]
	v_lshrrev_b32_e32 v73, 4, v73
	s_waitcnt lgkmcnt(3)
	v_and_b32_e32 v74, 0xf0f0f0f, v78
	v_lshrrev_b32_e32 v78, 4, v78
	v_and_b32_e32 v78, 0xf0f0f0f, v78
	v_dot4c_i32_i8_e32 v155, v74, v14
	v_dot4c_i32_i8_e32 v155, v78, v18
	v_and_b32_e32 v74, 0xf0f0f0f, v79
	v_lshrrev_b32_e32 v78, 4, v79
	v_and_b32_e32 v73, 0xf0f0f0f, v73
	v_and_b32_e32 v78, 0xf0f0f0f, v78
	v_dot4c_i32_i8_e32 v155, v74, v15
	v_add_u32_e32 v74, 0x10c8, v119
	v_dot4c_i32_i8_e32 v92, v73, v21
	ds_read2_b32 v[94:95], v121 offset0:4 offset1:5
	ds_read2_b32 v[72:73], v123 offset0:6 offset1:7
	v_dot4c_i32_i8_e32 v155, v78, v19
	ds_read2_b32 v[78:79], v74 offset1:1
	v_add_u32_e32 v86, 0x2140, v119
	v_add_u32_e32 v74, 0x31c0, v119
	;; [unrolled: 1-line block ×3, first 2 shown]
	ds_read2_b32 v[96:97], v86 offset1:1
	ds_read2_b32 v[156:157], v87 offset1:1
	;; [unrolled: 1-line block ×3, first 2 shown]
	s_waitcnt lgkmcnt(3)
	v_and_b32_e32 v74, 0xf0f0f0f, v78
	v_lshrrev_b32_e32 v78, 4, v78
	v_and_b32_e32 v78, 0xf0f0f0f, v78
	v_dot4c_i32_i8_e32 v155, v74, v16
	v_dot4c_i32_i8_e32 v155, v78, v20
	v_and_b32_e32 v74, 0xf0f0f0f, v79
	v_dot4c_i32_i8_e32 v155, v74, v17
	s_waitcnt lgkmcnt(2)
	v_lshrrev_b32_e32 v74, 4, v96
	v_and_b32_e32 v162, 0xf0f0f0f, v96
	v_and_b32_e32 v96, 0xf0f0f0f, v74
	v_mov_b32_e32 v74, 0
	v_dot4c_i32_i8_e32 v74, v162, v14
	v_dot4c_i32_i8_e32 v74, v96, v18
	v_and_b32_e32 v96, 0xf0f0f0f, v97
	v_lshrrev_b32_e32 v97, 4, v97
	v_and_b32_e32 v97, 0xf0f0f0f, v97
	v_dot4c_i32_i8_e32 v74, v96, v15
	v_dot4c_i32_i8_e32 v74, v97, v19
	s_waitcnt lgkmcnt(1)
	v_and_b32_e32 v96, 0xf0f0f0f, v156
	v_lshrrev_b32_e32 v97, 4, v156
	v_and_b32_e32 v97, 0xf0f0f0f, v97
	v_dot4c_i32_i8_e32 v74, v96, v16
	v_dot4c_i32_i8_e32 v74, v97, v20
	v_and_b32_e32 v96, 0xf0f0f0f, v157
	v_lshrrev_b32_e32 v97, 4, v157
	v_and_b32_e32 v97, 0xf0f0f0f, v97
	v_dot4c_i32_i8_e32 v74, v96, v17
	v_dot4c_i32_i8_e32 v74, v97, v21
	s_waitcnt lgkmcnt(0)
	v_and_b32_e32 v96, 0xf0f0f0f, v158
	v_lshrrev_b32_e32 v97, 4, v158
	v_mov_b32_e32 v162, 0
	v_and_b32_e32 v97, 0xf0f0f0f, v97
	v_dot4c_i32_i8_e32 v162, v96, v14
	v_lshrrev_b32_e32 v78, 4, v79
	v_dot4c_i32_i8_e32 v162, v97, v18
	v_and_b32_e32 v14, 0xf0f0f0f, v159
	v_and_b32_e32 v78, 0xf0f0f0f, v78
	v_dot4c_i32_i8_e32 v162, v14, v15
	v_add_u32_e32 v14, 0x31c8, v119
	v_dot4c_i32_i8_e32 v155, v78, v21
	ds_read2_b32 v[160:161], v122 offset0:4 offset1:5
	ds_read2_b32 v[78:79], v121 offset0:6 offset1:7
	;; [unrolled: 1-line block ×3, first 2 shown]
	ds_read2_b32 v[14:15], v14 offset1:1
	v_lshrrev_b32_e32 v18, 4, v159
	v_and_b32_e32 v18, 0xf0f0f0f, v18
	v_dot4c_i32_i8_e32 v162, v18, v19
	v_add_u32_e32 v18, 0x10d0, v119
	v_add_u32_e32 v96, 0x10d8, v119
	;; [unrolled: 1-line block ×3, first 2 shown]
	s_waitcnt lgkmcnt(0)
	v_and_b32_e32 v158, 0xf0f0f0f, v14
	ds_read2_b32 v[18:19], v18 offset1:1
	ds_read2_b32 v[96:97], v96 offset1:1
	;; [unrolled: 1-line block ×3, first 2 shown]
	v_dot4c_i32_i8_e32 v162, v158, v16
	ds_read2_b32 v[158:159], v123 offset0:4 offset1:5
	v_lshrrev_b32_e32 v14, 4, v14
	v_and_b32_e32 v14, 0xf0f0f0f, v14
	v_dot4c_i32_i8_e32 v162, v14, v20
	v_and_b32_e32 v14, 0xf0f0f0f, v15
	v_lshrrev_b32_e32 v15, 4, v15
	v_and_b32_e32 v15, 0xf0f0f0f, v15
	v_dot4c_i32_i8_e32 v162, v14, v17
	v_pk_mul_f16 v94, v2, v94
	v_pk_mul_f16 v160, v2, v160
	v_dot4c_i32_i8_e32 v162, v15, v21
	ds_read2_b32 v[14:15], v122 offset0:6 offset1:7
	s_waitcnt lgkmcnt(1)
	v_pk_mul_f16 v158, v2, v158
	v_and_b32_e32 v2, 0xf0f0f0f, v82
	v_lshrrev_b32_e32 v16, 4, v82
	v_mov_b32_e32 v163, 0
	v_and_b32_e32 v16, 0xf0f0f0f, v16
	v_dot4c_i32_i8_e32 v163, v2, v6
	v_dot4c_i32_i8_e32 v163, v16, v10
	v_and_b32_e32 v2, 0xf0f0f0f, v83
	v_lshrrev_b32_e32 v16, 4, v83
	v_and_b32_e32 v16, 0xf0f0f0f, v16
	v_dot4c_i32_i8_e32 v163, v2, v7
	v_dot4c_i32_i8_e32 v163, v16, v11
	v_and_b32_e32 v2, 0xf0f0f0f, v84
	v_lshrrev_b32_e32 v16, 4, v84
	;; [unrolled: 5-line block ×4, first 2 shown]
	v_mov_b32_e32 v84, 0
	v_and_b32_e32 v16, 0xf0f0f0f, v16
	v_dot4c_i32_i8_e32 v84, v2, v6
	v_dot4c_i32_i8_e32 v84, v16, v10
	v_and_b32_e32 v2, 0xf0f0f0f, v19
	v_lshrrev_b32_e32 v16, 4, v19
	v_and_b32_e32 v16, 0xf0f0f0f, v16
	v_dot4c_i32_i8_e32 v84, v2, v7
	v_dot4c_i32_i8_e32 v84, v16, v11
	v_and_b32_e32 v2, 0xf0f0f0f, v96
	v_lshrrev_b32_e32 v16, 4, v96
	v_and_b32_e32 v16, 0xf0f0f0f, v16
	v_dot4c_i32_i8_e32 v84, v2, v8
	v_dot4c_i32_i8_e32 v84, v16, v12
	v_and_b32_e32 v2, 0xf0f0f0f, v97
	v_lshrrev_b32_e32 v16, 4, v97
	v_and_b32_e32 v16, 0xf0f0f0f, v16
	v_dot4c_i32_i8_e32 v84, v2, v9
	v_dot4c_i32_i8_e32 v84, v16, v13
	v_pk_mul_f16 v85, v3, v95
	v_and_b32_e32 v2, 0xf0f0f0f, v156
	v_lshrrev_b32_e32 v16, 4, v156
	v_mov_b32_e32 v95, 0
	v_and_b32_e32 v16, 0xf0f0f0f, v16
	v_dot4c_i32_i8_e32 v95, v2, v6
	v_dot4c_i32_i8_e32 v95, v16, v10
	v_and_b32_e32 v2, 0xf0f0f0f, v157
	v_lshrrev_b32_e32 v16, 4, v157
	v_and_b32_e32 v16, 0xf0f0f0f, v16
	v_dot4c_i32_i8_e32 v95, v2, v7
	v_add_u32_e32 v2, 0x2158, v119
	v_dot4c_i32_i8_e32 v95, v16, v11
	ds_read2_b32 v[16:17], v2 offset1:1
	v_add_u32_e32 v18, 0x31d0, v119
	v_add_u32_e32 v20, 0x31d8, v119
	;; [unrolled: 1-line block ×3, first 2 shown]
	ds_read2_b32 v[18:19], v18 offset1:1
	ds_read2_b32 v[20:21], v20 offset1:1
	;; [unrolled: 1-line block ×3, first 2 shown]
	s_waitcnt lgkmcnt(3)
	v_and_b32_e32 v2, 0xf0f0f0f, v16
	v_lshrrev_b32_e32 v16, 4, v16
	v_and_b32_e32 v16, 0xf0f0f0f, v16
	v_dot4c_i32_i8_e32 v95, v2, v8
	v_dot4c_i32_i8_e32 v95, v16, v12
	v_and_b32_e32 v2, 0xf0f0f0f, v17
	v_lshrrev_b32_e32 v16, 4, v17
	v_and_b32_e32 v16, 0xf0f0f0f, v16
	v_dot4c_i32_i8_e32 v95, v2, v9
	v_dot4c_i32_i8_e32 v95, v16, v13
	s_waitcnt lgkmcnt(2)
	v_and_b32_e32 v2, 0xf0f0f0f, v18
	v_lshrrev_b32_e32 v16, 4, v18
	v_mov_b32_e32 v97, 0
	v_and_b32_e32 v16, 0xf0f0f0f, v16
	v_dot4c_i32_i8_e32 v97, v2, v6
	v_dot4c_i32_i8_e32 v97, v16, v10
	v_and_b32_e32 v2, 0xf0f0f0f, v19
	v_lshrrev_b32_e32 v6, 4, v19
	v_and_b32_e32 v6, 0xf0f0f0f, v6
	v_dot4c_i32_i8_e32 v97, v2, v7
	v_dot4c_i32_i8_e32 v97, v6, v11
	s_waitcnt lgkmcnt(1)
	v_and_b32_e32 v2, 0xf0f0f0f, v20
	v_lshrrev_b32_e32 v6, 4, v20
	v_and_b32_e32 v6, 0xf0f0f0f, v6
	v_dot4c_i32_i8_e32 v97, v2, v8
	v_dot4c_i32_i8_e32 v97, v6, v12
	v_and_b32_e32 v2, 0xf0f0f0f, v21
	v_lshrrev_b32_e32 v6, 4, v21
	v_and_b32_e32 v6, 0xf0f0f0f, v6
	v_dot4c_i32_i8_e32 v97, v2, v9
	v_dot4c_i32_i8_e32 v97, v6, v13
	ds_read_b128 v[6:9], v117 offset:64
	ds_read_b128 v[10:13], v117 offset:80
	v_pk_mul_f16 v75, v3, v75
	v_pk_mul_f16 v96, v3, v161
	;; [unrolled: 1-line block ×3, first 2 shown]
	v_and_b32_e32 v2, 0xf0f0f0f, v88
	v_lshrrev_b32_e32 v3, 4, v88
	v_mov_b32_e32 v88, 0
	v_and_b32_e32 v3, 0xf0f0f0f, v3
	s_waitcnt lgkmcnt(1)
	v_dot4c_i32_i8_e32 v88, v2, v6
	s_waitcnt lgkmcnt(0)
	v_dot4c_i32_i8_e32 v88, v3, v10
	v_and_b32_e32 v2, 0xf0f0f0f, v89
	v_lshrrev_b32_e32 v3, 4, v89
	v_and_b32_e32 v3, 0xf0f0f0f, v3
	v_dot4c_i32_i8_e32 v88, v2, v7
	v_dot4c_i32_i8_e32 v88, v3, v11
	v_and_b32_e32 v2, 0xf0f0f0f, v90
	v_lshrrev_b32_e32 v3, 4, v90
	v_and_b32_e32 v3, 0xf0f0f0f, v3
	v_dot4c_i32_i8_e32 v88, v2, v8
	;; [unrolled: 5-line block ×3, first 2 shown]
	v_dot4c_i32_i8_e32 v88, v3, v13
	v_and_b32_e32 v2, 0xf0f0f0f, v82
	v_lshrrev_b32_e32 v3, 4, v82
	v_mov_b32_e32 v89, 0
	v_and_b32_e32 v3, 0xf0f0f0f, v3
	v_dot4c_i32_i8_e32 v89, v2, v6
	v_dot4c_i32_i8_e32 v89, v3, v10
	v_and_b32_e32 v2, 0xf0f0f0f, v83
	v_lshrrev_b32_e32 v3, 4, v83
	v_and_b32_e32 v3, 0xf0f0f0f, v3
	v_dot4c_i32_i8_e32 v89, v2, v7
	v_add_u32_e32 v2, 0x10e8, v119
	v_dot4c_i32_i8_e32 v89, v3, v11
	ds_read2_b32 v[2:3], v2 offset1:1
	v_add_u32_e32 v16, 0x2160, v119
	v_add_u32_e32 v18, 0x2168, v119
	v_add_u32_e32 v20, 0x31e0, v119
	ds_read2_b32 v[16:17], v16 offset1:1
	ds_read2_b32 v[18:19], v18 offset1:1
	;; [unrolled: 1-line block ×3, first 2 shown]
	s_waitcnt lgkmcnt(3)
	v_and_b32_e32 v82, 0xf0f0f0f, v2
	v_lshrrev_b32_e32 v2, 4, v2
	v_and_b32_e32 v2, 0xf0f0f0f, v2
	v_dot4c_i32_i8_e32 v89, v82, v8
	v_dot4c_i32_i8_e32 v89, v2, v12
	v_and_b32_e32 v2, 0xf0f0f0f, v3
	v_lshrrev_b32_e32 v3, 4, v3
	v_and_b32_e32 v3, 0xf0f0f0f, v3
	v_dot4c_i32_i8_e32 v89, v2, v9
	v_dot4c_i32_i8_e32 v89, v3, v13
	s_waitcnt lgkmcnt(2)
	v_and_b32_e32 v2, 0xf0f0f0f, v16
	v_lshrrev_b32_e32 v3, 4, v16
	v_mov_b32_e32 v90, 0
	v_and_b32_e32 v3, 0xf0f0f0f, v3
	v_dot4c_i32_i8_e32 v90, v2, v6
	v_dot4c_i32_i8_e32 v90, v3, v10
	v_and_b32_e32 v2, 0xf0f0f0f, v17
	v_lshrrev_b32_e32 v3, 4, v17
	v_and_b32_e32 v3, 0xf0f0f0f, v3
	v_dot4c_i32_i8_e32 v90, v2, v7
	v_dot4c_i32_i8_e32 v90, v3, v11
	s_waitcnt lgkmcnt(1)
	v_and_b32_e32 v2, 0xf0f0f0f, v18
	v_lshrrev_b32_e32 v3, 4, v18
	v_and_b32_e32 v3, 0xf0f0f0f, v3
	v_dot4c_i32_i8_e32 v90, v2, v8
	v_dot4c_i32_i8_e32 v90, v3, v12
	v_and_b32_e32 v2, 0xf0f0f0f, v19
	v_lshrrev_b32_e32 v3, 4, v19
	v_and_b32_e32 v3, 0xf0f0f0f, v3
	v_dot4c_i32_i8_e32 v90, v2, v9
	v_dot4c_i32_i8_e32 v90, v3, v13
	s_waitcnt lgkmcnt(0)
	v_and_b32_e32 v2, 0xf0f0f0f, v20
	v_lshrrev_b32_e32 v3, 4, v20
	v_mov_b32_e32 v157, 0
	v_and_b32_e32 v3, 0xf0f0f0f, v3
	v_dot4c_i32_i8_e32 v157, v2, v6
	v_dot4c_i32_i8_e32 v157, v3, v10
	v_and_b32_e32 v2, 0xf0f0f0f, v21
	v_lshrrev_b32_e32 v3, 4, v21
	v_and_b32_e32 v3, 0xf0f0f0f, v3
	v_dot4c_i32_i8_e32 v157, v2, v7
	v_add_u32_e32 v2, 0x31e8, v119
	v_dot4c_i32_i8_e32 v157, v3, v11
	ds_read2_b32 v[2:3], v2 offset1:1
	v_add_u32_e32 v6, 0x10f0, v119
	v_add_u32_e32 v7, 0x10f8, v119
	v_add_u32_e32 v10, 0x2170, v119
	ds_read2_b32 v[16:17], v6 offset1:1
	ds_read2_b32 v[18:19], v7 offset1:1
	;; [unrolled: 1-line block ×3, first 2 shown]
	s_waitcnt lgkmcnt(3)
	v_and_b32_e32 v6, 0xf0f0f0f, v2
	v_lshrrev_b32_e32 v2, 4, v2
	v_and_b32_e32 v2, 0xf0f0f0f, v2
	v_dot4c_i32_i8_e32 v157, v6, v8
	v_dot4c_i32_i8_e32 v157, v2, v12
	v_and_b32_e32 v2, 0xf0f0f0f, v3
	v_lshrrev_b32_e32 v3, 4, v3
	v_and_b32_e32 v3, 0xf0f0f0f, v3
	v_dot4c_i32_i8_e32 v157, v2, v9
	v_dot4c_i32_i8_e32 v157, v3, v13
	ds_read_b128 v[6:9], v117 offset:96
	ds_read_b128 v[10:13], v117 offset:112
	v_pk_mul_f16 v86, v4, v86
	v_pk_mul_f16 v78, v4, v78
	;; [unrolled: 1-line block ×4, first 2 shown]
	v_and_b32_e32 v2, 0xf0f0f0f, v76
	v_lshrrev_b32_e32 v3, 4, v76
	v_mov_b32_e32 v4, 0
	v_and_b32_e32 v3, 0xf0f0f0f, v3
	s_waitcnt lgkmcnt(1)
	v_dot4c_i32_i8_e32 v4, v2, v6
	s_waitcnt lgkmcnt(0)
	v_dot4c_i32_i8_e32 v4, v3, v10
	v_and_b32_e32 v2, 0xf0f0f0f, v77
	v_lshrrev_b32_e32 v3, 4, v77
	v_and_b32_e32 v3, 0xf0f0f0f, v3
	v_dot4c_i32_i8_e32 v4, v2, v7
	v_dot4c_i32_i8_e32 v4, v3, v11
	v_and_b32_e32 v2, 0xf0f0f0f, v80
	v_lshrrev_b32_e32 v3, 4, v80
	v_and_b32_e32 v3, 0xf0f0f0f, v3
	v_dot4c_i32_i8_e32 v4, v2, v8
	;; [unrolled: 5-line block ×3, first 2 shown]
	v_dot4c_i32_i8_e32 v4, v3, v13
	v_pk_mul_f16 v14, v5, v87
	v_and_b32_e32 v2, 0xf0f0f0f, v16
	v_lshrrev_b32_e32 v3, 4, v16
	v_mov_b32_e32 v87, 0
	v_and_b32_e32 v3, 0xf0f0f0f, v3
	v_dot4c_i32_i8_e32 v87, v2, v6
	v_dot4c_i32_i8_e32 v87, v3, v10
	v_and_b32_e32 v2, 0xf0f0f0f, v17
	v_lshrrev_b32_e32 v3, 4, v17
	v_and_b32_e32 v3, 0xf0f0f0f, v3
	v_dot4c_i32_i8_e32 v87, v2, v7
	v_dot4c_i32_i8_e32 v87, v3, v11
	v_and_b32_e32 v2, 0xf0f0f0f, v18
	v_lshrrev_b32_e32 v3, 4, v18
	;; [unrolled: 5-line block ×3, first 2 shown]
	v_and_b32_e32 v3, 0xf0f0f0f, v3
	v_dot4c_i32_i8_e32 v87, v2, v9
	v_dot4c_i32_i8_e32 v87, v3, v13
	v_cvt_f32_f16_e32 v3, v94
	v_cvt_f32_f16_e32 v2, v93
	v_cvt_f32_f16_sdwa v17, v94 dst_sel:DWORD dst_unused:UNUSED_PAD src0_sel:WORD_1
	v_cvt_f32_f16_sdwa v16, v93 dst_sel:DWORD dst_unused:UNUSED_PAD src0_sel:WORD_1
	v_cvt_f32_i32_e32 v19, v155
	v_cvt_f32_i32_e32 v18, v92
	v_cvt_f32_f16_e32 v77, v85
	v_cvt_f32_f16_e32 v76, v75
	v_cvt_f32_f16_sdwa v81, v85 dst_sel:DWORD dst_unused:UNUSED_PAD src0_sel:WORD_1
	v_cvt_f32_f16_sdwa v80, v75 dst_sel:DWORD dst_unused:UNUSED_PAD src0_sel:WORD_1
	v_cvt_f32_i32_e32 v83, v84
	v_cvt_f32_i32_e32 v82, v163
	v_pk_fma_f32 v[2:3], v[2:3], v[18:19], v[16:17]
	v_pk_mul_f16 v75, v5, v79
	v_pk_add_f32 v[2:3], v[22:23], v[2:3]
	v_pk_fma_f32 v[16:17], v[76:77], v[82:83], v[80:81]
	v_cvt_f32_f16_e32 v19, v78
	v_cvt_f32_f16_e32 v18, v86
	v_cvt_f32_f16_sdwa v23, v78 dst_sel:DWORD dst_unused:UNUSED_PAD src0_sel:WORD_1
	v_cvt_f32_f16_sdwa v22, v86 dst_sel:DWORD dst_unused:UNUSED_PAD src0_sel:WORD_1
	v_cvt_f32_i32_e32 v77, v89
	v_cvt_f32_i32_e32 v76, v88
	v_cvt_f32_f16_e32 v79, v75
	v_cvt_f32_f16_e32 v78, v14
	v_cvt_f32_f16_sdwa v81, v75 dst_sel:DWORD dst_unused:UNUSED_PAD src0_sel:WORD_1
	v_cvt_f32_f16_sdwa v80, v14 dst_sel:DWORD dst_unused:UNUSED_PAD src0_sel:WORD_1
	v_cvt_f32_i32_e32 v83, v87
	v_cvt_f32_i32_e32 v82, v4
	v_pk_add_f32 v[2:3], v[2:3], v[16:17]
	v_pk_fma_f32 v[16:17], v[18:19], v[76:77], v[22:23]
	v_add_u32_e32 v4, 0x31f0, v119
	v_pk_add_f32 v[2:3], v[2:3], v[16:17]
	v_pk_fma_f32 v[16:17], v[78:79], v[82:83], v[80:81]
	v_add_u32_e32 v14, 0x31f8, v119
	v_pk_add_f32 v[22:23], v[2:3], v[16:17]
	v_and_b32_e32 v2, 0xf0f0f0f, v20
	v_lshrrev_b32_e32 v3, 4, v20
	v_mov_b32_e32 v20, 0
	v_and_b32_e32 v3, 0xf0f0f0f, v3
	v_dot4c_i32_i8_e32 v20, v2, v6
	v_dot4c_i32_i8_e32 v20, v3, v10
	v_and_b32_e32 v2, 0xf0f0f0f, v21
	v_lshrrev_b32_e32 v3, 4, v21
	v_and_b32_e32 v3, 0xf0f0f0f, v3
	v_dot4c_i32_i8_e32 v20, v2, v7
	v_add_u32_e32 v2, 0x2178, v119
	v_dot4c_i32_i8_e32 v20, v3, v11
	ds_read2_b32 v[2:3], v2 offset1:1
	ds_read2_b32 v[16:17], v4 offset1:1
	;; [unrolled: 1-line block ×3, first 2 shown]
	v_pk_mul_f16 v21, v5, v15
	v_cvt_f32_i32_e32 v15, v97
	v_cvt_f32_i32_e32 v14, v95
	s_waitcnt lgkmcnt(2)
	v_and_b32_e32 v4, 0xf0f0f0f, v2
	v_lshrrev_b32_e32 v2, 4, v2
	v_and_b32_e32 v2, 0xf0f0f0f, v2
	v_dot4c_i32_i8_e32 v20, v4, v8
	v_dot4c_i32_i8_e32 v20, v2, v12
	v_and_b32_e32 v2, 0xf0f0f0f, v3
	v_lshrrev_b32_e32 v3, 4, v3
	v_and_b32_e32 v3, 0xf0f0f0f, v3
	v_dot4c_i32_i8_e32 v20, v2, v9
	v_dot4c_i32_i8_e32 v20, v3, v13
	s_waitcnt lgkmcnt(1)
	v_and_b32_e32 v2, 0xf0f0f0f, v16
	v_lshrrev_b32_e32 v3, 4, v16
	v_mov_b32_e32 v16, 0
	v_and_b32_e32 v3, 0xf0f0f0f, v3
	v_dot4c_i32_i8_e32 v16, v2, v6
	v_dot4c_i32_i8_e32 v16, v3, v10
	v_and_b32_e32 v2, 0xf0f0f0f, v17
	v_lshrrev_b32_e32 v3, 4, v17
	v_and_b32_e32 v3, 0xf0f0f0f, v3
	v_dot4c_i32_i8_e32 v16, v2, v7
	v_dot4c_i32_i8_e32 v16, v3, v11
	s_waitcnt lgkmcnt(0)
	v_and_b32_e32 v2, 0xf0f0f0f, v18
	v_lshrrev_b32_e32 v3, 4, v18
	v_and_b32_e32 v3, 0xf0f0f0f, v3
	v_dot4c_i32_i8_e32 v16, v2, v8
	v_dot4c_i32_i8_e32 v16, v3, v12
	v_and_b32_e32 v2, 0xf0f0f0f, v19
	v_lshrrev_b32_e32 v3, 4, v19
	v_and_b32_e32 v3, 0xf0f0f0f, v3
	v_dot4c_i32_i8_e32 v16, v2, v9
	v_dot4c_i32_i8_e32 v16, v3, v13
	v_cvt_f32_f16_e32 v3, v158
	v_cvt_f32_f16_e32 v2, v160
	v_cvt_f32_f16_sdwa v7, v158 dst_sel:DWORD dst_unused:UNUSED_PAD src0_sel:WORD_1
	v_cvt_f32_f16_sdwa v6, v160 dst_sel:DWORD dst_unused:UNUSED_PAD src0_sel:WORD_1
	v_cvt_f32_i32_e32 v9, v162
	v_cvt_f32_i32_e32 v8, v74
	v_cvt_f32_f16_e32 v11, v156
	v_cvt_f32_f16_e32 v10, v96
	v_cvt_f32_f16_sdwa v13, v156 dst_sel:DWORD dst_unused:UNUSED_PAD src0_sel:WORD_1
	v_cvt_f32_f16_sdwa v12, v96 dst_sel:DWORD dst_unused:UNUSED_PAD src0_sel:WORD_1
	v_pk_mul_f16 v17, v5, v73
	v_pk_fma_f32 v[2:3], v[2:3], v[8:9], v[6:7]
	v_cvt_f32_f16_e32 v7, v72
	v_pk_fma_f32 v[4:5], v[10:11], v[14:15], v[12:13]
	v_cvt_f32_f16_e32 v6, v91
	v_cvt_f32_f16_sdwa v9, v72 dst_sel:DWORD dst_unused:UNUSED_PAD src0_sel:WORD_1
	v_cvt_f32_f16_sdwa v8, v91 dst_sel:DWORD dst_unused:UNUSED_PAD src0_sel:WORD_1
	v_cvt_f32_i32_e32 v11, v157
	v_cvt_f32_i32_e32 v10, v90
	v_cvt_f32_f16_e32 v13, v17
	v_cvt_f32_f16_e32 v12, v21
	v_cvt_f32_f16_sdwa v15, v17 dst_sel:DWORD dst_unused:UNUSED_PAD src0_sel:WORD_1
	v_cvt_f32_f16_sdwa v14, v21 dst_sel:DWORD dst_unused:UNUSED_PAD src0_sel:WORD_1
	v_cvt_f32_i32_e32 v17, v16
	v_cvt_f32_i32_e32 v16, v20
	v_pk_add_f32 v[2:3], v[70:71], v[2:3]
	s_nop 0
	v_pk_add_f32 v[2:3], v[2:3], v[4:5]
	v_pk_fma_f32 v[4:5], v[6:7], v[10:11], v[8:9]
	s_barrier
	v_pk_add_f32 v[2:3], v[2:3], v[4:5]
	v_pk_fma_f32 v[4:5], v[12:13], v[16:17], v[14:15]
	s_nop 0
	v_pk_add_f32 v[70:71], v[2:3], v[4:5]
.LBB179_5:                              ;   in Loop: Header=BB179_6 Depth=1
	s_add_i32 s14, s14, 8
	s_addk_i32 s24, 0x100
	v_lshl_add_u64 v[28:29], v[28:29], 0, s[8:9]
	v_lshl_add_u64 v[30:31], v[30:31], 0, s[18:19]
	v_lshl_add_u64 v[32:33], v[32:33], 0, s[18:19]
	v_lshl_add_u64 v[34:35], v[34:35], 0, s[18:19]
	v_lshl_add_u64 v[36:37], v[36:37], 0, s[18:19]
	v_lshl_add_u64 v[38:39], v[38:39], 0, s[18:19]
	v_lshl_add_u64 v[40:41], v[40:41], 0, s[18:19]
	v_lshl_add_u64 v[42:43], v[42:43], 0, s[18:19]
	v_lshl_add_u64 v[44:45], v[44:45], 0, s[18:19]
	v_lshl_add_u64 v[46:47], v[46:47], 0, s[18:19]
	v_lshl_add_u64 v[48:49], v[48:49], 0, s[18:19]
	v_lshl_add_u64 v[50:51], v[50:51], 0, s[18:19]
	v_lshl_add_u64 v[52:53], v[52:53], 0, s[18:19]
	v_lshl_add_u64 v[54:55], v[54:55], 0, s[18:19]
	v_lshl_add_u64 v[56:57], v[56:57], 0, s[18:19]
	v_lshl_add_u64 v[58:59], v[58:59], 0, s[18:19]
	v_lshl_add_u64 v[60:61], v[60:61], 0, s[18:19]
	v_lshl_add_u64 v[62:63], v[62:63], 0, s[18:19]
	v_lshl_add_u64 v[64:65], v[64:65], 0, s[18:19]
	v_lshl_add_u64 v[66:67], v[66:67], 0, s[18:19]
	s_cmp_ge_i32 s14, s23
	v_lshl_add_u64 v[68:69], v[68:69], 0, s[18:19]
	s_cbranch_scc1 .LBB179_19
.LBB179_6:                              ; =>This Inner Loop Header: Depth=1
	v_lshl_add_u64 v[2:3], v[30:31], 0, s[16:17]
	global_load_dword v4, v[2:3], off
	v_lshl_add_u64 v[2:3], v[32:33], 0, s[16:17]
	global_load_dword v5, v[2:3], off
	;; [unrolled: 2-line block ×20, first 2 shown]
	s_add_i32 s2, s24, 0xffffff80
	s_cmp_lt_i32 s2, s15
	s_waitcnt vmcnt(19)
	ds_write_b32 v98, v4
	s_waitcnt vmcnt(18)
	ds_write_b32 v99, v5
	;; [unrolled: 2-line block ×20, first 2 shown]
	s_cbranch_scc0 .LBB179_5
; %bb.7:                                ;   in Loop: Header=BB179_6 Depth=1
	v_add_u32_e32 v2, s14, v114
	v_cmp_gt_i32_e64 s[2:3], s5, v2
	s_and_b64 s[20:21], s[0:1], s[2:3]
	s_and_saveexec_b64 s[2:3], s[20:21]
	s_cbranch_execz .LBB179_9
; %bb.8:                                ;   in Loop: Header=BB179_6 Depth=1
	v_add_u32_e32 v2, s14, v126
	v_mad_i64_i32 v[2:3], s[20:21], v2, 36, v[26:27]
	global_load_dword v2, v[2:3], off offset:4
	s_waitcnt vmcnt(0)
	ds_write_b32 v115, v2
.LBB179_9:                              ;   in Loop: Header=BB179_6 Depth=1
	s_or_b64 exec, exec, s[2:3]
	s_and_saveexec_b64 s[20:21], vcc
	s_cbranch_execz .LBB179_12
; %bb.10:                               ;   in Loop: Header=BB179_6 Depth=1
	v_add_u32_e32 v2, s14, v24
	v_cmp_gt_i32_e64 s[2:3], s5, v2
	s_and_b64 s[2:3], s[0:1], s[2:3]
	s_and_b64 exec, exec, s[2:3]
	s_cbranch_execz .LBB179_12
; %bb.11:                               ;   in Loop: Header=BB179_6 Depth=1
	v_add_u32_e32 v2, s14, v25
	v_mad_i64_i32 v[2:3], s[2:3], v2, 36, s[10:11]
	global_load_dword v2, v[2:3], off
	s_waitcnt vmcnt(0)
	ds_write_b32 v116, v2
.LBB179_12:                             ;   in Loop: Header=BB179_6 Depth=1
	s_or_b64 exec, exec, s[20:21]
	s_waitcnt lgkmcnt(0)
	s_barrier
	ds_read_b128 v[2:5], v118
	ds_read2_b32 v[72:73], v119 offset1:1
	ds_read_b128 v[14:17], v117
	ds_read_b128 v[18:21], v117 offset:16
	ds_read_b128 v[6:9], v117 offset:32
	;; [unrolled: 1-line block ×3, first 2 shown]
	ds_read2_b32 v[74:75], v120 offset1:1
	s_waitcnt lgkmcnt(5)
	v_and_b32_e32 v76, 0xf0f0f0f, v72
	v_lshrrev_b32_e32 v72, 4, v72
	v_mov_b32_e32 v86, 0
	v_and_b32_e32 v72, 0xf0f0f0f, v72
	s_waitcnt lgkmcnt(4)
	v_dot4c_i32_i8_e32 v86, v76, v14
	s_waitcnt lgkmcnt(3)
	v_dot4c_i32_i8_e32 v86, v72, v18
	v_and_b32_e32 v72, 0xf0f0f0f, v73
	v_lshrrev_b32_e32 v73, 4, v73
	v_and_b32_e32 v76, 0xf0f0f0f, v73
	v_dot4c_i32_i8_e32 v86, v72, v15
	ds_read2_b32 v[72:73], v119 offset0:2 offset1:3
	v_dot4c_i32_i8_e32 v86, v76, v19
	ds_read2_b32 v[88:89], v119 offset0:4 offset1:5
	ds_read2_b32 v[90:91], v119 offset0:6 offset1:7
	;; [unrolled: 1-line block ×3, first 2 shown]
	s_waitcnt lgkmcnt(4)
	v_pk_mul_f16 v155, v2, v74
	v_mov_b32_e32 v87, 0
	s_waitcnt lgkmcnt(3)
	v_and_b32_e32 v76, 0xf0f0f0f, v72
	v_dot4c_i32_i8_e32 v86, v76, v16
	ds_read2_b32 v[96:97], v119 offset0:10 offset1:11
	ds_read2_b32 v[80:81], v119 offset0:12 offset1:13
	;; [unrolled: 1-line block ×3, first 2 shown]
	ds_read2_b32 v[76:77], v131 offset1:1
	v_lshrrev_b32_e32 v72, 4, v72
	v_and_b32_e32 v72, 0xf0f0f0f, v72
	v_dot4c_i32_i8_e32 v86, v72, v20
	v_and_b32_e32 v72, 0xf0f0f0f, v73
	s_waitcnt lgkmcnt(0)
	v_and_b32_e32 v74, 0xf0f0f0f, v76
	v_lshrrev_b32_e32 v76, 4, v76
	v_lshrrev_b32_e32 v73, 4, v73
	v_and_b32_e32 v76, 0xf0f0f0f, v76
	v_dot4c_i32_i8_e32 v87, v74, v14
	v_and_b32_e32 v73, 0xf0f0f0f, v73
	v_dot4c_i32_i8_e32 v86, v72, v17
	v_dot4c_i32_i8_e32 v87, v76, v18
	v_lshrrev_b32_e32 v76, 4, v77
	v_dot4c_i32_i8_e32 v86, v73, v21
	ds_read2_b32 v[156:157], v121 offset1:1
	ds_read2_b32 v[72:73], v123 offset0:2 offset1:3
	v_and_b32_e32 v74, 0xf0f0f0f, v77
	v_and_b32_e32 v79, 0xf0f0f0f, v76
	ds_read2_b32 v[76:77], v132 offset1:1
	v_dot4c_i32_i8_e32 v87, v74, v15
	v_dot4c_i32_i8_e32 v87, v79, v19
	ds_read2_b32 v[158:159], v133 offset1:1
	ds_read2_b32 v[160:161], v134 offset1:1
	;; [unrolled: 1-line block ×3, first 2 shown]
	v_mov_b32_e32 v166, 0
	s_waitcnt lgkmcnt(3)
	v_and_b32_e32 v74, 0xf0f0f0f, v76
	v_lshrrev_b32_e32 v76, 4, v76
	v_and_b32_e32 v76, 0xf0f0f0f, v76
	v_dot4c_i32_i8_e32 v87, v74, v16
	v_dot4c_i32_i8_e32 v87, v76, v20
	v_and_b32_e32 v74, 0xf0f0f0f, v77
	v_lshrrev_b32_e32 v76, 4, v77
	v_and_b32_e32 v76, 0xf0f0f0f, v76
	v_dot4c_i32_i8_e32 v87, v74, v17
	v_dot4c_i32_i8_e32 v87, v76, v21
	s_waitcnt lgkmcnt(2)
	v_and_b32_e32 v74, 0xf0f0f0f, v158
	v_lshrrev_b32_e32 v76, 4, v158
	v_and_b32_e32 v76, 0xf0f0f0f, v76
	v_dot4c_i32_i8_e32 v166, v74, v14
	v_dot4c_i32_i8_e32 v166, v76, v18
	v_and_b32_e32 v74, 0xf0f0f0f, v159
	v_lshrrev_b32_e32 v76, 4, v159
	v_and_b32_e32 v76, 0xf0f0f0f, v76
	v_dot4c_i32_i8_e32 v166, v74, v15
	v_dot4c_i32_i8_e32 v166, v76, v19
	s_waitcnt lgkmcnt(1)
	v_and_b32_e32 v74, 0xf0f0f0f, v160
	v_lshrrev_b32_e32 v76, 4, v160
	v_and_b32_e32 v76, 0xf0f0f0f, v76
	v_dot4c_i32_i8_e32 v166, v74, v16
	v_dot4c_i32_i8_e32 v166, v76, v20
	v_and_b32_e32 v74, 0xf0f0f0f, v161
	v_dot4c_i32_i8_e32 v166, v74, v17
	s_waitcnt lgkmcnt(0)
	v_and_b32_e32 v74, 0xf0f0f0f, v162
	v_lshrrev_b32_e32 v77, 4, v162
	v_mov_b32_e32 v167, 0
	v_and_b32_e32 v77, 0xf0f0f0f, v77
	v_dot4c_i32_i8_e32 v167, v74, v14
	v_dot4c_i32_i8_e32 v167, v77, v18
	v_and_b32_e32 v14, 0xf0f0f0f, v163
	ds_read2_b32 v[164:165], v122 offset1:1
	ds_read2_b32 v[82:83], v121 offset0:2 offset1:3
	ds_read2_b32 v[92:93], v120 offset0:2 offset1:3
	v_dot4c_i32_i8_e32 v167, v14, v15
	ds_read2_b32 v[14:15], v136 offset1:1
	v_lshrrev_b32_e32 v18, 4, v163
	v_and_b32_e32 v18, 0xf0f0f0f, v18
	v_lshrrev_b32_e32 v76, 4, v161
	v_dot4c_i32_i8_e32 v167, v18, v19
	ds_read2_b32 v[18:19], v137 offset1:1
	ds_read2_b32 v[158:159], v138 offset1:1
	;; [unrolled: 1-line block ×4, first 2 shown]
	s_waitcnt lgkmcnt(4)
	v_and_b32_e32 v74, 0xf0f0f0f, v14
	v_lshrrev_b32_e32 v14, 4, v14
	v_and_b32_e32 v76, 0xf0f0f0f, v76
	v_and_b32_e32 v14, 0xf0f0f0f, v14
	v_dot4c_i32_i8_e32 v167, v74, v16
	v_dot4c_i32_i8_e32 v166, v76, v21
	;; [unrolled: 1-line block ×3, first 2 shown]
	v_and_b32_e32 v14, 0xf0f0f0f, v15
	v_pk_mul_f16 v156, v2, v156
	v_pk_mul_f16 v164, v2, v164
	v_dot4c_i32_i8_e32 v167, v14, v17
	ds_read2_b32 v[16:17], v122 offset0:2 offset1:3
	s_waitcnt lgkmcnt(1)
	v_pk_mul_f16 v162, v2, v162
	v_cvt_f32_i32_e32 v14, v166
	v_and_b32_e32 v2, 0xf0f0f0f, v88
	v_lshrrev_b32_e32 v20, 4, v88
	v_mov_b32_e32 v166, 0
	v_and_b32_e32 v20, 0xf0f0f0f, v20
	v_dot4c_i32_i8_e32 v166, v2, v6
	v_dot4c_i32_i8_e32 v166, v20, v10
	v_and_b32_e32 v2, 0xf0f0f0f, v89
	v_lshrrev_b32_e32 v20, 4, v89
	v_and_b32_e32 v20, 0xf0f0f0f, v20
	v_dot4c_i32_i8_e32 v166, v2, v7
	v_dot4c_i32_i8_e32 v166, v20, v11
	v_and_b32_e32 v2, 0xf0f0f0f, v90
	v_lshrrev_b32_e32 v20, 4, v90
	;; [unrolled: 5-line block ×3, first 2 shown]
	v_dot4c_i32_i8_e32 v166, v2, v9
	v_and_b32_e32 v2, 0xf0f0f0f, v18
	v_lshrrev_b32_e32 v18, 4, v18
	v_mov_b32_e32 v91, 0
	v_and_b32_e32 v18, 0xf0f0f0f, v18
	v_dot4c_i32_i8_e32 v91, v2, v6
	v_dot4c_i32_i8_e32 v91, v18, v10
	v_and_b32_e32 v2, 0xf0f0f0f, v19
	v_lshrrev_b32_e32 v18, 4, v19
	v_and_b32_e32 v18, 0xf0f0f0f, v18
	v_dot4c_i32_i8_e32 v91, v2, v7
	v_dot4c_i32_i8_e32 v91, v18, v11
	v_and_b32_e32 v2, 0xf0f0f0f, v158
	v_lshrrev_b32_e32 v18, 4, v158
	;; [unrolled: 5-line block ×4, first 2 shown]
	v_mov_b32_e32 v158, 0
	v_and_b32_e32 v18, 0xf0f0f0f, v18
	v_dot4c_i32_i8_e32 v158, v2, v6
	v_and_b32_e32 v20, 0xf0f0f0f, v20
	v_dot4c_i32_i8_e32 v158, v18, v10
	v_lshrrev_b32_e32 v18, 4, v161
	v_dot4c_i32_i8_e32 v166, v20, v13
	v_and_b32_e32 v20, 0xf0f0f0f, v18
	ds_read2_b32 v[18:19], v140 offset1:1
	v_and_b32_e32 v2, 0xf0f0f0f, v161
	v_lshrrev_b32_e32 v15, 4, v15
	v_dot4c_i32_i8_e32 v158, v2, v7
	v_and_b32_e32 v15, 0xf0f0f0f, v15
	v_dot4c_i32_i8_e32 v158, v20, v11
	s_waitcnt lgkmcnt(0)
	v_and_b32_e32 v2, 0xf0f0f0f, v18
	v_lshrrev_b32_e32 v18, 4, v18
	v_dot4c_i32_i8_e32 v167, v15, v21
	v_pk_mul_f16 v90, v3, v75
	ds_read2_b32 v[20:21], v141 offset1:1
	ds_read2_b32 v[74:75], v142 offset1:1
	;; [unrolled: 1-line block ×3, first 2 shown]
	v_and_b32_e32 v18, 0xf0f0f0f, v18
	v_dot4c_i32_i8_e32 v158, v2, v8
	v_dot4c_i32_i8_e32 v158, v18, v12
	v_and_b32_e32 v2, 0xf0f0f0f, v19
	v_lshrrev_b32_e32 v18, 4, v19
	v_and_b32_e32 v18, 0xf0f0f0f, v18
	v_dot4c_i32_i8_e32 v158, v2, v9
	v_dot4c_i32_i8_e32 v158, v18, v13
	s_waitcnt lgkmcnt(2)
	v_and_b32_e32 v2, 0xf0f0f0f, v20
	v_lshrrev_b32_e32 v18, 4, v20
	v_mov_b32_e32 v160, 0
	v_and_b32_e32 v18, 0xf0f0f0f, v18
	v_dot4c_i32_i8_e32 v160, v2, v6
	v_dot4c_i32_i8_e32 v160, v18, v10
	v_and_b32_e32 v2, 0xf0f0f0f, v21
	v_lshrrev_b32_e32 v6, 4, v21
	v_and_b32_e32 v6, 0xf0f0f0f, v6
	v_dot4c_i32_i8_e32 v160, v2, v7
	v_dot4c_i32_i8_e32 v160, v6, v11
	s_waitcnt lgkmcnt(1)
	v_and_b32_e32 v2, 0xf0f0f0f, v74
	v_lshrrev_b32_e32 v6, 4, v74
	v_and_b32_e32 v6, 0xf0f0f0f, v6
	v_dot4c_i32_i8_e32 v160, v2, v8
	v_dot4c_i32_i8_e32 v160, v6, v12
	v_and_b32_e32 v2, 0xf0f0f0f, v75
	v_lshrrev_b32_e32 v6, 4, v75
	v_and_b32_e32 v6, 0xf0f0f0f, v6
	v_dot4c_i32_i8_e32 v160, v2, v9
	v_dot4c_i32_i8_e32 v160, v6, v13
	ds_read_b128 v[6:9], v117 offset:64
	ds_read_b128 v[10:13], v117 offset:80
	v_pk_mul_f16 v157, v3, v157
	v_pk_mul_f16 v159, v3, v165
	;; [unrolled: 1-line block ×3, first 2 shown]
	v_and_b32_e32 v2, 0xf0f0f0f, v94
	v_lshrrev_b32_e32 v3, 4, v94
	v_mov_b32_e32 v94, 0
	v_and_b32_e32 v3, 0xf0f0f0f, v3
	s_waitcnt lgkmcnt(1)
	v_dot4c_i32_i8_e32 v94, v2, v6
	s_waitcnt lgkmcnt(0)
	v_dot4c_i32_i8_e32 v94, v3, v10
	v_and_b32_e32 v2, 0xf0f0f0f, v95
	v_lshrrev_b32_e32 v3, 4, v95
	v_and_b32_e32 v3, 0xf0f0f0f, v3
	v_dot4c_i32_i8_e32 v94, v2, v7
	v_dot4c_i32_i8_e32 v94, v3, v11
	v_and_b32_e32 v2, 0xf0f0f0f, v96
	v_lshrrev_b32_e32 v3, 4, v96
	v_and_b32_e32 v3, 0xf0f0f0f, v3
	v_dot4c_i32_i8_e32 v94, v2, v8
	;; [unrolled: 5-line block ×3, first 2 shown]
	v_dot4c_i32_i8_e32 v94, v3, v13
	v_and_b32_e32 v2, 0xf0f0f0f, v88
	v_lshrrev_b32_e32 v3, 4, v88
	v_mov_b32_e32 v88, 0
	v_and_b32_e32 v3, 0xf0f0f0f, v3
	v_dot4c_i32_i8_e32 v88, v2, v6
	v_dot4c_i32_i8_e32 v88, v3, v10
	v_and_b32_e32 v2, 0xf0f0f0f, v89
	v_lshrrev_b32_e32 v3, 4, v89
	v_and_b32_e32 v18, 0xf0f0f0f, v3
	v_dot4c_i32_i8_e32 v88, v2, v7
	ds_read2_b32 v[2:3], v144 offset1:1
	v_dot4c_i32_i8_e32 v88, v18, v11
	ds_read2_b32 v[18:19], v145 offset1:1
	ds_read2_b32 v[20:21], v146 offset1:1
	;; [unrolled: 1-line block ×3, first 2 shown]
	v_mov_b32_e32 v95, 0
	v_pk_mul_f16 v92, v4, v92
	s_waitcnt lgkmcnt(3)
	v_and_b32_e32 v89, 0xf0f0f0f, v2
	v_lshrrev_b32_e32 v2, 4, v2
	v_and_b32_e32 v2, 0xf0f0f0f, v2
	v_dot4c_i32_i8_e32 v88, v89, v8
	v_dot4c_i32_i8_e32 v88, v2, v12
	v_and_b32_e32 v2, 0xf0f0f0f, v3
	v_lshrrev_b32_e32 v3, 4, v3
	v_and_b32_e32 v3, 0xf0f0f0f, v3
	v_dot4c_i32_i8_e32 v88, v2, v9
	v_dot4c_i32_i8_e32 v88, v3, v13
	s_waitcnt lgkmcnt(2)
	v_and_b32_e32 v2, 0xf0f0f0f, v18
	v_lshrrev_b32_e32 v3, 4, v18
	v_mov_b32_e32 v89, 0
	v_and_b32_e32 v3, 0xf0f0f0f, v3
	v_dot4c_i32_i8_e32 v89, v2, v6
	v_dot4c_i32_i8_e32 v89, v3, v10
	v_and_b32_e32 v2, 0xf0f0f0f, v19
	v_lshrrev_b32_e32 v3, 4, v19
	v_and_b32_e32 v3, 0xf0f0f0f, v3
	v_dot4c_i32_i8_e32 v89, v2, v7
	v_dot4c_i32_i8_e32 v89, v3, v11
	s_waitcnt lgkmcnt(1)
	v_and_b32_e32 v2, 0xf0f0f0f, v20
	v_lshrrev_b32_e32 v3, 4, v20
	v_and_b32_e32 v3, 0xf0f0f0f, v3
	v_dot4c_i32_i8_e32 v89, v2, v8
	v_dot4c_i32_i8_e32 v89, v3, v12
	v_and_b32_e32 v2, 0xf0f0f0f, v21
	v_lshrrev_b32_e32 v3, 4, v21
	v_and_b32_e32 v3, 0xf0f0f0f, v3
	v_dot4c_i32_i8_e32 v89, v2, v9
	v_dot4c_i32_i8_e32 v89, v3, v13
	s_waitcnt lgkmcnt(0)
	v_and_b32_e32 v2, 0xf0f0f0f, v74
	v_lshrrev_b32_e32 v3, 4, v74
	v_and_b32_e32 v3, 0xf0f0f0f, v3
	v_dot4c_i32_i8_e32 v95, v2, v6
	v_dot4c_i32_i8_e32 v95, v3, v10
	v_and_b32_e32 v2, 0xf0f0f0f, v75
	v_lshrrev_b32_e32 v3, 4, v75
	v_and_b32_e32 v6, 0xf0f0f0f, v3
	v_dot4c_i32_i8_e32 v95, v2, v7
	ds_read2_b32 v[2:3], v148 offset1:1
	v_dot4c_i32_i8_e32 v95, v6, v11
	ds_read2_b32 v[18:19], v149 offset1:1
	ds_read2_b32 v[20:21], v150 offset1:1
	;; [unrolled: 1-line block ×3, first 2 shown]
	v_pk_mul_f16 v82, v4, v82
	v_pk_mul_f16 v16, v4, v16
	s_waitcnt lgkmcnt(3)
	v_and_b32_e32 v6, 0xf0f0f0f, v2
	v_lshrrev_b32_e32 v2, 4, v2
	v_and_b32_e32 v2, 0xf0f0f0f, v2
	v_dot4c_i32_i8_e32 v95, v6, v8
	v_dot4c_i32_i8_e32 v95, v2, v12
	v_and_b32_e32 v2, 0xf0f0f0f, v3
	v_lshrrev_b32_e32 v3, 4, v3
	v_and_b32_e32 v3, 0xf0f0f0f, v3
	v_dot4c_i32_i8_e32 v95, v2, v9
	v_dot4c_i32_i8_e32 v95, v3, v13
	ds_read_b128 v[6:9], v117 offset:96
	ds_read_b128 v[10:13], v117 offset:112
	v_pk_mul_f16 v72, v4, v72
	v_and_b32_e32 v2, 0xf0f0f0f, v80
	v_lshrrev_b32_e32 v3, 4, v80
	v_mov_b32_e32 v4, 0
	v_and_b32_e32 v3, 0xf0f0f0f, v3
	s_waitcnt lgkmcnt(1)
	v_dot4c_i32_i8_e32 v4, v2, v6
	s_waitcnt lgkmcnt(0)
	v_dot4c_i32_i8_e32 v4, v3, v10
	v_and_b32_e32 v2, 0xf0f0f0f, v81
	v_lshrrev_b32_e32 v3, 4, v81
	v_and_b32_e32 v3, 0xf0f0f0f, v3
	v_dot4c_i32_i8_e32 v4, v2, v7
	v_dot4c_i32_i8_e32 v4, v3, v11
	v_and_b32_e32 v2, 0xf0f0f0f, v84
	v_lshrrev_b32_e32 v3, 4, v84
	v_and_b32_e32 v3, 0xf0f0f0f, v3
	v_dot4c_i32_i8_e32 v4, v2, v8
	;; [unrolled: 5-line block ×3, first 2 shown]
	v_dot4c_i32_i8_e32 v4, v3, v13
	v_and_b32_e32 v2, 0xf0f0f0f, v18
	v_lshrrev_b32_e32 v3, 4, v18
	v_mov_b32_e32 v85, 0
	v_and_b32_e32 v3, 0xf0f0f0f, v3
	v_dot4c_i32_i8_e32 v85, v2, v6
	v_dot4c_i32_i8_e32 v85, v3, v10
	v_and_b32_e32 v2, 0xf0f0f0f, v19
	v_lshrrev_b32_e32 v3, 4, v19
	v_and_b32_e32 v3, 0xf0f0f0f, v3
	v_dot4c_i32_i8_e32 v85, v2, v7
	v_dot4c_i32_i8_e32 v85, v3, v11
	v_and_b32_e32 v2, 0xf0f0f0f, v20
	v_lshrrev_b32_e32 v3, 4, v20
	;; [unrolled: 5-line block ×3, first 2 shown]
	v_and_b32_e32 v3, 0xf0f0f0f, v3
	v_dot4c_i32_i8_e32 v85, v2, v9
	v_cvt_f32_f16_e32 v78, v155
	v_cvt_f32_f16_e32 v79, v156
	v_cvt_f32_i32_e32 v87, v87
	v_cvt_f32_i32_e32 v86, v86
	v_dot4c_i32_i8_e32 v85, v3, v13
	v_cvt_f32_f16_sdwa v3, v156 dst_sel:DWORD dst_unused:UNUSED_PAD src0_sel:WORD_1
	v_cvt_f32_f16_sdwa v2, v155 dst_sel:DWORD dst_unused:UNUSED_PAD src0_sel:WORD_1
	v_cvt_f32_f16_e32 v19, v157
	v_cvt_f32_f16_e32 v18, v90
	v_cvt_f32_f16_sdwa v21, v157 dst_sel:DWORD dst_unused:UNUSED_PAD src0_sel:WORD_1
	v_cvt_f32_f16_sdwa v20, v90 dst_sel:DWORD dst_unused:UNUSED_PAD src0_sel:WORD_1
	v_cvt_f32_i32_e32 v81, v91
	v_cvt_f32_i32_e32 v80, v166
	v_pk_fma_f32 v[2:3], v[78:79], v[86:87], v[2:3]
	v_pk_mul_f16 v84, v5, v93
	v_pk_mul_f16 v83, v5, v83
	v_pk_add_f32 v[2:3], v[22:23], v[2:3]
	v_pk_fma_f32 v[18:19], v[18:19], v[80:81], v[20:21]
	v_cvt_f32_f16_e32 v21, v82
	v_cvt_f32_f16_e32 v20, v92
	v_cvt_f32_f16_sdwa v23, v82 dst_sel:DWORD dst_unused:UNUSED_PAD src0_sel:WORD_1
	v_cvt_f32_f16_sdwa v22, v92 dst_sel:DWORD dst_unused:UNUSED_PAD src0_sel:WORD_1
	v_cvt_f32_i32_e32 v79, v88
	v_cvt_f32_i32_e32 v78, v94
	v_cvt_f32_f16_e32 v81, v83
	v_cvt_f32_f16_e32 v80, v84
	v_cvt_f32_f16_sdwa v83, v83 dst_sel:DWORD dst_unused:UNUSED_PAD src0_sel:WORD_1
	v_cvt_f32_f16_sdwa v82, v84 dst_sel:DWORD dst_unused:UNUSED_PAD src0_sel:WORD_1
	v_cvt_f32_i32_e32 v85, v85
	v_cvt_f32_i32_e32 v84, v4
	v_pk_add_f32 v[2:3], v[2:3], v[18:19]
	v_pk_fma_f32 v[18:19], v[20:21], v[78:79], v[22:23]
	v_and_b32_e32 v4, 0xf0f0f0f, v75
	v_pk_add_f32 v[2:3], v[2:3], v[18:19]
	v_pk_fma_f32 v[18:19], v[80:81], v[84:85], v[82:83]
	v_cvt_f32_f16_e32 v76, v164
	v_pk_add_f32 v[22:23], v[2:3], v[18:19]
	v_and_b32_e32 v2, 0xf0f0f0f, v74
	v_lshrrev_b32_e32 v3, 4, v74
	v_mov_b32_e32 v74, 0
	v_and_b32_e32 v3, 0xf0f0f0f, v3
	v_dot4c_i32_i8_e32 v74, v2, v6
	v_lshrrev_b32_e32 v2, 4, v75
	v_dot4c_i32_i8_e32 v74, v3, v10
	v_and_b32_e32 v18, 0xf0f0f0f, v2
	ds_read2_b32 v[2:3], v152 offset1:1
	v_dot4c_i32_i8_e32 v74, v4, v7
	v_dot4c_i32_i8_e32 v74, v18, v11
	ds_read2_b32 v[18:19], v153 offset1:1
	ds_read2_b32 v[20:21], v154 offset1:1
	v_cvt_f32_f16_e32 v77, v162
	s_waitcnt lgkmcnt(2)
	v_and_b32_e32 v4, 0xf0f0f0f, v2
	v_lshrrev_b32_e32 v2, 4, v2
	v_and_b32_e32 v2, 0xf0f0f0f, v2
	v_dot4c_i32_i8_e32 v74, v4, v8
	v_dot4c_i32_i8_e32 v74, v2, v12
	v_and_b32_e32 v2, 0xf0f0f0f, v3
	v_lshrrev_b32_e32 v3, 4, v3
	v_and_b32_e32 v3, 0xf0f0f0f, v3
	v_dot4c_i32_i8_e32 v74, v2, v9
	v_dot4c_i32_i8_e32 v74, v3, v13
	s_waitcnt lgkmcnt(1)
	v_and_b32_e32 v2, 0xf0f0f0f, v18
	v_lshrrev_b32_e32 v3, 4, v18
	v_mov_b32_e32 v18, 0
	v_and_b32_e32 v3, 0xf0f0f0f, v3
	v_dot4c_i32_i8_e32 v18, v2, v6
	v_dot4c_i32_i8_e32 v18, v3, v10
	v_and_b32_e32 v2, 0xf0f0f0f, v19
	v_lshrrev_b32_e32 v3, 4, v19
	v_and_b32_e32 v3, 0xf0f0f0f, v3
	v_dot4c_i32_i8_e32 v18, v2, v7
	v_dot4c_i32_i8_e32 v18, v3, v11
	s_waitcnt lgkmcnt(0)
	v_and_b32_e32 v2, 0xf0f0f0f, v20
	v_lshrrev_b32_e32 v3, 4, v20
	v_and_b32_e32 v3, 0xf0f0f0f, v3
	v_dot4c_i32_i8_e32 v18, v2, v8
	v_dot4c_i32_i8_e32 v18, v3, v12
	v_and_b32_e32 v2, 0xf0f0f0f, v21
	v_lshrrev_b32_e32 v3, 4, v21
	v_and_b32_e32 v3, 0xf0f0f0f, v3
	v_dot4c_i32_i8_e32 v18, v2, v9
	v_cvt_f32_f16_e32 v7, v161
	v_cvt_f32_f16_e32 v6, v159
	v_cvt_f32_f16_sdwa v9, v161 dst_sel:DWORD dst_unused:UNUSED_PAD src0_sel:WORD_1
	v_cvt_f32_f16_sdwa v8, v159 dst_sel:DWORD dst_unused:UNUSED_PAD src0_sel:WORD_1
	v_cvt_f32_i32_e32 v11, v160
	v_cvt_f32_i32_e32 v10, v158
	;; [unrolled: 1-line block ×3, first 2 shown]
	v_dot4c_i32_i8_e32 v18, v3, v13
	v_cvt_f32_f16_sdwa v3, v162 dst_sel:DWORD dst_unused:UNUSED_PAD src0_sel:WORD_1
	v_cvt_f32_f16_sdwa v2, v164 dst_sel:DWORD dst_unused:UNUSED_PAD src0_sel:WORD_1
	v_pk_mul_f16 v17, v5, v17
	v_pk_mul_f16 v19, v5, v73
	v_pk_fma_f32 v[4:5], v[6:7], v[10:11], v[8:9]
	v_cvt_f32_f16_e32 v7, v72
	v_cvt_f32_f16_e32 v6, v16
	v_cvt_f32_f16_sdwa v9, v72 dst_sel:DWORD dst_unused:UNUSED_PAD src0_sel:WORD_1
	v_cvt_f32_f16_sdwa v8, v16 dst_sel:DWORD dst_unused:UNUSED_PAD src0_sel:WORD_1
	v_cvt_f32_i32_e32 v11, v95
	v_cvt_f32_i32_e32 v10, v89
	v_pk_fma_f32 v[2:3], v[76:77], v[14:15], v[2:3]
	v_cvt_f32_f16_e32 v13, v19
	v_cvt_f32_f16_e32 v12, v17
	v_cvt_f32_f16_sdwa v15, v19 dst_sel:DWORD dst_unused:UNUSED_PAD src0_sel:WORD_1
	v_cvt_f32_f16_sdwa v14, v17 dst_sel:DWORD dst_unused:UNUSED_PAD src0_sel:WORD_1
	v_cvt_f32_i32_e32 v17, v18
	v_cvt_f32_i32_e32 v16, v74
	v_pk_add_f32 v[2:3], v[70:71], v[2:3]
	s_cmp_ge_i32 s24, s15
	v_pk_add_f32 v[2:3], v[2:3], v[4:5]
	v_pk_fma_f32 v[4:5], v[6:7], v[10:11], v[8:9]
	s_nop 0
	v_pk_add_f32 v[2:3], v[2:3], v[4:5]
	v_pk_fma_f32 v[4:5], v[12:13], v[16:17], v[14:15]
	s_barrier
	v_pk_add_f32 v[70:71], v[2:3], v[4:5]
	s_cbranch_scc1 .LBB179_5
; %bb.13:                               ;   in Loop: Header=BB179_6 Depth=1
	v_add_u32_e32 v2, s14, v124
	v_cmp_gt_i32_e64 s[2:3], s5, v2
	s_and_b64 s[20:21], s[0:1], s[2:3]
	s_and_saveexec_b64 s[2:3], s[20:21]
	s_cbranch_execz .LBB179_15
; %bb.14:                               ;   in Loop: Header=BB179_6 Depth=1
	v_add_u32_e32 v2, s14, v125
	v_mad_i64_i32 v[2:3], s[20:21], v2, 36, v[26:27]
	global_load_dword v2, v[2:3], off offset:4
	s_waitcnt vmcnt(0)
	ds_write_b32 v115, v2
.LBB179_15:                             ;   in Loop: Header=BB179_6 Depth=1
	s_or_b64 exec, exec, s[2:3]
	s_and_saveexec_b64 s[20:21], vcc
	s_cbranch_execz .LBB179_4
; %bb.16:                               ;   in Loop: Header=BB179_6 Depth=1
	v_add3_u32 v2, v24, s14, 4
	v_cmp_gt_i32_e64 s[2:3], s5, v2
	s_and_b64 s[2:3], s[0:1], s[2:3]
	s_and_b64 exec, exec, s[2:3]
	s_cbranch_execz .LBB179_4
; %bb.17:                               ;   in Loop: Header=BB179_6 Depth=1
	global_load_dword v2, v[28:29], off
	s_waitcnt vmcnt(0)
	ds_write_b32 v116, v2
	s_branch .LBB179_4
.LBB179_18:
	v_mov_b32_e32 v70, v71
	v_mov_b32_e32 v23, v71
	;; [unrolled: 1-line block ×3, first 2 shown]
.LBB179_19:
	s_mul_i32 s0, s7, s4
	s_waitcnt vmcnt(0)
	v_cmp_gt_i32_e32 vcc, s0, v1
	s_and_saveexec_b64 s[0:1], vcc
	s_cbranch_execz .LBB179_28
; %bb.20:
	v_and_b32_e32 v0, 0x3ff, v0
	v_add_u32_e32 v2, s22, v0
	v_mul_lo_u32 v0, v1, s6
	v_cmp_gt_u32_e32 vcc, s6, v2
	s_and_saveexec_b64 s[0:1], vcc
	s_cbranch_execz .LBB179_22
; %bb.21:
	v_add_u32_e32 v4, v0, v2
	v_mov_b32_e32 v5, 0
	v_lshl_add_u64 v[4:5], v[4:5], 2, s[12:13]
	global_store_dword v[4:5], v22, off
.LBB179_22:
	s_or_b64 exec, exec, s[0:1]
	v_add_u32_e32 v1, 32, v2
	v_cmp_gt_u32_e32 vcc, s6, v1
	s_and_saveexec_b64 s[0:1], vcc
	s_cbranch_execz .LBB179_24
; %bb.23:
	v_add_u32_e32 v4, v0, v1
	v_mov_b32_e32 v5, 0
	v_lshl_add_u64 v[4:5], v[4:5], 2, s[12:13]
	global_store_dword v[4:5], v23, off
.LBB179_24:
	s_or_b64 exec, exec, s[0:1]
	v_add_u32_e32 v1, 64, v2
	;; [unrolled: 11-line block ×3, first 2 shown]
	v_cmp_gt_u32_e32 vcc, s6, v1
	s_and_b64 exec, exec, vcc
	s_cbranch_execz .LBB179_28
; %bb.27:
	v_add_u32_e32 v0, v0, v1
	v_mov_b32_e32 v1, 0
	v_lshl_add_u64 v[0:1], v[0:1], 2, s[12:13]
	global_store_dword v[0:1], v71, off
.LBB179_28:
	s_endpgm
	.section	.rodata,"a",@progbits
	.p2align	6, 0x0
	.amdhsa_kernel _ZL8moe_q4_1IfLb0EEvPKvS1_PT_PKiS5_S5_iiiiiii
		.amdhsa_group_segment_fixed_size 22272
		.amdhsa_private_segment_fixed_size 0
		.amdhsa_kernarg_size 76
		.amdhsa_user_sgpr_count 2
		.amdhsa_user_sgpr_dispatch_ptr 0
		.amdhsa_user_sgpr_queue_ptr 0
		.amdhsa_user_sgpr_kernarg_segment_ptr 1
		.amdhsa_user_sgpr_dispatch_id 0
		.amdhsa_user_sgpr_kernarg_preload_length 0
		.amdhsa_user_sgpr_kernarg_preload_offset 0
		.amdhsa_user_sgpr_private_segment_size 0
		.amdhsa_uses_dynamic_stack 0
		.amdhsa_enable_private_segment 0
		.amdhsa_system_sgpr_workgroup_id_x 1
		.amdhsa_system_sgpr_workgroup_id_y 1
		.amdhsa_system_sgpr_workgroup_id_z 0
		.amdhsa_system_sgpr_workgroup_info 0
		.amdhsa_system_vgpr_workitem_id 1
		.amdhsa_next_free_vgpr 168
		.amdhsa_next_free_sgpr 25
		.amdhsa_accum_offset 168
		.amdhsa_reserve_vcc 1
		.amdhsa_float_round_mode_32 0
		.amdhsa_float_round_mode_16_64 0
		.amdhsa_float_denorm_mode_32 3
		.amdhsa_float_denorm_mode_16_64 3
		.amdhsa_dx10_clamp 1
		.amdhsa_ieee_mode 1
		.amdhsa_fp16_overflow 0
		.amdhsa_tg_split 0
		.amdhsa_exception_fp_ieee_invalid_op 0
		.amdhsa_exception_fp_denorm_src 0
		.amdhsa_exception_fp_ieee_div_zero 0
		.amdhsa_exception_fp_ieee_overflow 0
		.amdhsa_exception_fp_ieee_underflow 0
		.amdhsa_exception_fp_ieee_inexact 0
		.amdhsa_exception_int_div_zero 0
	.end_amdhsa_kernel
	.section	.text._ZL8moe_q4_1IfLb0EEvPKvS1_PT_PKiS5_S5_iiiiiii,"axG",@progbits,_ZL8moe_q4_1IfLb0EEvPKvS1_PT_PKiS5_S5_iiiiiii,comdat
.Lfunc_end179:
	.size	_ZL8moe_q4_1IfLb0EEvPKvS1_PT_PKiS5_S5_iiiiiii, .Lfunc_end179-_ZL8moe_q4_1IfLb0EEvPKvS1_PT_PKiS5_S5_iiiiiii
                                        ; -- End function
	.section	.AMDGPU.csdata,"",@progbits
; Kernel info:
; codeLenInByte = 9132
; NumSgprs: 31
; NumVgprs: 168
; NumAgprs: 0
; TotalNumVgprs: 168
; ScratchSize: 0
; MemoryBound: 0
; FloatMode: 240
; IeeeMode: 1
; LDSByteSize: 22272 bytes/workgroup (compile time only)
; SGPRBlocks: 3
; VGPRBlocks: 20
; NumSGPRsForWavesPerEU: 31
; NumVGPRsForWavesPerEU: 168
; AccumOffset: 168
; Occupancy: 2
; WaveLimiterHint : 1
; COMPUTE_PGM_RSRC2:SCRATCH_EN: 0
; COMPUTE_PGM_RSRC2:USER_SGPR: 2
; COMPUTE_PGM_RSRC2:TRAP_HANDLER: 0
; COMPUTE_PGM_RSRC2:TGID_X_EN: 1
; COMPUTE_PGM_RSRC2:TGID_Y_EN: 1
; COMPUTE_PGM_RSRC2:TGID_Z_EN: 0
; COMPUTE_PGM_RSRC2:TIDIG_COMP_CNT: 1
; COMPUTE_PGM_RSRC3_GFX90A:ACCUM_OFFSET: 41
; COMPUTE_PGM_RSRC3_GFX90A:TG_SPLIT: 0
	.section	.text._ZL8moe_q4_1IfLb1EEvPKvS1_PT_PKiS5_S5_iiiiiii,"axG",@progbits,_ZL8moe_q4_1IfLb1EEvPKvS1_PT_PKiS5_S5_iiiiiii,comdat
	.globl	_ZL8moe_q4_1IfLb1EEvPKvS1_PT_PKiS5_S5_iiiiiii ; -- Begin function _ZL8moe_q4_1IfLb1EEvPKvS1_PT_PKiS5_S5_iiiiiii
	.p2align	8
	.type	_ZL8moe_q4_1IfLb1EEvPKvS1_PT_PKiS5_S5_iiiiiii,@function
_ZL8moe_q4_1IfLb1EEvPKvS1_PT_PKiS5_S5_iiiiiii: ; @_ZL8moe_q4_1IfLb1EEvPKvS1_PT_PKiS5_S5_iiiiiii
; %bb.0:
	s_load_dwordx4 s[4:7], s[0:1], 0x18
	s_mov_b32 s8, s3
	s_mov_b32 s9, 0
	s_lshl_b64 s[10:11], s[8:9], 2
	s_waitcnt lgkmcnt(0)
	s_add_u32 s6, s6, s10
	s_addc_u32 s7, s7, s11
	s_load_dword s3, s[6:7], 0x0
	s_waitcnt lgkmcnt(0)
	s_cmpk_gt_u32 s3, 0xff
	s_cbranch_scc1 .LBB180_28
; %bb.1:
	s_load_dwordx2 s[6:7], s[0:1], 0x28
	s_waitcnt lgkmcnt(0)
	s_load_dword s7, s[6:7], 0x0
	s_lshl_b32 s6, s8, 3
	s_waitcnt lgkmcnt(0)
	s_cmp_gt_u32 s6, s7
	s_cbranch_scc1 .LBB180_28
; %bb.2:
	v_bfe_u32 v2, v0, 10, 10
	v_mov_b32_e32 v4, s4
	v_mov_b32_e32 v5, s5
	v_add_u32_e32 v102, s6, v2
	v_mov_b32_e32 v103, 0
	v_lshl_add_u64 v[4:5], v[102:103], 2, v[4:5]
	global_load_dword v1, v[4:5], off
	s_load_dwordx8 s[4:11], s[0:1], 0x30
	s_load_dwordx2 s[16:17], s[0:1], 0x10
	s_waitcnt lgkmcnt(0)
	s_lshl_b32 s11, s2, 7
	s_cmp_lt_i32 s5, 32
	s_cbranch_scc1 .LBB180_18
; %bb.3:
	s_load_dwordx4 s[12:15], s[0:1], 0x0
	s_ashr_i32 s0, s5, 31
	s_lshr_b32 s0, s0, 27
	s_add_i32 s0, s5, s0
	s_ashr_i32 s24, s0, 5
	s_ashr_i32 s0, s8, 31
	s_lshr_b32 s0, s0, 27
	s_add_i32 s0, s8, s0
	s_ashr_i32 s8, s0, 5
	s_not_b32 s0, s11
	s_mul_i32 s18, s3, s4
	s_add_i32 s3, s0, s6
	v_and_b32_e32 v24, 0x3ff, v0
	v_lshlrev_b32_e32 v4, 2, v24
	v_min_i32_e32 v3, s3, v2
	s_movk_i32 s6, 0x84
	v_mul_lo_u32 v9, v3, s24
	v_mad_u64_u32 v[26:27], s[0:1], v3, s6, v[4:5]
	v_add_u32_e32 v3, 8, v2
	v_min_i32_e32 v3, s3, v3
	v_mul_lo_u32 v10, v3, s24
	v_mad_u64_u32 v[28:29], s[0:1], v3, s6, v[4:5]
	v_add_u32_e32 v3, 16, v2
	v_min_i32_e32 v3, s3, v3
	;; [unrolled: 4-line block ×15, first 2 shown]
	v_mul_lo_u32 v55, v3, s24
	v_mad_u64_u32 v[56:57], s[0:1], v3, s6, v[4:5]
	v_lshlrev_b32_e32 v3, 2, v2
	v_lshrrev_b32_e32 v27, 3, v24
	v_add_u32_e32 v5, v27, v3
	v_min_i32_e32 v6, s3, v5
	v_ashrrev_i32_e32 v7, 31, v6
	v_lshrrev_b32_e32 v7, 30, v7
	v_and_b32_e32 v57, 7, v24
	v_mul_lo_u32 v94, v6, s24
	v_add_u32_e32 v7, v6, v7
	v_lshlrev_b32_e32 v103, 5, v6
	v_add_u32_e32 v6, 32, v5
	v_and_b32_e32 v7, -4, v7
	v_lshlrev_b32_e32 v25, 2, v57
	s_movk_i32 s0, 0x4200
	v_min_i32_e32 v6, s3, v6
	v_add3_u32 v102, v7, v25, s0
	v_ashrrev_i32_e32 v7, 31, v6
	v_lshrrev_b32_e32 v7, 30, v7
	v_mul_lo_u32 v96, v6, s24
	v_add_u32_e32 v7, v6, v7
	v_lshlrev_b32_e32 v105, 5, v6
	v_add_u32_e32 v6, 64, v5
	v_and_b32_e32 v7, -4, v7
	v_min_i32_e32 v6, s3, v6
	v_add3_u32 v104, v7, v25, s0
	v_ashrrev_i32_e32 v7, 31, v6
	v_add_u32_e32 v5, 0x60, v5
	v_lshrrev_b32_e32 v7, 30, v7
	v_min_i32_e32 v5, s3, v5
	v_mul_lo_u32 v98, v6, s24
	v_add_u32_e32 v7, v6, v7
	v_lshlrev_b32_e32 v107, 5, v6
	v_ashrrev_i32_e32 v6, 31, v5
	v_lshrrev_b32_e32 v6, 30, v6
	v_mov_b32_e32 v23, 0
	v_add_u32_e32 v6, v5, v6
	v_and_b32_e32 v22, 12, v4
	v_mul_lo_u32 v100, v5, s24
	v_and_b32_e32 v6, -4, v6
	v_lshlrev_b32_e32 v109, 5, v5
	v_and_b32_e32 v4, 28, v4
	v_mov_b32_e32 v5, v23
	v_add3_u32 v108, v6, v25, s0
	v_and_b32_e32 v6, 31, v24
	s_waitcnt lgkmcnt(0)
	v_lshl_add_u64 v[58:59], s[14:15], 0, v[4:5]
	v_lshlrev_b32_e32 v4, 7, v2
	v_lshl_or_b32 v5, v6, 2, v4
	v_add_u32_e32 v29, 0x5280, v5
	v_or_b32_e32 v3, v3, v24
	v_mov_b32_e32 v5, 0x5680
	v_lshl_add_u32 v31, v3, 2, v5
	v_lshl_add_u32 v35, v2, 4, v5
	v_and_b32_e32 v2, 0xfc, v24
	v_lshlrev_b32_e32 v3, 5, v24
	v_add3_u32 v39, v3, v2, s0
	v_add_u32_e32 v2, 32, v24
	v_add_u32_e32 v33, 0x5280, v4
	v_and_b32_e32 v3, 0x1fc, v2
	v_lshlrev_b32_e32 v4, 5, v2
	v_add3_u32 v41, v4, v3, s0
	v_add_u32_e32 v3, 64, v24
	v_and_b32_e32 v4, 0x1fc, v3
	v_lshlrev_b32_e32 v3, 5, v3
	s_abs_i32 s3, s10
	v_add3_u32 v43, v3, v4, s0
	v_cvt_f32_u32_e32 v4, s3
	v_add_u32_e32 v3, 0x60, v24
	v_and_b32_e32 v5, 0x1fc, v3
	v_lshlrev_b32_e32 v3, 5, v3
	v_add3_u32 v45, v3, v5, s0
	v_rcp_iflag_f32_e32 v3, v4
	v_and_b32_e32 v7, -4, v7
	v_add3_u32 v106, v7, v25, s0
	s_sub_i32 s0, 0, s3
	v_mul_f32_e32 v3, 0x4f7ffffe, v3
	v_cvt_u32_f32_e32 v3, v3
	s_waitcnt vmcnt(0)
	v_sub_u32_e32 v4, 0, v1
	v_max_i32_e32 v4, v1, v4
	v_lshrrev_b32_e32 v47, 3, v2
	v_mul_lo_u32 v5, s0, v3
	v_mul_hi_u32 v5, v3, v5
	v_add_u32_e32 v3, v3, v5
	v_mul_hi_u32 v3, v4, v3
	v_mul_lo_u32 v5, v3, s3
	v_sub_u32_e32 v4, v4, v5
	v_add_u32_e32 v5, 1, v3
	v_cmp_le_u32_e64 s[0:1], s3, v4
	v_xor_b32_e32 v2, s10, v1
	v_ashrrev_i32_e32 v2, 31, v2
	v_cndmask_b32_e64 v3, v3, v5, s[0:1]
	v_subrev_u32_e32 v5, s3, v4
	v_cndmask_b32_e64 v4, v4, v5, s[0:1]
	v_add_u32_e32 v5, 1, v3
	v_cmp_le_u32_e64 s[0:1], s3, v4
	v_mov_b32_e32 v25, v23
	s_mul_i32 s2, s24, s11
	v_cndmask_b32_e64 v3, v3, v5, s[0:1]
	v_xor_b32_e32 v3, v3, v2
	v_sub_u32_e32 v2, v3, v2
	v_cmp_gt_i32_e64 s[0:1], s7, v2
	v_mul_lo_u32 v2, v2, s8
	v_ashrrev_i32_e32 v3, 31, v2
	v_lshl_add_u64 v[4:5], v[2:3], 0, v[24:25]
	v_mad_u64_u32 v[6:7], s[20:21], v4, 36, s[14:15]
	s_mul_hi_i32 s3, s2, 20
	s_mul_i32 s6, s2, 20
	v_lshrrev_b32_e32 v8, 2, v24
	v_mad_i32_i24 v7, v5, 36, v7
	s_mov_b64 s[20:21], 0x90
	v_add_u32_e32 v25, v24, v2
	v_add_u32_e32 v49, v47, v2
	;; [unrolled: 1-line block ×3, first 2 shown]
	v_mov_b32_e32 v2, s6
	v_mov_b32_e32 v3, s3
	v_lshl_add_u64 v[60:61], v[6:7], 0, s[20:21]
	v_mad_u64_u32 v[2:3], s[20:21], v8, 20, v[2:3]
	v_mad_i64_i32 v[4:5], s[20:21], v9, 20, v[2:3]
	v_lshl_add_u64 v[4:5], v[4:5], 0, v[22:23]
	v_lshl_add_u64 v[4:5], v[4:5], 0, s[12:13]
	v_lshl_add_u64 v[62:63], v[4:5], 0, 4
	v_mad_i64_i32 v[4:5], s[20:21], v10, 20, v[2:3]
	v_lshl_add_u64 v[4:5], v[4:5], 0, v[22:23]
	v_lshl_add_u64 v[4:5], v[4:5], 0, s[12:13]
	v_lshl_add_u64 v[64:65], v[4:5], 0, 4
	;; [unrolled: 4-line block ×14, first 2 shown]
	v_mad_i64_i32 v[4:5], s[20:21], v53, 20, v[2:3]
	v_mad_i64_i32 v[2:3], s[20:21], v55, 20, v[2:3]
	v_lshl_add_u64 v[2:3], v[2:3], 0, v[22:23]
	v_lshl_add_u64 v[2:3], v[2:3], 0, s[12:13]
	;; [unrolled: 1-line block ×3, first 2 shown]
	v_mad_i64_i32 v[2:3], s[20:21], v94, 20, 0
	v_mad_i64_i32 v[2:3], s[20:21], s2, 20, v[2:3]
	v_mad_u64_u32 v[2:3], s[20:21], v57, 20, v[2:3]
	v_lshl_add_u64 v[94:95], s[12:13], 0, v[2:3]
	v_mad_i64_i32 v[2:3], s[20:21], v96, 20, 0
	v_mad_i64_i32 v[2:3], s[20:21], s2, 20, v[2:3]
	v_mad_u64_u32 v[2:3], s[20:21], v57, 20, v[2:3]
	v_lshl_add_u64 v[96:97], s[12:13], 0, v[2:3]
	;; [unrolled: 4-line block ×3, first 2 shown]
	v_mad_i64_i32 v[2:3], s[20:21], v100, 20, 0
	v_lshl_add_u64 v[4:5], v[4:5], 0, v[22:23]
	v_mad_i64_i32 v[2:3], s[2:3], s2, 20, v[2:3]
	v_mul_u32_u24_e32 v37, 0x84, v24
	v_lshl_add_u64 v[4:5], v[4:5], 0, s[12:13]
	v_mad_u64_u32 v[2:3], s[2:3], v57, 20, v[2:3]
	s_ashr_i32 s19, s18, 31
	s_mov_b32 s4, 0
	v_cmp_gt_u32_e32 vcc, 4, v24
	v_lshl_add_u64 v[90:91], v[4:5], 0, 4
	v_lshl_add_u64 v[100:101], s[12:13], 0, v[2:3]
	s_movk_i32 s6, 0x80
	v_add_u32_e32 v53, v102, v103
	v_add_u32_e32 v55, v104, v105
	v_add_u32_e32 v57, v106, v107
	v_add_u32_e32 v130, v108, v109
	v_add_u32_e32 v131, 0x1080, v37
	v_add_u32_e32 v132, 0x1088, v37
	v_add_u32_e32 v133, 0x2100, v37
	v_add_u32_e32 v134, 0x2108, v37
	v_add_u32_e32 v135, 0x3180, v37
	v_add_u32_e32 v136, 0x3188, v37
	v_add_u32_e32 v137, 0x1090, v37
	v_add_u32_e32 v138, 0x1098, v37
	v_add_u32_e32 v139, 0x2110, v37
	v_add_u32_e32 v140, 0x2118, v37
	v_add_u32_e32 v141, 0x3190, v37
	v_add_u32_e32 v142, 0x3198, v37
	v_add_u32_e32 v143, 0x10a0, v37
	v_add_u32_e32 v144, 0x10a8, v37
	v_add_u32_e32 v145, 0x2120, v37
	v_add_u32_e32 v146, 0x2128, v37
	v_add_u32_e32 v147, 0x31a0, v37
	v_add_u32_e32 v148, 0x31a8, v37
	v_add_u32_e32 v149, 0x10b0, v37
	v_add_u32_e32 v150, 0x10b8, v37
	v_add_u32_e32 v151, 0x2130, v37
	v_add_u32_e32 v152, 0x2138, v37
	v_add_u32_e32 v153, 0x31b0, v37
	v_add_u32_e32 v154, 0x31b8, v37
	s_mov_b64 s[12:13], 0x120
	s_mov_b64 s[20:21], 0xa0
	v_mov_b32_e32 v22, v23
	v_mov_b32_e32 v102, v23
	;; [unrolled: 1-line block ×3, first 2 shown]
	s_branch .LBB180_6
.LBB180_4:                              ;   in Loop: Header=BB180_6 Depth=1
	s_or_b64 exec, exec, s[22:23]
	s_waitcnt lgkmcnt(0)
	s_barrier
	ds_read_b128 v[2:5], v35
	ds_read2_b32 v[104:105], v37 offset0:16 offset1:17
	ds_read_b128 v[14:17], v33
	ds_read_b128 v[18:21], v33 offset:16
	ds_read_b128 v[6:9], v33 offset:32
	;; [unrolled: 1-line block ×3, first 2 shown]
	ds_read2_b32 v[106:107], v39 offset0:4 offset1:5
	s_waitcnt lgkmcnt(5)
	v_and_b32_e32 v108, 0xf0f0f0f, v104
	v_lshrrev_b32_e32 v104, 4, v104
	v_mov_b32_e32 v124, 0
	v_and_b32_e32 v104, 0xf0f0f0f, v104
	s_waitcnt lgkmcnt(4)
	v_dot4c_i32_i8_e32 v124, v108, v14
	s_waitcnt lgkmcnt(3)
	v_dot4c_i32_i8_e32 v124, v104, v18
	v_and_b32_e32 v104, 0xf0f0f0f, v105
	v_lshrrev_b32_e32 v105, 4, v105
	v_and_b32_e32 v108, 0xf0f0f0f, v105
	v_dot4c_i32_i8_e32 v124, v104, v15
	ds_read2_b32 v[104:105], v37 offset0:18 offset1:19
	v_dot4c_i32_i8_e32 v124, v108, v19
	ds_read2_b32 v[114:115], v37 offset0:20 offset1:21
	ds_read2_b32 v[116:117], v37 offset0:22 offset1:23
	;; [unrolled: 1-line block ×3, first 2 shown]
	s_waitcnt lgkmcnt(4)
	v_pk_mul_f16 v125, v2, v106
	v_mov_b32_e32 v155, 0
	s_waitcnt lgkmcnt(3)
	v_and_b32_e32 v108, 0xf0f0f0f, v104
	v_lshrrev_b32_e32 v104, 4, v104
	v_and_b32_e32 v104, 0xf0f0f0f, v104
	v_dot4c_i32_i8_e32 v124, v108, v16
	v_dot4c_i32_i8_e32 v124, v104, v20
	v_and_b32_e32 v104, 0xf0f0f0f, v105
	v_dot4c_i32_i8_e32 v124, v104, v17
	v_add_u32_e32 v104, 0x10c0, v37
	ds_read2_b32 v[110:111], v104 offset1:1
	ds_read2_b32 v[122:123], v37 offset0:26 offset1:27
	ds_read2_b32 v[108:109], v37 offset0:28 offset1:29
	;; [unrolled: 1-line block ×3, first 2 shown]
	v_lshrrev_b32_e32 v105, 4, v105
	s_waitcnt lgkmcnt(3)
	v_and_b32_e32 v106, 0xf0f0f0f, v110
	v_lshrrev_b32_e32 v110, 4, v110
	v_and_b32_e32 v110, 0xf0f0f0f, v110
	v_dot4c_i32_i8_e32 v155, v106, v14
	v_dot4c_i32_i8_e32 v155, v110, v18
	v_and_b32_e32 v106, 0xf0f0f0f, v111
	v_lshrrev_b32_e32 v110, 4, v111
	v_and_b32_e32 v105, 0xf0f0f0f, v105
	v_and_b32_e32 v110, 0xf0f0f0f, v110
	v_dot4c_i32_i8_e32 v155, v106, v15
	v_add_u32_e32 v106, 0x10c8, v37
	v_dot4c_i32_i8_e32 v124, v105, v21
	ds_read2_b32 v[126:127], v41 offset0:4 offset1:5
	ds_read2_b32 v[104:105], v45 offset0:6 offset1:7
	v_dot4c_i32_i8_e32 v155, v110, v19
	ds_read2_b32 v[110:111], v106 offset1:1
	v_add_u32_e32 v118, 0x2140, v37
	v_add_u32_e32 v106, 0x31c0, v37
	;; [unrolled: 1-line block ×3, first 2 shown]
	ds_read2_b32 v[128:129], v118 offset1:1
	ds_read2_b32 v[156:157], v119 offset1:1
	;; [unrolled: 1-line block ×3, first 2 shown]
	s_waitcnt lgkmcnt(3)
	v_and_b32_e32 v106, 0xf0f0f0f, v110
	v_lshrrev_b32_e32 v110, 4, v110
	v_and_b32_e32 v110, 0xf0f0f0f, v110
	v_dot4c_i32_i8_e32 v155, v106, v16
	v_dot4c_i32_i8_e32 v155, v110, v20
	v_and_b32_e32 v106, 0xf0f0f0f, v111
	v_dot4c_i32_i8_e32 v155, v106, v17
	s_waitcnt lgkmcnt(2)
	v_lshrrev_b32_e32 v106, 4, v128
	v_and_b32_e32 v162, 0xf0f0f0f, v128
	v_and_b32_e32 v128, 0xf0f0f0f, v106
	v_mov_b32_e32 v106, 0
	v_dot4c_i32_i8_e32 v106, v162, v14
	v_dot4c_i32_i8_e32 v106, v128, v18
	v_and_b32_e32 v128, 0xf0f0f0f, v129
	v_lshrrev_b32_e32 v129, 4, v129
	v_and_b32_e32 v129, 0xf0f0f0f, v129
	v_dot4c_i32_i8_e32 v106, v128, v15
	v_dot4c_i32_i8_e32 v106, v129, v19
	s_waitcnt lgkmcnt(1)
	v_and_b32_e32 v128, 0xf0f0f0f, v156
	v_lshrrev_b32_e32 v129, 4, v156
	v_and_b32_e32 v129, 0xf0f0f0f, v129
	v_dot4c_i32_i8_e32 v106, v128, v16
	v_dot4c_i32_i8_e32 v106, v129, v20
	v_and_b32_e32 v128, 0xf0f0f0f, v157
	v_lshrrev_b32_e32 v129, 4, v157
	v_and_b32_e32 v129, 0xf0f0f0f, v129
	v_dot4c_i32_i8_e32 v106, v128, v17
	v_dot4c_i32_i8_e32 v106, v129, v21
	s_waitcnt lgkmcnt(0)
	v_and_b32_e32 v128, 0xf0f0f0f, v158
	v_lshrrev_b32_e32 v129, 4, v158
	v_mov_b32_e32 v162, 0
	v_and_b32_e32 v129, 0xf0f0f0f, v129
	v_dot4c_i32_i8_e32 v162, v128, v14
	v_lshrrev_b32_e32 v110, 4, v111
	v_dot4c_i32_i8_e32 v162, v129, v18
	v_and_b32_e32 v14, 0xf0f0f0f, v159
	v_and_b32_e32 v110, 0xf0f0f0f, v110
	v_dot4c_i32_i8_e32 v162, v14, v15
	v_add_u32_e32 v14, 0x31c8, v37
	v_dot4c_i32_i8_e32 v155, v110, v21
	ds_read2_b32 v[160:161], v43 offset0:4 offset1:5
	ds_read2_b32 v[110:111], v41 offset0:6 offset1:7
	;; [unrolled: 1-line block ×3, first 2 shown]
	ds_read2_b32 v[14:15], v14 offset1:1
	v_lshrrev_b32_e32 v18, 4, v159
	v_and_b32_e32 v18, 0xf0f0f0f, v18
	v_dot4c_i32_i8_e32 v162, v18, v19
	v_add_u32_e32 v18, 0x10d0, v37
	v_add_u32_e32 v128, 0x10d8, v37
	;; [unrolled: 1-line block ×3, first 2 shown]
	s_waitcnt lgkmcnt(0)
	v_and_b32_e32 v158, 0xf0f0f0f, v14
	ds_read2_b32 v[18:19], v18 offset1:1
	ds_read2_b32 v[128:129], v128 offset1:1
	;; [unrolled: 1-line block ×3, first 2 shown]
	v_dot4c_i32_i8_e32 v162, v158, v16
	ds_read2_b32 v[158:159], v45 offset0:4 offset1:5
	v_lshrrev_b32_e32 v14, 4, v14
	v_and_b32_e32 v14, 0xf0f0f0f, v14
	v_dot4c_i32_i8_e32 v162, v14, v20
	v_and_b32_e32 v14, 0xf0f0f0f, v15
	v_lshrrev_b32_e32 v15, 4, v15
	v_and_b32_e32 v15, 0xf0f0f0f, v15
	v_dot4c_i32_i8_e32 v162, v14, v17
	v_pk_mul_f16 v126, v2, v126
	v_pk_mul_f16 v160, v2, v160
	v_dot4c_i32_i8_e32 v162, v15, v21
	ds_read2_b32 v[14:15], v43 offset0:6 offset1:7
	s_waitcnt lgkmcnt(1)
	v_pk_mul_f16 v158, v2, v158
	v_and_b32_e32 v2, 0xf0f0f0f, v114
	v_lshrrev_b32_e32 v16, 4, v114
	v_mov_b32_e32 v163, 0
	v_and_b32_e32 v16, 0xf0f0f0f, v16
	v_dot4c_i32_i8_e32 v163, v2, v6
	v_dot4c_i32_i8_e32 v163, v16, v10
	v_and_b32_e32 v2, 0xf0f0f0f, v115
	v_lshrrev_b32_e32 v16, 4, v115
	v_and_b32_e32 v16, 0xf0f0f0f, v16
	v_dot4c_i32_i8_e32 v163, v2, v7
	v_dot4c_i32_i8_e32 v163, v16, v11
	v_and_b32_e32 v2, 0xf0f0f0f, v116
	v_lshrrev_b32_e32 v16, 4, v116
	;; [unrolled: 5-line block ×4, first 2 shown]
	v_mov_b32_e32 v116, 0
	v_and_b32_e32 v16, 0xf0f0f0f, v16
	v_dot4c_i32_i8_e32 v116, v2, v6
	v_dot4c_i32_i8_e32 v116, v16, v10
	v_and_b32_e32 v2, 0xf0f0f0f, v19
	v_lshrrev_b32_e32 v16, 4, v19
	v_and_b32_e32 v16, 0xf0f0f0f, v16
	v_dot4c_i32_i8_e32 v116, v2, v7
	v_dot4c_i32_i8_e32 v116, v16, v11
	v_and_b32_e32 v2, 0xf0f0f0f, v128
	v_lshrrev_b32_e32 v16, 4, v128
	;; [unrolled: 5-line block ×3, first 2 shown]
	v_and_b32_e32 v16, 0xf0f0f0f, v16
	v_dot4c_i32_i8_e32 v116, v2, v9
	v_dot4c_i32_i8_e32 v116, v16, v13
	v_pk_mul_f16 v117, v3, v127
	v_and_b32_e32 v2, 0xf0f0f0f, v156
	v_lshrrev_b32_e32 v16, 4, v156
	v_mov_b32_e32 v127, 0
	v_and_b32_e32 v16, 0xf0f0f0f, v16
	v_dot4c_i32_i8_e32 v127, v2, v6
	v_dot4c_i32_i8_e32 v127, v16, v10
	v_and_b32_e32 v2, 0xf0f0f0f, v157
	v_lshrrev_b32_e32 v16, 4, v157
	v_and_b32_e32 v16, 0xf0f0f0f, v16
	v_dot4c_i32_i8_e32 v127, v2, v7
	v_add_u32_e32 v2, 0x2158, v37
	v_dot4c_i32_i8_e32 v127, v16, v11
	ds_read2_b32 v[16:17], v2 offset1:1
	v_add_u32_e32 v18, 0x31d0, v37
	v_add_u32_e32 v20, 0x31d8, v37
	;; [unrolled: 1-line block ×3, first 2 shown]
	ds_read2_b32 v[18:19], v18 offset1:1
	ds_read2_b32 v[20:21], v20 offset1:1
	;; [unrolled: 1-line block ×3, first 2 shown]
	s_waitcnt lgkmcnt(3)
	v_and_b32_e32 v2, 0xf0f0f0f, v16
	v_lshrrev_b32_e32 v16, 4, v16
	v_and_b32_e32 v16, 0xf0f0f0f, v16
	v_dot4c_i32_i8_e32 v127, v2, v8
	v_dot4c_i32_i8_e32 v127, v16, v12
	v_and_b32_e32 v2, 0xf0f0f0f, v17
	v_lshrrev_b32_e32 v16, 4, v17
	v_and_b32_e32 v16, 0xf0f0f0f, v16
	v_dot4c_i32_i8_e32 v127, v2, v9
	v_dot4c_i32_i8_e32 v127, v16, v13
	s_waitcnt lgkmcnt(2)
	v_and_b32_e32 v2, 0xf0f0f0f, v18
	v_lshrrev_b32_e32 v16, 4, v18
	v_mov_b32_e32 v129, 0
	v_and_b32_e32 v16, 0xf0f0f0f, v16
	v_dot4c_i32_i8_e32 v129, v2, v6
	v_dot4c_i32_i8_e32 v129, v16, v10
	v_and_b32_e32 v2, 0xf0f0f0f, v19
	v_lshrrev_b32_e32 v6, 4, v19
	v_and_b32_e32 v6, 0xf0f0f0f, v6
	v_dot4c_i32_i8_e32 v129, v2, v7
	v_dot4c_i32_i8_e32 v129, v6, v11
	s_waitcnt lgkmcnt(1)
	v_and_b32_e32 v2, 0xf0f0f0f, v20
	v_lshrrev_b32_e32 v6, 4, v20
	v_and_b32_e32 v6, 0xf0f0f0f, v6
	v_dot4c_i32_i8_e32 v129, v2, v8
	v_dot4c_i32_i8_e32 v129, v6, v12
	v_and_b32_e32 v2, 0xf0f0f0f, v21
	v_lshrrev_b32_e32 v6, 4, v21
	v_and_b32_e32 v6, 0xf0f0f0f, v6
	v_dot4c_i32_i8_e32 v129, v2, v9
	v_dot4c_i32_i8_e32 v129, v6, v13
	ds_read_b128 v[6:9], v33 offset:64
	ds_read_b128 v[10:13], v33 offset:80
	v_pk_mul_f16 v107, v3, v107
	v_pk_mul_f16 v128, v3, v161
	;; [unrolled: 1-line block ×3, first 2 shown]
	v_and_b32_e32 v2, 0xf0f0f0f, v120
	v_lshrrev_b32_e32 v3, 4, v120
	v_mov_b32_e32 v120, 0
	v_and_b32_e32 v3, 0xf0f0f0f, v3
	s_waitcnt lgkmcnt(1)
	v_dot4c_i32_i8_e32 v120, v2, v6
	s_waitcnt lgkmcnt(0)
	v_dot4c_i32_i8_e32 v120, v3, v10
	v_and_b32_e32 v2, 0xf0f0f0f, v121
	v_lshrrev_b32_e32 v3, 4, v121
	v_and_b32_e32 v3, 0xf0f0f0f, v3
	v_dot4c_i32_i8_e32 v120, v2, v7
	v_dot4c_i32_i8_e32 v120, v3, v11
	v_and_b32_e32 v2, 0xf0f0f0f, v122
	v_lshrrev_b32_e32 v3, 4, v122
	v_and_b32_e32 v3, 0xf0f0f0f, v3
	v_dot4c_i32_i8_e32 v120, v2, v8
	;; [unrolled: 5-line block ×3, first 2 shown]
	v_dot4c_i32_i8_e32 v120, v3, v13
	v_and_b32_e32 v2, 0xf0f0f0f, v114
	v_lshrrev_b32_e32 v3, 4, v114
	v_mov_b32_e32 v121, 0
	v_and_b32_e32 v3, 0xf0f0f0f, v3
	v_dot4c_i32_i8_e32 v121, v2, v6
	v_dot4c_i32_i8_e32 v121, v3, v10
	v_and_b32_e32 v2, 0xf0f0f0f, v115
	v_lshrrev_b32_e32 v3, 4, v115
	v_and_b32_e32 v3, 0xf0f0f0f, v3
	v_dot4c_i32_i8_e32 v121, v2, v7
	v_add_u32_e32 v2, 0x10e8, v37
	v_dot4c_i32_i8_e32 v121, v3, v11
	ds_read2_b32 v[2:3], v2 offset1:1
	v_add_u32_e32 v16, 0x2160, v37
	v_add_u32_e32 v18, 0x2168, v37
	;; [unrolled: 1-line block ×3, first 2 shown]
	ds_read2_b32 v[16:17], v16 offset1:1
	ds_read2_b32 v[18:19], v18 offset1:1
	;; [unrolled: 1-line block ×3, first 2 shown]
	s_waitcnt lgkmcnt(3)
	v_and_b32_e32 v114, 0xf0f0f0f, v2
	v_lshrrev_b32_e32 v2, 4, v2
	v_and_b32_e32 v2, 0xf0f0f0f, v2
	v_dot4c_i32_i8_e32 v121, v114, v8
	v_dot4c_i32_i8_e32 v121, v2, v12
	v_and_b32_e32 v2, 0xf0f0f0f, v3
	v_lshrrev_b32_e32 v3, 4, v3
	v_and_b32_e32 v3, 0xf0f0f0f, v3
	v_dot4c_i32_i8_e32 v121, v2, v9
	v_dot4c_i32_i8_e32 v121, v3, v13
	s_waitcnt lgkmcnt(2)
	v_and_b32_e32 v2, 0xf0f0f0f, v16
	v_lshrrev_b32_e32 v3, 4, v16
	v_mov_b32_e32 v122, 0
	v_and_b32_e32 v3, 0xf0f0f0f, v3
	v_dot4c_i32_i8_e32 v122, v2, v6
	v_dot4c_i32_i8_e32 v122, v3, v10
	v_and_b32_e32 v2, 0xf0f0f0f, v17
	v_lshrrev_b32_e32 v3, 4, v17
	v_and_b32_e32 v3, 0xf0f0f0f, v3
	v_dot4c_i32_i8_e32 v122, v2, v7
	v_dot4c_i32_i8_e32 v122, v3, v11
	s_waitcnt lgkmcnt(1)
	v_and_b32_e32 v2, 0xf0f0f0f, v18
	v_lshrrev_b32_e32 v3, 4, v18
	v_and_b32_e32 v3, 0xf0f0f0f, v3
	v_dot4c_i32_i8_e32 v122, v2, v8
	v_dot4c_i32_i8_e32 v122, v3, v12
	v_and_b32_e32 v2, 0xf0f0f0f, v19
	v_lshrrev_b32_e32 v3, 4, v19
	v_and_b32_e32 v3, 0xf0f0f0f, v3
	v_dot4c_i32_i8_e32 v122, v2, v9
	v_dot4c_i32_i8_e32 v122, v3, v13
	s_waitcnt lgkmcnt(0)
	v_and_b32_e32 v2, 0xf0f0f0f, v20
	v_lshrrev_b32_e32 v3, 4, v20
	v_mov_b32_e32 v157, 0
	v_and_b32_e32 v3, 0xf0f0f0f, v3
	v_dot4c_i32_i8_e32 v157, v2, v6
	v_dot4c_i32_i8_e32 v157, v3, v10
	v_and_b32_e32 v2, 0xf0f0f0f, v21
	v_lshrrev_b32_e32 v3, 4, v21
	v_and_b32_e32 v3, 0xf0f0f0f, v3
	v_dot4c_i32_i8_e32 v157, v2, v7
	v_add_u32_e32 v2, 0x31e8, v37
	v_dot4c_i32_i8_e32 v157, v3, v11
	ds_read2_b32 v[2:3], v2 offset1:1
	v_add_u32_e32 v6, 0x10f0, v37
	v_add_u32_e32 v7, 0x10f8, v37
	;; [unrolled: 1-line block ×3, first 2 shown]
	ds_read2_b32 v[16:17], v6 offset1:1
	ds_read2_b32 v[18:19], v7 offset1:1
	;; [unrolled: 1-line block ×3, first 2 shown]
	s_waitcnt lgkmcnt(3)
	v_and_b32_e32 v6, 0xf0f0f0f, v2
	v_lshrrev_b32_e32 v2, 4, v2
	v_and_b32_e32 v2, 0xf0f0f0f, v2
	v_dot4c_i32_i8_e32 v157, v6, v8
	v_dot4c_i32_i8_e32 v157, v2, v12
	v_and_b32_e32 v2, 0xf0f0f0f, v3
	v_lshrrev_b32_e32 v3, 4, v3
	v_and_b32_e32 v3, 0xf0f0f0f, v3
	v_dot4c_i32_i8_e32 v157, v2, v9
	v_dot4c_i32_i8_e32 v157, v3, v13
	ds_read_b128 v[6:9], v33 offset:96
	ds_read_b128 v[10:13], v33 offset:112
	v_pk_mul_f16 v118, v4, v118
	v_pk_mul_f16 v110, v4, v110
	;; [unrolled: 1-line block ×4, first 2 shown]
	v_and_b32_e32 v2, 0xf0f0f0f, v108
	v_lshrrev_b32_e32 v3, 4, v108
	v_mov_b32_e32 v4, 0
	v_and_b32_e32 v3, 0xf0f0f0f, v3
	s_waitcnt lgkmcnt(1)
	v_dot4c_i32_i8_e32 v4, v2, v6
	s_waitcnt lgkmcnt(0)
	v_dot4c_i32_i8_e32 v4, v3, v10
	v_and_b32_e32 v2, 0xf0f0f0f, v109
	v_lshrrev_b32_e32 v3, 4, v109
	v_and_b32_e32 v3, 0xf0f0f0f, v3
	v_dot4c_i32_i8_e32 v4, v2, v7
	v_dot4c_i32_i8_e32 v4, v3, v11
	v_and_b32_e32 v2, 0xf0f0f0f, v112
	v_lshrrev_b32_e32 v3, 4, v112
	v_and_b32_e32 v3, 0xf0f0f0f, v3
	v_dot4c_i32_i8_e32 v4, v2, v8
	;; [unrolled: 5-line block ×3, first 2 shown]
	v_dot4c_i32_i8_e32 v4, v3, v13
	v_pk_mul_f16 v14, v5, v119
	v_and_b32_e32 v2, 0xf0f0f0f, v16
	v_lshrrev_b32_e32 v3, 4, v16
	v_mov_b32_e32 v119, 0
	v_and_b32_e32 v3, 0xf0f0f0f, v3
	v_dot4c_i32_i8_e32 v119, v2, v6
	v_dot4c_i32_i8_e32 v119, v3, v10
	v_and_b32_e32 v2, 0xf0f0f0f, v17
	v_lshrrev_b32_e32 v3, 4, v17
	v_and_b32_e32 v3, 0xf0f0f0f, v3
	v_dot4c_i32_i8_e32 v119, v2, v7
	v_dot4c_i32_i8_e32 v119, v3, v11
	v_and_b32_e32 v2, 0xf0f0f0f, v18
	v_lshrrev_b32_e32 v3, 4, v18
	;; [unrolled: 5-line block ×3, first 2 shown]
	v_and_b32_e32 v3, 0xf0f0f0f, v3
	v_dot4c_i32_i8_e32 v119, v2, v9
	v_dot4c_i32_i8_e32 v119, v3, v13
	v_cvt_f32_f16_e32 v3, v126
	v_cvt_f32_f16_e32 v2, v125
	v_cvt_f32_f16_sdwa v17, v126 dst_sel:DWORD dst_unused:UNUSED_PAD src0_sel:WORD_1
	v_cvt_f32_f16_sdwa v16, v125 dst_sel:DWORD dst_unused:UNUSED_PAD src0_sel:WORD_1
	v_cvt_f32_i32_e32 v19, v155
	v_cvt_f32_i32_e32 v18, v124
	v_cvt_f32_f16_e32 v109, v117
	v_cvt_f32_f16_e32 v108, v107
	v_cvt_f32_f16_sdwa v113, v117 dst_sel:DWORD dst_unused:UNUSED_PAD src0_sel:WORD_1
	v_cvt_f32_f16_sdwa v112, v107 dst_sel:DWORD dst_unused:UNUSED_PAD src0_sel:WORD_1
	v_cvt_f32_i32_e32 v115, v116
	v_cvt_f32_i32_e32 v114, v163
	v_pk_fma_f32 v[2:3], v[2:3], v[18:19], v[16:17]
	v_pk_mul_f16 v107, v5, v111
	v_pk_add_f32 v[2:3], v[22:23], v[2:3]
	v_pk_fma_f32 v[16:17], v[108:109], v[114:115], v[112:113]
	v_cvt_f32_f16_e32 v19, v110
	v_cvt_f32_f16_e32 v18, v118
	v_cvt_f32_f16_sdwa v23, v110 dst_sel:DWORD dst_unused:UNUSED_PAD src0_sel:WORD_1
	v_cvt_f32_f16_sdwa v22, v118 dst_sel:DWORD dst_unused:UNUSED_PAD src0_sel:WORD_1
	v_cvt_f32_i32_e32 v109, v121
	v_cvt_f32_i32_e32 v108, v120
	v_cvt_f32_f16_e32 v111, v107
	v_cvt_f32_f16_e32 v110, v14
	v_cvt_f32_f16_sdwa v113, v107 dst_sel:DWORD dst_unused:UNUSED_PAD src0_sel:WORD_1
	v_cvt_f32_f16_sdwa v112, v14 dst_sel:DWORD dst_unused:UNUSED_PAD src0_sel:WORD_1
	v_cvt_f32_i32_e32 v115, v119
	v_cvt_f32_i32_e32 v114, v4
	v_pk_add_f32 v[2:3], v[2:3], v[16:17]
	v_pk_fma_f32 v[16:17], v[18:19], v[108:109], v[22:23]
	v_add_u32_e32 v4, 0x31f0, v37
	v_pk_add_f32 v[2:3], v[2:3], v[16:17]
	v_pk_fma_f32 v[16:17], v[110:111], v[114:115], v[112:113]
	v_add_u32_e32 v14, 0x31f8, v37
	v_pk_add_f32 v[22:23], v[2:3], v[16:17]
	v_and_b32_e32 v2, 0xf0f0f0f, v20
	v_lshrrev_b32_e32 v3, 4, v20
	v_mov_b32_e32 v20, 0
	v_and_b32_e32 v3, 0xf0f0f0f, v3
	v_dot4c_i32_i8_e32 v20, v2, v6
	v_dot4c_i32_i8_e32 v20, v3, v10
	v_and_b32_e32 v2, 0xf0f0f0f, v21
	v_lshrrev_b32_e32 v3, 4, v21
	v_and_b32_e32 v3, 0xf0f0f0f, v3
	v_dot4c_i32_i8_e32 v20, v2, v7
	v_add_u32_e32 v2, 0x2178, v37
	v_dot4c_i32_i8_e32 v20, v3, v11
	ds_read2_b32 v[2:3], v2 offset1:1
	ds_read2_b32 v[16:17], v4 offset1:1
	;; [unrolled: 1-line block ×3, first 2 shown]
	v_pk_mul_f16 v21, v5, v15
	v_cvt_f32_i32_e32 v15, v129
	v_cvt_f32_i32_e32 v14, v127
	s_waitcnt lgkmcnt(2)
	v_and_b32_e32 v4, 0xf0f0f0f, v2
	v_lshrrev_b32_e32 v2, 4, v2
	v_and_b32_e32 v2, 0xf0f0f0f, v2
	v_dot4c_i32_i8_e32 v20, v4, v8
	v_dot4c_i32_i8_e32 v20, v2, v12
	v_and_b32_e32 v2, 0xf0f0f0f, v3
	v_lshrrev_b32_e32 v3, 4, v3
	v_and_b32_e32 v3, 0xf0f0f0f, v3
	v_dot4c_i32_i8_e32 v20, v2, v9
	v_dot4c_i32_i8_e32 v20, v3, v13
	s_waitcnt lgkmcnt(1)
	v_and_b32_e32 v2, 0xf0f0f0f, v16
	v_lshrrev_b32_e32 v3, 4, v16
	v_mov_b32_e32 v16, 0
	v_and_b32_e32 v3, 0xf0f0f0f, v3
	v_dot4c_i32_i8_e32 v16, v2, v6
	v_dot4c_i32_i8_e32 v16, v3, v10
	v_and_b32_e32 v2, 0xf0f0f0f, v17
	v_lshrrev_b32_e32 v3, 4, v17
	v_and_b32_e32 v3, 0xf0f0f0f, v3
	v_dot4c_i32_i8_e32 v16, v2, v7
	v_dot4c_i32_i8_e32 v16, v3, v11
	s_waitcnt lgkmcnt(0)
	v_and_b32_e32 v2, 0xf0f0f0f, v18
	v_lshrrev_b32_e32 v3, 4, v18
	v_and_b32_e32 v3, 0xf0f0f0f, v3
	v_dot4c_i32_i8_e32 v16, v2, v8
	v_dot4c_i32_i8_e32 v16, v3, v12
	v_and_b32_e32 v2, 0xf0f0f0f, v19
	v_lshrrev_b32_e32 v3, 4, v19
	v_and_b32_e32 v3, 0xf0f0f0f, v3
	v_dot4c_i32_i8_e32 v16, v2, v9
	v_dot4c_i32_i8_e32 v16, v3, v13
	v_cvt_f32_f16_e32 v3, v158
	v_cvt_f32_f16_e32 v2, v160
	v_cvt_f32_f16_sdwa v7, v158 dst_sel:DWORD dst_unused:UNUSED_PAD src0_sel:WORD_1
	v_cvt_f32_f16_sdwa v6, v160 dst_sel:DWORD dst_unused:UNUSED_PAD src0_sel:WORD_1
	v_cvt_f32_i32_e32 v9, v162
	v_cvt_f32_i32_e32 v8, v106
	v_cvt_f32_f16_e32 v11, v156
	v_cvt_f32_f16_e32 v10, v128
	v_cvt_f32_f16_sdwa v13, v156 dst_sel:DWORD dst_unused:UNUSED_PAD src0_sel:WORD_1
	v_cvt_f32_f16_sdwa v12, v128 dst_sel:DWORD dst_unused:UNUSED_PAD src0_sel:WORD_1
	v_pk_mul_f16 v17, v5, v105
	v_pk_fma_f32 v[2:3], v[2:3], v[8:9], v[6:7]
	v_cvt_f32_f16_e32 v7, v104
	v_pk_fma_f32 v[4:5], v[10:11], v[14:15], v[12:13]
	v_cvt_f32_f16_e32 v6, v123
	v_cvt_f32_f16_sdwa v9, v104 dst_sel:DWORD dst_unused:UNUSED_PAD src0_sel:WORD_1
	v_cvt_f32_f16_sdwa v8, v123 dst_sel:DWORD dst_unused:UNUSED_PAD src0_sel:WORD_1
	v_cvt_f32_i32_e32 v11, v157
	v_cvt_f32_i32_e32 v10, v122
	v_cvt_f32_f16_e32 v13, v17
	v_cvt_f32_f16_e32 v12, v21
	v_cvt_f32_f16_sdwa v15, v17 dst_sel:DWORD dst_unused:UNUSED_PAD src0_sel:WORD_1
	v_cvt_f32_f16_sdwa v14, v21 dst_sel:DWORD dst_unused:UNUSED_PAD src0_sel:WORD_1
	v_cvt_f32_i32_e32 v17, v16
	v_cvt_f32_i32_e32 v16, v20
	v_pk_add_f32 v[2:3], v[102:103], v[2:3]
	s_nop 0
	v_pk_add_f32 v[2:3], v[2:3], v[4:5]
	v_pk_fma_f32 v[4:5], v[6:7], v[10:11], v[8:9]
	s_barrier
	v_pk_add_f32 v[2:3], v[2:3], v[4:5]
	v_pk_fma_f32 v[4:5], v[12:13], v[16:17], v[14:15]
	s_nop 0
	v_pk_add_f32 v[102:103], v[2:3], v[4:5]
.LBB180_5:                              ;   in Loop: Header=BB180_6 Depth=1
	s_add_i32 s4, s4, 8
	s_addk_i32 s6, 0x100
	v_lshl_add_u64 v[60:61], v[60:61], 0, s[12:13]
	v_lshl_add_u64 v[62:63], v[62:63], 0, s[20:21]
	;; [unrolled: 1-line block ×20, first 2 shown]
	s_cmp_ge_i32 s4, s24
	v_lshl_add_u64 v[100:101], v[100:101], 0, s[20:21]
	s_cbranch_scc1 .LBB180_19
.LBB180_6:                              ; =>This Inner Loop Header: Depth=1
	v_lshl_add_u64 v[2:3], v[62:63], 0, s[18:19]
	global_load_dword v4, v[2:3], off
	v_lshl_add_u64 v[2:3], v[64:65], 0, s[18:19]
	global_load_dword v5, v[2:3], off
	;; [unrolled: 2-line block ×20, first 2 shown]
	s_add_i32 s2, s6, 0xffffff80
	s_cmp_lt_i32 s2, s5
	s_waitcnt vmcnt(19)
	ds_write_b32 v26, v4
	s_waitcnt vmcnt(18)
	ds_write_b32 v28, v5
	;; [unrolled: 2-line block ×20, first 2 shown]
	s_cbranch_scc0 .LBB180_5
; %bb.7:                                ;   in Loop: Header=BB180_6 Depth=1
	v_add_u32_e32 v2, s4, v27
	v_cmp_gt_i32_e64 s[2:3], s8, v2
	s_and_b64 s[22:23], s[0:1], s[2:3]
	s_and_saveexec_b64 s[2:3], s[22:23]
	s_cbranch_execz .LBB180_9
; %bb.8:                                ;   in Loop: Header=BB180_6 Depth=1
	v_add_u32_e32 v2, s4, v51
	v_mad_i64_i32 v[2:3], s[22:23], v2, 36, v[58:59]
	global_load_dword v2, v[2:3], off offset:4
	s_waitcnt vmcnt(0)
	ds_write_b32 v29, v2
.LBB180_9:                              ;   in Loop: Header=BB180_6 Depth=1
	s_or_b64 exec, exec, s[2:3]
	s_and_saveexec_b64 s[22:23], vcc
	s_cbranch_execz .LBB180_12
; %bb.10:                               ;   in Loop: Header=BB180_6 Depth=1
	v_add_u32_e32 v2, s4, v24
	v_cmp_gt_i32_e64 s[2:3], s8, v2
	s_and_b64 s[2:3], s[0:1], s[2:3]
	s_and_b64 exec, exec, s[2:3]
	s_cbranch_execz .LBB180_12
; %bb.11:                               ;   in Loop: Header=BB180_6 Depth=1
	v_add_u32_e32 v2, s4, v25
	v_mad_i64_i32 v[2:3], s[2:3], v2, 36, s[14:15]
	global_load_dword v2, v[2:3], off
	s_waitcnt vmcnt(0)
	ds_write_b32 v31, v2
.LBB180_12:                             ;   in Loop: Header=BB180_6 Depth=1
	s_or_b64 exec, exec, s[22:23]
	s_waitcnt lgkmcnt(0)
	s_barrier
	ds_read_b128 v[2:5], v35
	ds_read2_b32 v[104:105], v37 offset1:1
	ds_read_b128 v[14:17], v33
	ds_read_b128 v[18:21], v33 offset:16
	ds_read_b128 v[6:9], v33 offset:32
	;; [unrolled: 1-line block ×3, first 2 shown]
	ds_read2_b32 v[106:107], v39 offset1:1
	s_waitcnt lgkmcnt(5)
	v_and_b32_e32 v108, 0xf0f0f0f, v104
	v_lshrrev_b32_e32 v104, 4, v104
	v_mov_b32_e32 v118, 0
	v_and_b32_e32 v104, 0xf0f0f0f, v104
	s_waitcnt lgkmcnt(4)
	v_dot4c_i32_i8_e32 v118, v108, v14
	s_waitcnt lgkmcnt(3)
	v_dot4c_i32_i8_e32 v118, v104, v18
	v_and_b32_e32 v104, 0xf0f0f0f, v105
	v_lshrrev_b32_e32 v105, 4, v105
	v_and_b32_e32 v108, 0xf0f0f0f, v105
	v_dot4c_i32_i8_e32 v118, v104, v15
	ds_read2_b32 v[104:105], v37 offset0:2 offset1:3
	v_dot4c_i32_i8_e32 v118, v108, v19
	ds_read2_b32 v[120:121], v37 offset0:4 offset1:5
	ds_read2_b32 v[122:123], v37 offset0:6 offset1:7
	;; [unrolled: 1-line block ×3, first 2 shown]
	s_waitcnt lgkmcnt(4)
	v_pk_mul_f16 v155, v2, v106
	v_mov_b32_e32 v119, 0
	s_waitcnt lgkmcnt(3)
	v_and_b32_e32 v108, 0xf0f0f0f, v104
	v_dot4c_i32_i8_e32 v118, v108, v16
	ds_read2_b32 v[128:129], v37 offset0:10 offset1:11
	ds_read2_b32 v[112:113], v37 offset0:12 offset1:13
	;; [unrolled: 1-line block ×3, first 2 shown]
	ds_read2_b32 v[108:109], v131 offset1:1
	v_lshrrev_b32_e32 v104, 4, v104
	v_and_b32_e32 v104, 0xf0f0f0f, v104
	v_dot4c_i32_i8_e32 v118, v104, v20
	v_and_b32_e32 v104, 0xf0f0f0f, v105
	s_waitcnt lgkmcnt(0)
	v_and_b32_e32 v106, 0xf0f0f0f, v108
	v_lshrrev_b32_e32 v108, 4, v108
	v_lshrrev_b32_e32 v105, 4, v105
	v_and_b32_e32 v108, 0xf0f0f0f, v108
	v_dot4c_i32_i8_e32 v119, v106, v14
	v_and_b32_e32 v105, 0xf0f0f0f, v105
	v_dot4c_i32_i8_e32 v118, v104, v17
	v_dot4c_i32_i8_e32 v119, v108, v18
	v_lshrrev_b32_e32 v108, 4, v109
	v_dot4c_i32_i8_e32 v118, v105, v21
	ds_read2_b32 v[156:157], v41 offset1:1
	ds_read2_b32 v[104:105], v45 offset0:2 offset1:3
	v_and_b32_e32 v106, 0xf0f0f0f, v109
	v_and_b32_e32 v111, 0xf0f0f0f, v108
	ds_read2_b32 v[108:109], v132 offset1:1
	v_dot4c_i32_i8_e32 v119, v106, v15
	v_dot4c_i32_i8_e32 v119, v111, v19
	ds_read2_b32 v[158:159], v133 offset1:1
	ds_read2_b32 v[160:161], v134 offset1:1
	;; [unrolled: 1-line block ×3, first 2 shown]
	v_mov_b32_e32 v166, 0
	s_waitcnt lgkmcnt(3)
	v_and_b32_e32 v106, 0xf0f0f0f, v108
	v_lshrrev_b32_e32 v108, 4, v108
	v_and_b32_e32 v108, 0xf0f0f0f, v108
	v_dot4c_i32_i8_e32 v119, v106, v16
	v_dot4c_i32_i8_e32 v119, v108, v20
	v_and_b32_e32 v106, 0xf0f0f0f, v109
	v_lshrrev_b32_e32 v108, 4, v109
	v_and_b32_e32 v108, 0xf0f0f0f, v108
	v_dot4c_i32_i8_e32 v119, v106, v17
	v_dot4c_i32_i8_e32 v119, v108, v21
	s_waitcnt lgkmcnt(2)
	v_and_b32_e32 v106, 0xf0f0f0f, v158
	v_lshrrev_b32_e32 v108, 4, v158
	v_and_b32_e32 v108, 0xf0f0f0f, v108
	v_dot4c_i32_i8_e32 v166, v106, v14
	v_dot4c_i32_i8_e32 v166, v108, v18
	v_and_b32_e32 v106, 0xf0f0f0f, v159
	v_lshrrev_b32_e32 v108, 4, v159
	v_and_b32_e32 v108, 0xf0f0f0f, v108
	v_dot4c_i32_i8_e32 v166, v106, v15
	v_dot4c_i32_i8_e32 v166, v108, v19
	s_waitcnt lgkmcnt(1)
	v_and_b32_e32 v106, 0xf0f0f0f, v160
	v_lshrrev_b32_e32 v108, 4, v160
	v_and_b32_e32 v108, 0xf0f0f0f, v108
	v_dot4c_i32_i8_e32 v166, v106, v16
	v_dot4c_i32_i8_e32 v166, v108, v20
	v_and_b32_e32 v106, 0xf0f0f0f, v161
	v_dot4c_i32_i8_e32 v166, v106, v17
	s_waitcnt lgkmcnt(0)
	v_and_b32_e32 v106, 0xf0f0f0f, v162
	v_lshrrev_b32_e32 v109, 4, v162
	v_mov_b32_e32 v167, 0
	v_and_b32_e32 v109, 0xf0f0f0f, v109
	v_dot4c_i32_i8_e32 v167, v106, v14
	v_dot4c_i32_i8_e32 v167, v109, v18
	v_and_b32_e32 v14, 0xf0f0f0f, v163
	ds_read2_b32 v[164:165], v43 offset1:1
	ds_read2_b32 v[114:115], v41 offset0:2 offset1:3
	ds_read2_b32 v[124:125], v39 offset0:2 offset1:3
	v_dot4c_i32_i8_e32 v167, v14, v15
	ds_read2_b32 v[14:15], v136 offset1:1
	v_lshrrev_b32_e32 v18, 4, v163
	v_and_b32_e32 v18, 0xf0f0f0f, v18
	v_lshrrev_b32_e32 v108, 4, v161
	v_dot4c_i32_i8_e32 v167, v18, v19
	ds_read2_b32 v[18:19], v137 offset1:1
	ds_read2_b32 v[158:159], v138 offset1:1
	ds_read2_b32 v[160:161], v139 offset1:1
	ds_read2_b32 v[162:163], v45 offset1:1
	s_waitcnt lgkmcnt(4)
	v_and_b32_e32 v106, 0xf0f0f0f, v14
	v_lshrrev_b32_e32 v14, 4, v14
	v_and_b32_e32 v108, 0xf0f0f0f, v108
	v_and_b32_e32 v14, 0xf0f0f0f, v14
	v_dot4c_i32_i8_e32 v167, v106, v16
	v_dot4c_i32_i8_e32 v166, v108, v21
	;; [unrolled: 1-line block ×3, first 2 shown]
	v_and_b32_e32 v14, 0xf0f0f0f, v15
	v_pk_mul_f16 v156, v2, v156
	v_pk_mul_f16 v164, v2, v164
	v_dot4c_i32_i8_e32 v167, v14, v17
	ds_read2_b32 v[16:17], v43 offset0:2 offset1:3
	s_waitcnt lgkmcnt(1)
	v_pk_mul_f16 v162, v2, v162
	v_cvt_f32_i32_e32 v14, v166
	v_and_b32_e32 v2, 0xf0f0f0f, v120
	v_lshrrev_b32_e32 v20, 4, v120
	v_mov_b32_e32 v166, 0
	v_and_b32_e32 v20, 0xf0f0f0f, v20
	v_dot4c_i32_i8_e32 v166, v2, v6
	v_dot4c_i32_i8_e32 v166, v20, v10
	v_and_b32_e32 v2, 0xf0f0f0f, v121
	v_lshrrev_b32_e32 v20, 4, v121
	v_and_b32_e32 v20, 0xf0f0f0f, v20
	v_dot4c_i32_i8_e32 v166, v2, v7
	v_dot4c_i32_i8_e32 v166, v20, v11
	v_and_b32_e32 v2, 0xf0f0f0f, v122
	v_lshrrev_b32_e32 v20, 4, v122
	;; [unrolled: 5-line block ×3, first 2 shown]
	v_dot4c_i32_i8_e32 v166, v2, v9
	v_and_b32_e32 v2, 0xf0f0f0f, v18
	v_lshrrev_b32_e32 v18, 4, v18
	v_mov_b32_e32 v123, 0
	v_and_b32_e32 v18, 0xf0f0f0f, v18
	v_dot4c_i32_i8_e32 v123, v2, v6
	v_dot4c_i32_i8_e32 v123, v18, v10
	v_and_b32_e32 v2, 0xf0f0f0f, v19
	v_lshrrev_b32_e32 v18, 4, v19
	v_and_b32_e32 v18, 0xf0f0f0f, v18
	v_dot4c_i32_i8_e32 v123, v2, v7
	v_dot4c_i32_i8_e32 v123, v18, v11
	v_and_b32_e32 v2, 0xf0f0f0f, v158
	v_lshrrev_b32_e32 v18, 4, v158
	;; [unrolled: 5-line block ×4, first 2 shown]
	v_mov_b32_e32 v158, 0
	v_and_b32_e32 v18, 0xf0f0f0f, v18
	v_dot4c_i32_i8_e32 v158, v2, v6
	v_and_b32_e32 v20, 0xf0f0f0f, v20
	v_dot4c_i32_i8_e32 v158, v18, v10
	v_lshrrev_b32_e32 v18, 4, v161
	v_dot4c_i32_i8_e32 v166, v20, v13
	v_and_b32_e32 v20, 0xf0f0f0f, v18
	ds_read2_b32 v[18:19], v140 offset1:1
	v_and_b32_e32 v2, 0xf0f0f0f, v161
	v_lshrrev_b32_e32 v15, 4, v15
	v_dot4c_i32_i8_e32 v158, v2, v7
	v_and_b32_e32 v15, 0xf0f0f0f, v15
	v_dot4c_i32_i8_e32 v158, v20, v11
	s_waitcnt lgkmcnt(0)
	v_and_b32_e32 v2, 0xf0f0f0f, v18
	v_lshrrev_b32_e32 v18, 4, v18
	v_dot4c_i32_i8_e32 v167, v15, v21
	v_pk_mul_f16 v122, v3, v107
	ds_read2_b32 v[20:21], v141 offset1:1
	ds_read2_b32 v[106:107], v142 offset1:1
	;; [unrolled: 1-line block ×3, first 2 shown]
	v_and_b32_e32 v18, 0xf0f0f0f, v18
	v_dot4c_i32_i8_e32 v158, v2, v8
	v_dot4c_i32_i8_e32 v158, v18, v12
	v_and_b32_e32 v2, 0xf0f0f0f, v19
	v_lshrrev_b32_e32 v18, 4, v19
	v_and_b32_e32 v18, 0xf0f0f0f, v18
	v_dot4c_i32_i8_e32 v158, v2, v9
	v_dot4c_i32_i8_e32 v158, v18, v13
	s_waitcnt lgkmcnt(2)
	v_and_b32_e32 v2, 0xf0f0f0f, v20
	v_lshrrev_b32_e32 v18, 4, v20
	v_mov_b32_e32 v160, 0
	v_and_b32_e32 v18, 0xf0f0f0f, v18
	v_dot4c_i32_i8_e32 v160, v2, v6
	v_dot4c_i32_i8_e32 v160, v18, v10
	v_and_b32_e32 v2, 0xf0f0f0f, v21
	v_lshrrev_b32_e32 v6, 4, v21
	v_and_b32_e32 v6, 0xf0f0f0f, v6
	v_dot4c_i32_i8_e32 v160, v2, v7
	v_dot4c_i32_i8_e32 v160, v6, v11
	s_waitcnt lgkmcnt(1)
	v_and_b32_e32 v2, 0xf0f0f0f, v106
	v_lshrrev_b32_e32 v6, 4, v106
	v_and_b32_e32 v6, 0xf0f0f0f, v6
	v_dot4c_i32_i8_e32 v160, v2, v8
	v_dot4c_i32_i8_e32 v160, v6, v12
	v_and_b32_e32 v2, 0xf0f0f0f, v107
	v_lshrrev_b32_e32 v6, 4, v107
	v_and_b32_e32 v6, 0xf0f0f0f, v6
	v_dot4c_i32_i8_e32 v160, v2, v9
	v_dot4c_i32_i8_e32 v160, v6, v13
	ds_read_b128 v[6:9], v33 offset:64
	ds_read_b128 v[10:13], v33 offset:80
	v_pk_mul_f16 v157, v3, v157
	v_pk_mul_f16 v159, v3, v165
	;; [unrolled: 1-line block ×3, first 2 shown]
	v_and_b32_e32 v2, 0xf0f0f0f, v126
	v_lshrrev_b32_e32 v3, 4, v126
	v_mov_b32_e32 v126, 0
	v_and_b32_e32 v3, 0xf0f0f0f, v3
	s_waitcnt lgkmcnt(1)
	v_dot4c_i32_i8_e32 v126, v2, v6
	s_waitcnt lgkmcnt(0)
	v_dot4c_i32_i8_e32 v126, v3, v10
	v_and_b32_e32 v2, 0xf0f0f0f, v127
	v_lshrrev_b32_e32 v3, 4, v127
	v_and_b32_e32 v3, 0xf0f0f0f, v3
	v_dot4c_i32_i8_e32 v126, v2, v7
	v_dot4c_i32_i8_e32 v126, v3, v11
	v_and_b32_e32 v2, 0xf0f0f0f, v128
	v_lshrrev_b32_e32 v3, 4, v128
	v_and_b32_e32 v3, 0xf0f0f0f, v3
	v_dot4c_i32_i8_e32 v126, v2, v8
	;; [unrolled: 5-line block ×3, first 2 shown]
	v_dot4c_i32_i8_e32 v126, v3, v13
	v_and_b32_e32 v2, 0xf0f0f0f, v120
	v_lshrrev_b32_e32 v3, 4, v120
	v_mov_b32_e32 v120, 0
	v_and_b32_e32 v3, 0xf0f0f0f, v3
	v_dot4c_i32_i8_e32 v120, v2, v6
	v_dot4c_i32_i8_e32 v120, v3, v10
	v_and_b32_e32 v2, 0xf0f0f0f, v121
	v_lshrrev_b32_e32 v3, 4, v121
	v_and_b32_e32 v18, 0xf0f0f0f, v3
	v_dot4c_i32_i8_e32 v120, v2, v7
	ds_read2_b32 v[2:3], v144 offset1:1
	v_dot4c_i32_i8_e32 v120, v18, v11
	ds_read2_b32 v[18:19], v145 offset1:1
	ds_read2_b32 v[20:21], v146 offset1:1
	;; [unrolled: 1-line block ×3, first 2 shown]
	v_mov_b32_e32 v127, 0
	v_pk_mul_f16 v124, v4, v124
	s_waitcnt lgkmcnt(3)
	v_and_b32_e32 v121, 0xf0f0f0f, v2
	v_lshrrev_b32_e32 v2, 4, v2
	v_and_b32_e32 v2, 0xf0f0f0f, v2
	v_dot4c_i32_i8_e32 v120, v121, v8
	v_dot4c_i32_i8_e32 v120, v2, v12
	v_and_b32_e32 v2, 0xf0f0f0f, v3
	v_lshrrev_b32_e32 v3, 4, v3
	v_and_b32_e32 v3, 0xf0f0f0f, v3
	v_dot4c_i32_i8_e32 v120, v2, v9
	v_dot4c_i32_i8_e32 v120, v3, v13
	s_waitcnt lgkmcnt(2)
	v_and_b32_e32 v2, 0xf0f0f0f, v18
	v_lshrrev_b32_e32 v3, 4, v18
	v_mov_b32_e32 v121, 0
	v_and_b32_e32 v3, 0xf0f0f0f, v3
	v_dot4c_i32_i8_e32 v121, v2, v6
	v_dot4c_i32_i8_e32 v121, v3, v10
	v_and_b32_e32 v2, 0xf0f0f0f, v19
	v_lshrrev_b32_e32 v3, 4, v19
	v_and_b32_e32 v3, 0xf0f0f0f, v3
	v_dot4c_i32_i8_e32 v121, v2, v7
	v_dot4c_i32_i8_e32 v121, v3, v11
	s_waitcnt lgkmcnt(1)
	v_and_b32_e32 v2, 0xf0f0f0f, v20
	v_lshrrev_b32_e32 v3, 4, v20
	v_and_b32_e32 v3, 0xf0f0f0f, v3
	v_dot4c_i32_i8_e32 v121, v2, v8
	v_dot4c_i32_i8_e32 v121, v3, v12
	v_and_b32_e32 v2, 0xf0f0f0f, v21
	v_lshrrev_b32_e32 v3, 4, v21
	v_and_b32_e32 v3, 0xf0f0f0f, v3
	v_dot4c_i32_i8_e32 v121, v2, v9
	v_dot4c_i32_i8_e32 v121, v3, v13
	s_waitcnt lgkmcnt(0)
	v_and_b32_e32 v2, 0xf0f0f0f, v106
	v_lshrrev_b32_e32 v3, 4, v106
	v_and_b32_e32 v3, 0xf0f0f0f, v3
	v_dot4c_i32_i8_e32 v127, v2, v6
	v_dot4c_i32_i8_e32 v127, v3, v10
	v_and_b32_e32 v2, 0xf0f0f0f, v107
	v_lshrrev_b32_e32 v3, 4, v107
	v_and_b32_e32 v6, 0xf0f0f0f, v3
	v_dot4c_i32_i8_e32 v127, v2, v7
	ds_read2_b32 v[2:3], v148 offset1:1
	v_dot4c_i32_i8_e32 v127, v6, v11
	ds_read2_b32 v[18:19], v149 offset1:1
	ds_read2_b32 v[20:21], v150 offset1:1
	;; [unrolled: 1-line block ×3, first 2 shown]
	v_pk_mul_f16 v114, v4, v114
	v_pk_mul_f16 v16, v4, v16
	s_waitcnt lgkmcnt(3)
	v_and_b32_e32 v6, 0xf0f0f0f, v2
	v_lshrrev_b32_e32 v2, 4, v2
	v_and_b32_e32 v2, 0xf0f0f0f, v2
	v_dot4c_i32_i8_e32 v127, v6, v8
	v_dot4c_i32_i8_e32 v127, v2, v12
	v_and_b32_e32 v2, 0xf0f0f0f, v3
	v_lshrrev_b32_e32 v3, 4, v3
	v_and_b32_e32 v3, 0xf0f0f0f, v3
	v_dot4c_i32_i8_e32 v127, v2, v9
	v_dot4c_i32_i8_e32 v127, v3, v13
	ds_read_b128 v[6:9], v33 offset:96
	ds_read_b128 v[10:13], v33 offset:112
	v_pk_mul_f16 v104, v4, v104
	v_and_b32_e32 v2, 0xf0f0f0f, v112
	v_lshrrev_b32_e32 v3, 4, v112
	v_mov_b32_e32 v4, 0
	v_and_b32_e32 v3, 0xf0f0f0f, v3
	s_waitcnt lgkmcnt(1)
	v_dot4c_i32_i8_e32 v4, v2, v6
	s_waitcnt lgkmcnt(0)
	v_dot4c_i32_i8_e32 v4, v3, v10
	v_and_b32_e32 v2, 0xf0f0f0f, v113
	v_lshrrev_b32_e32 v3, 4, v113
	v_and_b32_e32 v3, 0xf0f0f0f, v3
	v_dot4c_i32_i8_e32 v4, v2, v7
	v_dot4c_i32_i8_e32 v4, v3, v11
	v_and_b32_e32 v2, 0xf0f0f0f, v116
	v_lshrrev_b32_e32 v3, 4, v116
	v_and_b32_e32 v3, 0xf0f0f0f, v3
	v_dot4c_i32_i8_e32 v4, v2, v8
	;; [unrolled: 5-line block ×3, first 2 shown]
	v_dot4c_i32_i8_e32 v4, v3, v13
	v_and_b32_e32 v2, 0xf0f0f0f, v18
	v_lshrrev_b32_e32 v3, 4, v18
	v_mov_b32_e32 v117, 0
	v_and_b32_e32 v3, 0xf0f0f0f, v3
	v_dot4c_i32_i8_e32 v117, v2, v6
	v_dot4c_i32_i8_e32 v117, v3, v10
	v_and_b32_e32 v2, 0xf0f0f0f, v19
	v_lshrrev_b32_e32 v3, 4, v19
	v_and_b32_e32 v3, 0xf0f0f0f, v3
	v_dot4c_i32_i8_e32 v117, v2, v7
	v_dot4c_i32_i8_e32 v117, v3, v11
	v_and_b32_e32 v2, 0xf0f0f0f, v20
	v_lshrrev_b32_e32 v3, 4, v20
	;; [unrolled: 5-line block ×3, first 2 shown]
	v_and_b32_e32 v3, 0xf0f0f0f, v3
	v_dot4c_i32_i8_e32 v117, v2, v9
	v_cvt_f32_f16_e32 v110, v155
	v_cvt_f32_f16_e32 v111, v156
	v_cvt_f32_i32_e32 v119, v119
	v_cvt_f32_i32_e32 v118, v118
	v_dot4c_i32_i8_e32 v117, v3, v13
	v_cvt_f32_f16_sdwa v3, v156 dst_sel:DWORD dst_unused:UNUSED_PAD src0_sel:WORD_1
	v_cvt_f32_f16_sdwa v2, v155 dst_sel:DWORD dst_unused:UNUSED_PAD src0_sel:WORD_1
	v_cvt_f32_f16_e32 v19, v157
	v_cvt_f32_f16_e32 v18, v122
	v_cvt_f32_f16_sdwa v21, v157 dst_sel:DWORD dst_unused:UNUSED_PAD src0_sel:WORD_1
	v_cvt_f32_f16_sdwa v20, v122 dst_sel:DWORD dst_unused:UNUSED_PAD src0_sel:WORD_1
	v_cvt_f32_i32_e32 v113, v123
	v_cvt_f32_i32_e32 v112, v166
	v_pk_fma_f32 v[2:3], v[110:111], v[118:119], v[2:3]
	v_pk_mul_f16 v116, v5, v125
	v_pk_mul_f16 v115, v5, v115
	v_pk_add_f32 v[2:3], v[22:23], v[2:3]
	v_pk_fma_f32 v[18:19], v[18:19], v[112:113], v[20:21]
	v_cvt_f32_f16_e32 v21, v114
	v_cvt_f32_f16_e32 v20, v124
	v_cvt_f32_f16_sdwa v23, v114 dst_sel:DWORD dst_unused:UNUSED_PAD src0_sel:WORD_1
	v_cvt_f32_f16_sdwa v22, v124 dst_sel:DWORD dst_unused:UNUSED_PAD src0_sel:WORD_1
	v_cvt_f32_i32_e32 v111, v120
	v_cvt_f32_i32_e32 v110, v126
	v_cvt_f32_f16_e32 v113, v115
	v_cvt_f32_f16_e32 v112, v116
	v_cvt_f32_f16_sdwa v115, v115 dst_sel:DWORD dst_unused:UNUSED_PAD src0_sel:WORD_1
	v_cvt_f32_f16_sdwa v114, v116 dst_sel:DWORD dst_unused:UNUSED_PAD src0_sel:WORD_1
	v_cvt_f32_i32_e32 v117, v117
	v_cvt_f32_i32_e32 v116, v4
	v_pk_add_f32 v[2:3], v[2:3], v[18:19]
	v_pk_fma_f32 v[18:19], v[20:21], v[110:111], v[22:23]
	v_and_b32_e32 v4, 0xf0f0f0f, v107
	v_pk_add_f32 v[2:3], v[2:3], v[18:19]
	v_pk_fma_f32 v[18:19], v[112:113], v[116:117], v[114:115]
	v_cvt_f32_f16_e32 v108, v164
	v_pk_add_f32 v[22:23], v[2:3], v[18:19]
	v_and_b32_e32 v2, 0xf0f0f0f, v106
	v_lshrrev_b32_e32 v3, 4, v106
	v_mov_b32_e32 v106, 0
	v_and_b32_e32 v3, 0xf0f0f0f, v3
	v_dot4c_i32_i8_e32 v106, v2, v6
	v_lshrrev_b32_e32 v2, 4, v107
	v_dot4c_i32_i8_e32 v106, v3, v10
	v_and_b32_e32 v18, 0xf0f0f0f, v2
	ds_read2_b32 v[2:3], v152 offset1:1
	v_dot4c_i32_i8_e32 v106, v4, v7
	v_dot4c_i32_i8_e32 v106, v18, v11
	ds_read2_b32 v[18:19], v153 offset1:1
	ds_read2_b32 v[20:21], v154 offset1:1
	v_cvt_f32_f16_e32 v109, v162
	s_waitcnt lgkmcnt(2)
	v_and_b32_e32 v4, 0xf0f0f0f, v2
	v_lshrrev_b32_e32 v2, 4, v2
	v_and_b32_e32 v2, 0xf0f0f0f, v2
	v_dot4c_i32_i8_e32 v106, v4, v8
	v_dot4c_i32_i8_e32 v106, v2, v12
	v_and_b32_e32 v2, 0xf0f0f0f, v3
	v_lshrrev_b32_e32 v3, 4, v3
	v_and_b32_e32 v3, 0xf0f0f0f, v3
	v_dot4c_i32_i8_e32 v106, v2, v9
	v_dot4c_i32_i8_e32 v106, v3, v13
	s_waitcnt lgkmcnt(1)
	v_and_b32_e32 v2, 0xf0f0f0f, v18
	v_lshrrev_b32_e32 v3, 4, v18
	v_mov_b32_e32 v18, 0
	v_and_b32_e32 v3, 0xf0f0f0f, v3
	v_dot4c_i32_i8_e32 v18, v2, v6
	v_dot4c_i32_i8_e32 v18, v3, v10
	v_and_b32_e32 v2, 0xf0f0f0f, v19
	v_lshrrev_b32_e32 v3, 4, v19
	v_and_b32_e32 v3, 0xf0f0f0f, v3
	v_dot4c_i32_i8_e32 v18, v2, v7
	v_dot4c_i32_i8_e32 v18, v3, v11
	s_waitcnt lgkmcnt(0)
	v_and_b32_e32 v2, 0xf0f0f0f, v20
	v_lshrrev_b32_e32 v3, 4, v20
	v_and_b32_e32 v3, 0xf0f0f0f, v3
	v_dot4c_i32_i8_e32 v18, v2, v8
	v_dot4c_i32_i8_e32 v18, v3, v12
	v_and_b32_e32 v2, 0xf0f0f0f, v21
	v_lshrrev_b32_e32 v3, 4, v21
	v_and_b32_e32 v3, 0xf0f0f0f, v3
	v_dot4c_i32_i8_e32 v18, v2, v9
	v_cvt_f32_f16_e32 v7, v161
	v_cvt_f32_f16_e32 v6, v159
	v_cvt_f32_f16_sdwa v9, v161 dst_sel:DWORD dst_unused:UNUSED_PAD src0_sel:WORD_1
	v_cvt_f32_f16_sdwa v8, v159 dst_sel:DWORD dst_unused:UNUSED_PAD src0_sel:WORD_1
	v_cvt_f32_i32_e32 v11, v160
	v_cvt_f32_i32_e32 v10, v158
	;; [unrolled: 1-line block ×3, first 2 shown]
	v_dot4c_i32_i8_e32 v18, v3, v13
	v_cvt_f32_f16_sdwa v3, v162 dst_sel:DWORD dst_unused:UNUSED_PAD src0_sel:WORD_1
	v_cvt_f32_f16_sdwa v2, v164 dst_sel:DWORD dst_unused:UNUSED_PAD src0_sel:WORD_1
	v_pk_mul_f16 v17, v5, v17
	v_pk_mul_f16 v19, v5, v105
	v_pk_fma_f32 v[4:5], v[6:7], v[10:11], v[8:9]
	v_cvt_f32_f16_e32 v7, v104
	v_cvt_f32_f16_e32 v6, v16
	v_cvt_f32_f16_sdwa v9, v104 dst_sel:DWORD dst_unused:UNUSED_PAD src0_sel:WORD_1
	v_cvt_f32_f16_sdwa v8, v16 dst_sel:DWORD dst_unused:UNUSED_PAD src0_sel:WORD_1
	v_cvt_f32_i32_e32 v11, v127
	v_cvt_f32_i32_e32 v10, v121
	v_pk_fma_f32 v[2:3], v[108:109], v[14:15], v[2:3]
	v_cvt_f32_f16_e32 v13, v19
	v_cvt_f32_f16_e32 v12, v17
	v_cvt_f32_f16_sdwa v15, v19 dst_sel:DWORD dst_unused:UNUSED_PAD src0_sel:WORD_1
	v_cvt_f32_f16_sdwa v14, v17 dst_sel:DWORD dst_unused:UNUSED_PAD src0_sel:WORD_1
	v_cvt_f32_i32_e32 v17, v18
	v_cvt_f32_i32_e32 v16, v106
	v_pk_add_f32 v[2:3], v[102:103], v[2:3]
	s_cmp_ge_i32 s6, s5
	v_pk_add_f32 v[2:3], v[2:3], v[4:5]
	v_pk_fma_f32 v[4:5], v[6:7], v[10:11], v[8:9]
	s_nop 0
	v_pk_add_f32 v[2:3], v[2:3], v[4:5]
	v_pk_fma_f32 v[4:5], v[12:13], v[16:17], v[14:15]
	s_barrier
	v_pk_add_f32 v[102:103], v[2:3], v[4:5]
	s_cbranch_scc1 .LBB180_5
; %bb.13:                               ;   in Loop: Header=BB180_6 Depth=1
	v_add_u32_e32 v2, s4, v47
	v_cmp_gt_i32_e64 s[2:3], s8, v2
	s_and_b64 s[22:23], s[0:1], s[2:3]
	s_and_saveexec_b64 s[2:3], s[22:23]
	s_cbranch_execz .LBB180_15
; %bb.14:                               ;   in Loop: Header=BB180_6 Depth=1
	v_add_u32_e32 v2, s4, v49
	v_mad_i64_i32 v[2:3], s[22:23], v2, 36, v[58:59]
	global_load_dword v2, v[2:3], off offset:4
	s_waitcnt vmcnt(0)
	ds_write_b32 v29, v2
.LBB180_15:                             ;   in Loop: Header=BB180_6 Depth=1
	s_or_b64 exec, exec, s[2:3]
	s_and_saveexec_b64 s[22:23], vcc
	s_cbranch_execz .LBB180_4
; %bb.16:                               ;   in Loop: Header=BB180_6 Depth=1
	v_add3_u32 v2, v24, s4, 4
	v_cmp_gt_i32_e64 s[2:3], s8, v2
	s_and_b64 s[2:3], s[0:1], s[2:3]
	s_and_b64 exec, exec, s[2:3]
	s_cbranch_execz .LBB180_4
; %bb.17:                               ;   in Loop: Header=BB180_6 Depth=1
	global_load_dword v2, v[60:61], off
	s_waitcnt vmcnt(0)
	ds_write_b32 v31, v2
	s_branch .LBB180_4
.LBB180_18:
	v_mov_b32_e32 v102, v103
	v_mov_b32_e32 v23, v103
	v_mov_b32_e32 v22, v103
.LBB180_19:
	s_mul_i32 s0, s10, s7
	s_waitcnt vmcnt(0)
	v_cmp_gt_i32_e32 vcc, s0, v1
	s_and_saveexec_b64 s[0:1], vcc
	s_cbranch_execz .LBB180_28
; %bb.20:
	v_and_b32_e32 v0, 0x3ff, v0
	v_add_u32_e32 v2, s11, v0
	v_mul_lo_u32 v0, v1, s9
	v_cmp_gt_u32_e32 vcc, s9, v2
	s_and_saveexec_b64 s[0:1], vcc
	s_cbranch_execz .LBB180_22
; %bb.21:
	v_add_u32_e32 v4, v0, v2
	v_mov_b32_e32 v5, 0
	v_lshl_add_u64 v[4:5], v[4:5], 2, s[16:17]
	global_store_dword v[4:5], v22, off
.LBB180_22:
	s_or_b64 exec, exec, s[0:1]
	v_add_u32_e32 v1, 32, v2
	v_cmp_gt_u32_e32 vcc, s9, v1
	s_and_saveexec_b64 s[0:1], vcc
	s_cbranch_execz .LBB180_24
; %bb.23:
	v_add_u32_e32 v4, v0, v1
	v_mov_b32_e32 v5, 0
	v_lshl_add_u64 v[4:5], v[4:5], 2, s[16:17]
	global_store_dword v[4:5], v23, off
.LBB180_24:
	s_or_b64 exec, exec, s[0:1]
	v_add_u32_e32 v1, 64, v2
	;; [unrolled: 11-line block ×3, first 2 shown]
	v_cmp_gt_u32_e32 vcc, s9, v1
	s_and_b64 exec, exec, vcc
	s_cbranch_execz .LBB180_28
; %bb.27:
	v_add_u32_e32 v0, v0, v1
	v_mov_b32_e32 v1, 0
	v_lshl_add_u64 v[0:1], v[0:1], 2, s[16:17]
	global_store_dword v[0:1], v103, off
.LBB180_28:
	s_endpgm
	.section	.rodata,"a",@progbits
	.p2align	6, 0x0
	.amdhsa_kernel _ZL8moe_q4_1IfLb1EEvPKvS1_PT_PKiS5_S5_iiiiiii
		.amdhsa_group_segment_fixed_size 22272
		.amdhsa_private_segment_fixed_size 0
		.amdhsa_kernarg_size 76
		.amdhsa_user_sgpr_count 2
		.amdhsa_user_sgpr_dispatch_ptr 0
		.amdhsa_user_sgpr_queue_ptr 0
		.amdhsa_user_sgpr_kernarg_segment_ptr 1
		.amdhsa_user_sgpr_dispatch_id 0
		.amdhsa_user_sgpr_kernarg_preload_length 0
		.amdhsa_user_sgpr_kernarg_preload_offset 0
		.amdhsa_user_sgpr_private_segment_size 0
		.amdhsa_uses_dynamic_stack 0
		.amdhsa_enable_private_segment 0
		.amdhsa_system_sgpr_workgroup_id_x 1
		.amdhsa_system_sgpr_workgroup_id_y 1
		.amdhsa_system_sgpr_workgroup_id_z 0
		.amdhsa_system_sgpr_workgroup_info 0
		.amdhsa_system_vgpr_workitem_id 1
		.amdhsa_next_free_vgpr 168
		.amdhsa_next_free_sgpr 25
		.amdhsa_accum_offset 168
		.amdhsa_reserve_vcc 1
		.amdhsa_float_round_mode_32 0
		.amdhsa_float_round_mode_16_64 0
		.amdhsa_float_denorm_mode_32 3
		.amdhsa_float_denorm_mode_16_64 3
		.amdhsa_dx10_clamp 1
		.amdhsa_ieee_mode 1
		.amdhsa_fp16_overflow 0
		.amdhsa_tg_split 0
		.amdhsa_exception_fp_ieee_invalid_op 0
		.amdhsa_exception_fp_denorm_src 0
		.amdhsa_exception_fp_ieee_div_zero 0
		.amdhsa_exception_fp_ieee_overflow 0
		.amdhsa_exception_fp_ieee_underflow 0
		.amdhsa_exception_fp_ieee_inexact 0
		.amdhsa_exception_int_div_zero 0
	.end_amdhsa_kernel
	.section	.text._ZL8moe_q4_1IfLb1EEvPKvS1_PT_PKiS5_S5_iiiiiii,"axG",@progbits,_ZL8moe_q4_1IfLb1EEvPKvS1_PT_PKiS5_S5_iiiiiii,comdat
.Lfunc_end180:
	.size	_ZL8moe_q4_1IfLb1EEvPKvS1_PT_PKiS5_S5_iiiiiii, .Lfunc_end180-_ZL8moe_q4_1IfLb1EEvPKvS1_PT_PKiS5_S5_iiiiiii
                                        ; -- End function
	.section	.AMDGPU.csdata,"",@progbits
; Kernel info:
; codeLenInByte = 9396
; NumSgprs: 31
; NumVgprs: 168
; NumAgprs: 0
; TotalNumVgprs: 168
; ScratchSize: 0
; MemoryBound: 0
; FloatMode: 240
; IeeeMode: 1
; LDSByteSize: 22272 bytes/workgroup (compile time only)
; SGPRBlocks: 3
; VGPRBlocks: 20
; NumSGPRsForWavesPerEU: 31
; NumVGPRsForWavesPerEU: 168
; AccumOffset: 168
; Occupancy: 2
; WaveLimiterHint : 1
; COMPUTE_PGM_RSRC2:SCRATCH_EN: 0
; COMPUTE_PGM_RSRC2:USER_SGPR: 2
; COMPUTE_PGM_RSRC2:TRAP_HANDLER: 0
; COMPUTE_PGM_RSRC2:TGID_X_EN: 1
; COMPUTE_PGM_RSRC2:TGID_Y_EN: 1
; COMPUTE_PGM_RSRC2:TGID_Z_EN: 0
; COMPUTE_PGM_RSRC2:TIDIG_COMP_CNT: 1
; COMPUTE_PGM_RSRC3_GFX90A:ACCUM_OFFSET: 41
; COMPUTE_PGM_RSRC3_GFX90A:TG_SPLIT: 0
	.section	.text._ZL8moe_q5_0IfLb0EEvPKvS1_PT_PKiS5_S5_iiiiiii,"axG",@progbits,_ZL8moe_q5_0IfLb0EEvPKvS1_PT_PKiS5_S5_iiiiiii,comdat
	.globl	_ZL8moe_q5_0IfLb0EEvPKvS1_PT_PKiS5_S5_iiiiiii ; -- Begin function _ZL8moe_q5_0IfLb0EEvPKvS1_PT_PKiS5_S5_iiiiiii
	.p2align	8
	.type	_ZL8moe_q5_0IfLb0EEvPKvS1_PT_PKiS5_S5_iiiiiii,@function
_ZL8moe_q5_0IfLb0EEvPKvS1_PT_PKiS5_S5_iiiiiii: ; @_ZL8moe_q5_0IfLb0EEvPKvS1_PT_PKiS5_S5_iiiiiii
; %bb.0:
	s_load_dwordx4 s[4:7], s[0:1], 0x18
	s_mov_b32 s8, s3
	s_mov_b32 s9, 0
	s_lshl_b64 s[10:11], s[8:9], 2
	s_waitcnt lgkmcnt(0)
	s_add_u32 s6, s6, s10
	s_addc_u32 s7, s7, s11
	s_load_dword s3, s[6:7], 0x0
	s_waitcnt lgkmcnt(0)
	s_cmpk_gt_u32 s3, 0xff
	s_cbranch_scc1 .LBB181_28
; %bb.1:
	s_load_dwordx2 s[6:7], s[0:1], 0x28
	s_waitcnt lgkmcnt(0)
	s_load_dword s7, s[6:7], 0x0
	s_lshl_b32 s6, s8, 3
	s_waitcnt lgkmcnt(0)
	s_cmp_gt_u32 s6, s7
	s_cbranch_scc1 .LBB181_28
; %bb.2:
	v_bfe_u32 v2, v0, 10, 10
	v_mov_b32_e32 v4, s4
	v_mov_b32_e32 v5, s5
	v_add_u32_e32 v100, s6, v2
	v_mov_b32_e32 v101, 0
	v_lshl_add_u64 v[4:5], v[100:101], 2, v[4:5]
	global_load_dword v1, v[4:5], off
	s_load_dwordx2 s[14:15], s[0:1], 0x30
	s_load_dwordx2 s[12:13], s[0:1], 0x10
	s_load_dwordx4 s[4:7], s[0:1], 0x3c
	s_lshl_b32 s22, s2, 7
	s_waitcnt lgkmcnt(0)
	s_cmp_lt_i32 s15, 32
	s_cbranch_scc1 .LBB181_18
; %bb.3:
	s_load_dwordx4 s[8:11], s[0:1], 0x0
	s_ashr_i32 s0, s15, 31
	s_ashr_i32 s1, s5, 31
	s_lshr_b32 s0, s0, 27
	s_lshr_b32 s1, s1, 27
	s_add_i32 s0, s15, s0
	s_add_i32 s1, s5, s1
	v_and_b32_e32 v22, 0x3ff, v0
	s_ashr_i32 s23, s0, 5
	s_ashr_i32 s5, s1, 5
	v_lshlrev_b32_e32 v4, 3, v22
	s_movk_i32 s1, 0x104
	v_mul_lo_u32 v9, s23, v2
	v_mad_u32_u24 v108, v2, s1, v4
	s_lshl_b32 s1, s23, 3
	v_add_u32_e32 v10, s1, v9
	v_add_u32_e32 v11, s1, v10
	;; [unrolled: 1-line block ×13, first 2 shown]
	v_lshlrev_b32_e32 v6, 2, v2
	v_lshrrev_b32_e32 v124, 3, v22
	v_add_u32_e32 v86, s1, v82
	v_and_b32_e32 v100, 7, v22
	v_add_u32_e32 v4, v124, v6
	v_add_u32_e32 v90, s1, v86
	v_and_b32_e32 v5, 0x1ffc, v4
	v_lshlrev_b32_e32 v7, 2, v100
	s_mov_b32 s1, 0x8200
	v_add3_u32 v101, v5, v7, s1
	v_add_u32_e32 v5, 32, v4
	v_mul_lo_u32 v94, s23, v4
	v_lshlrev_b32_e32 v104, 5, v4
	v_and_b32_e32 v23, 0x3ffc, v5
	v_lshlrev_b32_e32 v106, 5, v5
	v_add_u32_e32 v5, 64, v4
	v_add_u32_e32 v4, 0x60, v4
	v_lshlrev_b32_e32 v3, 2, v22
	v_mov_b32_e32 v25, 0
	v_add3_u32 v105, v23, v7, s1
	v_and_b32_e32 v23, 0x3ffc, v5
	v_lshlrev_b32_e32 v139, 5, v5
	v_and_b32_e32 v5, 0x3ffc, v4
	v_add3_u32 v140, v5, v7, s1
	v_lshlrev_b32_e32 v141, 5, v4
	v_and_b32_e32 v4, 28, v3
	v_mov_b32_e32 v5, v25
	v_and_b32_e32 v24, 12, v3
	v_add3_u32 v107, v23, v7, s1
	v_and_b32_e32 v7, 31, v22
	s_waitcnt lgkmcnt(0)
	v_lshl_add_u64 v[26:27], s[10:11], 0, v[4:5]
	v_lshlrev_b32_e32 v3, 7, v2
	v_mov_b32_e32 v5, 0x9680
	v_lshl_or_b32 v4, v7, 2, v3
	v_add_u32_e32 v127, 0x9280, v3
	v_lshl_add_u32 v128, v2, 4, v5
	v_and_b32_e32 v2, 0xfc, v22
	v_lshlrev_b32_e32 v3, 5, v22
	v_add_u32_e32 v125, 0x9280, v4
	v_or_b32_e32 v4, v6, v22
	v_add3_u32 v130, v3, v2, s1
	v_add_u32_e32 v2, 32, v22
	v_lshl_add_u32 v126, v4, 2, v5
	v_and_b32_e32 v3, 0x1fc, v2
	v_lshlrev_b32_e32 v4, 5, v2
	v_add3_u32 v131, v4, v3, s1
	v_add_u32_e32 v3, 64, v22
	s_mul_i32 s16, s3, s14
	v_and_b32_e32 v4, 0x1fc, v3
	v_lshlrev_b32_e32 v3, 5, v3
	s_abs_i32 s3, s7
	v_add3_u32 v132, v3, v4, s1
	v_cvt_f32_u32_e32 v4, s3
	v_add_u32_e32 v3, 0x60, v22
	v_and_b32_e32 v5, 0x1fc, v3
	v_lshlrev_b32_e32 v3, 5, v3
	v_add3_u32 v133, v3, v5, s1
	v_rcp_iflag_f32_e32 v3, v4
	s_andn2_b32 s0, s0, 31
	v_add_u32_e32 v96, s0, v94
	v_add_u32_e32 v98, s0, v96
	v_mul_f32_e32 v3, 0x4f7ffffe, v3
	v_cvt_u32_f32_e32 v3, v3
	v_add_u32_e32 v102, s0, v98
	s_sub_i32 s0, 0, s3
	s_waitcnt vmcnt(0)
	v_sub_u32_e32 v4, 0, v1
	v_mul_lo_u32 v5, s0, v3
	v_mul_hi_u32 v5, v3, v5
	v_max_i32_e32 v4, v1, v4
	v_add_u32_e32 v3, v3, v5
	v_mul_hi_u32 v3, v4, v3
	v_mul_lo_u32 v5, v3, s3
	v_sub_u32_e32 v4, v4, v5
	v_add_u32_e32 v5, 1, v3
	v_cmp_le_u32_e64 s[0:1], s3, v4
	v_lshrrev_b32_e32 v134, 3, v2
	v_xor_b32_e32 v2, s7, v1
	v_cndmask_b32_e64 v3, v3, v5, s[0:1]
	v_subrev_u32_e32 v5, s3, v4
	v_cndmask_b32_e64 v4, v4, v5, s[0:1]
	v_add_u32_e32 v5, 1, v3
	v_cmp_le_u32_e64 s[0:1], s3, v4
	v_ashrrev_i32_e32 v2, 31, v2
	v_mov_b32_e32 v23, v25
	v_cndmask_b32_e64 v3, v3, v5, s[0:1]
	v_xor_b32_e32 v3, v3, v2
	v_sub_u32_e32 v2, v3, v2
	v_cmp_gt_i32_e64 s[0:1], s4, v2
	v_mul_lo_u32 v2, v2, s5
	v_ashrrev_i32_e32 v3, 31, v2
	v_lshl_add_u64 v[4:5], v[2:3], 0, v[22:23]
	v_mad_u64_u32 v[6:7], s[18:19], v4, 36, s[10:11]
	s_mul_i32 s2, s23, s22
	v_mad_i32_i24 v7, v5, 36, v7
	s_mov_b64 s[18:19], 0x90
	v_lshl_add_u64 v[28:29], v[6:7], 0, s[18:19]
	s_mul_hi_i32 s3, s2, 22
	s_mul_i32 s18, s2, 22
	v_lshrrev_b32_e32 v8, 2, v22
	v_add_u32_e32 v23, v22, v2
	v_add_u32_e32 v135, v134, v2
	;; [unrolled: 1-line block ×3, first 2 shown]
	v_mov_b32_e32 v2, s18
	v_mov_b32_e32 v3, s3
	v_mad_u64_u32 v[2:3], s[18:19], v8, 22, v[2:3]
	v_mad_u64_u32 v[4:5], s[18:19], v9, 22, v[2:3]
	v_lshl_add_u64 v[6:7], v[4:5], 0, v[24:25]
	v_lshl_add_u64 v[32:33], s[8:9], 0, v[4:5]
	v_mad_u64_u32 v[4:5], s[18:19], v10, 22, v[2:3]
	v_lshl_add_u64 v[4:5], v[4:5], 0, s[8:9]
	v_lshl_add_u64 v[34:35], v[4:5], 0, v[24:25]
	v_lshl_add_u64 v[36:37], v[4:5], 0, 2
	v_mad_u64_u32 v[4:5], s[18:19], v11, 22, v[2:3]
	v_lshl_add_u64 v[4:5], v[4:5], 0, s[8:9]
	v_lshl_add_u64 v[38:39], v[4:5], 0, v[24:25]
	v_lshl_add_u64 v[40:41], v[4:5], 0, 2
	v_mad_u64_u32 v[4:5], s[18:19], v12, 22, v[2:3]
	v_lshl_add_u64 v[4:5], v[4:5], 0, s[8:9]
	v_lshl_add_u64 v[42:43], v[4:5], 0, v[24:25]
	v_lshl_add_u64 v[44:45], v[4:5], 0, 2
	v_mad_u64_u32 v[4:5], s[18:19], v13, 22, v[2:3]
	v_lshl_add_u64 v[4:5], v[4:5], 0, s[8:9]
	v_lshl_add_u64 v[46:47], v[4:5], 0, v[24:25]
	v_lshl_add_u64 v[48:49], v[4:5], 0, 2
	v_mad_u64_u32 v[4:5], s[18:19], v14, 22, v[2:3]
	v_lshl_add_u64 v[4:5], v[4:5], 0, s[8:9]
	v_lshl_add_u64 v[50:51], v[4:5], 0, v[24:25]
	v_lshl_add_u64 v[52:53], v[4:5], 0, 2
	v_mad_u64_u32 v[4:5], s[18:19], v15, 22, v[2:3]
	v_lshl_add_u64 v[4:5], v[4:5], 0, s[8:9]
	v_lshl_add_u64 v[54:55], v[4:5], 0, v[24:25]
	v_lshl_add_u64 v[56:57], v[4:5], 0, 2
	v_mad_u64_u32 v[4:5], s[18:19], v16, 22, v[2:3]
	v_lshl_add_u64 v[4:5], v[4:5], 0, s[8:9]
	v_lshl_add_u64 v[58:59], v[4:5], 0, v[24:25]
	v_lshl_add_u64 v[60:61], v[4:5], 0, 2
	v_mad_u64_u32 v[4:5], s[18:19], v17, 22, v[2:3]
	v_lshl_add_u64 v[4:5], v[4:5], 0, s[8:9]
	v_lshl_add_u64 v[62:63], v[4:5], 0, v[24:25]
	v_lshl_add_u64 v[64:65], v[4:5], 0, 2
	v_mad_u64_u32 v[4:5], s[18:19], v18, 22, v[2:3]
	v_lshl_add_u64 v[4:5], v[4:5], 0, s[8:9]
	v_lshl_add_u64 v[66:67], v[4:5], 0, v[24:25]
	v_lshl_add_u64 v[68:69], v[4:5], 0, 2
	v_mad_u64_u32 v[4:5], s[18:19], v19, 22, v[2:3]
	v_lshl_add_u64 v[4:5], v[4:5], 0, s[8:9]
	v_lshl_add_u64 v[70:71], v[4:5], 0, v[24:25]
	v_lshl_add_u64 v[72:73], v[4:5], 0, 2
	v_mad_u64_u32 v[4:5], s[18:19], v20, 22, v[2:3]
	v_lshl_add_u64 v[4:5], v[4:5], 0, s[8:9]
	v_lshl_add_u64 v[74:75], v[4:5], 0, v[24:25]
	v_lshl_add_u64 v[76:77], v[4:5], 0, 2
	v_mad_u64_u32 v[4:5], s[18:19], v21, 22, v[2:3]
	v_lshl_add_u64 v[4:5], v[4:5], 0, s[8:9]
	v_lshl_add_u64 v[78:79], v[4:5], 0, v[24:25]
	v_lshl_add_u64 v[80:81], v[4:5], 0, 2
	v_mad_u64_u32 v[4:5], s[18:19], v82, 22, v[2:3]
	v_lshl_add_u64 v[4:5], v[4:5], 0, s[8:9]
	v_lshl_add_u64 v[82:83], v[4:5], 0, v[24:25]
	v_lshl_add_u64 v[84:85], v[4:5], 0, 2
	v_mad_u64_u32 v[4:5], s[18:19], v86, 22, v[2:3]
	v_mad_u64_u32 v[2:3], s[18:19], v90, 22, v[2:3]
	v_lshl_add_u64 v[2:3], v[2:3], 0, s[8:9]
	v_lshl_add_u64 v[90:91], v[2:3], 0, v[24:25]
	;; [unrolled: 1-line block ×3, first 2 shown]
	v_mad_u64_u32 v[2:3], s[18:19], v94, 22, 0
	v_mad_i64_i32 v[2:3], s[18:19], s2, 22, v[2:3]
	v_mad_u64_u32 v[2:3], s[18:19], v100, 22, v[2:3]
	v_lshl_add_u64 v[94:95], s[8:9], 0, v[2:3]
	v_mad_u64_u32 v[2:3], s[18:19], v96, 22, 0
	v_mad_i64_i32 v[2:3], s[18:19], s2, 22, v[2:3]
	v_mad_u64_u32 v[2:3], s[18:19], v100, 22, v[2:3]
	v_lshl_add_u64 v[96:97], s[8:9], 0, v[2:3]
	;; [unrolled: 4-line block ×3, first 2 shown]
	v_mad_u64_u32 v[2:3], s[18:19], v102, 22, 0
	v_mad_i64_i32 v[2:3], s[2:3], s2, 22, v[2:3]
	v_lshl_add_u64 v[4:5], v[4:5], 0, s[8:9]
	v_mad_u64_u32 v[2:3], s[2:3], v100, 22, v[2:3]
	s_ashr_i32 s17, s16, 31
	s_mov_b32 s14, 0
	v_add_u32_e32 v109, 0x820, v108
	v_add_u32_e32 v110, 0x1040, v108
	;; [unrolled: 1-line block ×15, first 2 shown]
	v_cmp_gt_u32_e32 vcc, 4, v22
	v_mul_u32_u24_e32 v129, 0x104, v22
	v_lshl_add_u64 v[30:31], s[8:9], 0, v[6:7]
	v_lshl_add_u64 v[86:87], v[4:5], 0, v[24:25]
	;; [unrolled: 1-line block ×4, first 2 shown]
	s_movk_i32 s24, 0x80
	s_movk_i32 s25, 0x1f00
	;; [unrolled: 1-line block ×4, first 2 shown]
	v_add_u32_e32 v137, v101, v104
	v_add_u32_e32 v138, v105, v106
	;; [unrolled: 1-line block ×4, first 2 shown]
	s_mov_b64 s[8:9], 0x120
	s_mov_b64 s[18:19], 0xb0
	v_mov_b32_e32 v141, 8
	v_mov_b32_e32 v104, v25
	;; [unrolled: 1-line block ×5, first 2 shown]
	s_branch .LBB181_6
.LBB181_4:                              ;   in Loop: Header=BB181_6 Depth=1
	s_or_b64 exec, exec, s[20:21]
	s_waitcnt lgkmcnt(0)
	s_barrier
	ds_read_b128 v[2:5], v128
	ds_read2_b32 v[106:107], v129 offset0:32 offset1:33
	ds_read_b128 v[14:17], v127
	ds_read_b128 v[18:21], v127 offset:16
	ds_read_b128 v[6:9], v127 offset:32
	;; [unrolled: 1-line block ×3, first 2 shown]
	ds_read2_b32 v[142:143], v129 offset0:34 offset1:35
	v_mov_b32_e32 v25, 0
	s_waitcnt lgkmcnt(4)
	v_dot4c_i32_i8_e32 v25, v106, v14
	s_waitcnt lgkmcnt(3)
	v_dot4c_i32_i8_e32 v25, v107, v18
	ds_read2_b32 v[106:107], v129 offset0:36 offset1:37
	ds_read2_b32 v[144:145], v129 offset0:38 offset1:39
	;; [unrolled: 1-line block ×3, first 2 shown]
	s_waitcnt lgkmcnt(3)
	v_dot4c_i32_i8_e32 v25, v142, v15
	v_dot4c_i32_i8_e32 v25, v143, v19
	s_waitcnt lgkmcnt(2)
	v_dot4c_i32_i8_e32 v25, v106, v16
	v_add_u32_e32 v106, 0x2100, v129
	ds_read2_b32 v[142:143], v106 offset1:1
	v_mov_b32_e32 v156, 0
	v_dot4c_i32_i8_e32 v25, v107, v20
	ds_read2_b32 v[106:107], v133 offset0:6 offset1:7
	s_waitcnt lgkmcnt(3)
	v_dot4c_i32_i8_e32 v25, v144, v17
	s_waitcnt lgkmcnt(1)
	v_dot4c_i32_i8_e32 v156, v142, v14
	v_add_u32_e32 v142, 0x2108, v129
	v_dot4c_i32_i8_e32 v156, v143, v18
	ds_read2_b32 v[142:143], v142 offset1:1
	v_add_u32_e32 v144, 0x2110, v129
	v_add_u32_e32 v148, 0x2118, v129
	v_add_u32_e32 v150, 0x4180, v129
	v_dot4c_i32_i8_e32 v25, v145, v21
	ds_read2_b32 v[144:145], v144 offset1:1
	ds_read2_b32 v[148:149], v148 offset1:1
	;; [unrolled: 1-line block ×3, first 2 shown]
	s_waitcnt lgkmcnt(3)
	v_dot4c_i32_i8_e32 v156, v142, v15
	v_dot4c_i32_i8_e32 v156, v143, v19
	s_waitcnt lgkmcnt(2)
	v_dot4c_i32_i8_e32 v156, v144, v16
	v_dot4c_i32_i8_e32 v156, v145, v20
	v_mov_b32_e32 v157, 0
	s_waitcnt lgkmcnt(1)
	v_dot4c_i32_i8_e32 v156, v148, v17
	s_waitcnt lgkmcnt(0)
	v_dot4c_i32_i8_e32 v157, v150, v14
	v_add_u32_e32 v142, 0x4188, v129
	v_add_u32_e32 v144, 0x4190, v129
	;; [unrolled: 1-line block ×4, first 2 shown]
	v_dot4c_i32_i8_e32 v156, v149, v21
	v_dot4c_i32_i8_e32 v157, v151, v18
	ds_read2_b32 v[142:143], v142 offset1:1
	ds_read2_b32 v[144:145], v144 offset1:1
	;; [unrolled: 1-line block ×4, first 2 shown]
	v_mov_b32_e32 v158, 0
	v_mov_b32_e32 v159, 0
	v_dot4c_i32_i8_e32 v159, v146, v6
	s_waitcnt lgkmcnt(3)
	v_dot4c_i32_i8_e32 v157, v142, v15
	s_waitcnt lgkmcnt(0)
	v_dot4c_i32_i8_e32 v158, v150, v14
	v_add_u32_e32 v14, 0x6208, v129
	v_dot4c_i32_i8_e32 v157, v143, v19
	ds_read2_b32 v[142:143], v14 offset1:1
	v_dot4c_i32_i8_e32 v157, v144, v16
	v_dot4c_i32_i8_e32 v157, v145, v20
	;; [unrolled: 1-line block ×4, first 2 shown]
	v_add_u32_e32 v18, 0x6210, v129
	v_add_u32_e32 v148, 0x6218, v129
	v_dot4c_i32_i8_e32 v157, v149, v21
	v_add_u32_e32 v14, 0x2120, v129
	ds_read2_b32 v[144:145], v18 offset1:1
	ds_read2_b32 v[148:149], v148 offset1:1
	;; [unrolled: 1-line block ×3, first 2 shown]
	s_waitcnt lgkmcnt(3)
	v_dot4c_i32_i8_e32 v158, v142, v15
	v_dot4c_i32_i8_e32 v158, v143, v19
	ds_read2_b32 v[14:15], v129 offset0:42 offset1:43
	s_waitcnt lgkmcnt(3)
	v_dot4c_i32_i8_e32 v158, v144, v16
	v_dot4c_i32_i8_e32 v158, v145, v20
	s_waitcnt lgkmcnt(2)
	v_dot4c_i32_i8_e32 v158, v148, v17
	v_dot4c_i32_i8_e32 v158, v149, v21
	;; [unrolled: 1-line block ×3, first 2 shown]
	ds_read2_b32 v[16:17], v129 offset0:44 offset1:45
	ds_read2_b32 v[18:19], v129 offset0:46 offset1:47
	;; [unrolled: 1-line block ×3, first 2 shown]
	s_waitcnt lgkmcnt(3)
	v_dot4c_i32_i8_e32 v159, v14, v7
	v_add_u32_e32 v14, 0x2128, v129
	v_dot4c_i32_i8_e32 v159, v15, v11
	ds_read2_b32 v[14:15], v14 offset1:1
	s_waitcnt lgkmcnt(3)
	v_dot4c_i32_i8_e32 v159, v16, v8
	v_dot4c_i32_i8_e32 v159, v17, v12
	v_mov_b32_e32 v160, 0
	s_waitcnt lgkmcnt(2)
	v_dot4c_i32_i8_e32 v159, v18, v9
	v_dot4c_i32_i8_e32 v160, v150, v6
	v_add_u32_e32 v16, 0x2130, v129
	v_add_u32_e32 v18, 0x2138, v129
	;; [unrolled: 1-line block ×3, first 2 shown]
	v_dot4c_i32_i8_e32 v159, v19, v13
	v_dot4c_i32_i8_e32 v160, v151, v10
	ds_read2_b32 v[16:17], v16 offset1:1
	ds_read2_b32 v[18:19], v18 offset1:1
	;; [unrolled: 1-line block ×3, first 2 shown]
	s_waitcnt lgkmcnt(3)
	v_dot4c_i32_i8_e32 v160, v14, v7
	v_dot4c_i32_i8_e32 v160, v15, v11
	s_waitcnt lgkmcnt(2)
	v_dot4c_i32_i8_e32 v160, v16, v8
	v_dot4c_i32_i8_e32 v160, v17, v12
	v_mov_b32_e32 v161, 0
	s_waitcnt lgkmcnt(1)
	v_dot4c_i32_i8_e32 v160, v18, v9
	s_waitcnt lgkmcnt(0)
	v_dot4c_i32_i8_e32 v161, v142, v6
	v_add_u32_e32 v14, 0x41a8, v129
	v_add_u32_e32 v16, 0x41b0, v129
	;; [unrolled: 1-line block ×4, first 2 shown]
	v_dot4c_i32_i8_e32 v160, v19, v13
	v_dot4c_i32_i8_e32 v161, v143, v10
	ds_read2_b32 v[14:15], v14 offset1:1
	ds_read2_b32 v[16:17], v16 offset1:1
	;; [unrolled: 1-line block ×4, first 2 shown]
	v_mov_b32_e32 v162, 0
	v_mov_b32_e32 v163, 0
	;; [unrolled: 1-line block ×3, first 2 shown]
	s_waitcnt lgkmcnt(3)
	v_dot4c_i32_i8_e32 v161, v14, v7
	s_waitcnt lgkmcnt(0)
	v_dot4c_i32_i8_e32 v162, v142, v6
	v_add_u32_e32 v6, 0x6228, v129
	v_dot4c_i32_i8_e32 v161, v15, v11
	ds_read2_b32 v[14:15], v6 offset1:1
	v_dot4c_i32_i8_e32 v161, v16, v8
	v_dot4c_i32_i8_e32 v161, v17, v12
	;; [unrolled: 1-line block ×4, first 2 shown]
	v_add_u32_e32 v10, 0x6230, v129
	v_add_u32_e32 v18, 0x6238, v129
	v_dot4c_i32_i8_e32 v161, v19, v13
	v_add_u32_e32 v6, 0x2140, v129
	ds_read2_b32 v[16:17], v10 offset1:1
	ds_read2_b32 v[18:19], v18 offset1:1
	;; [unrolled: 1-line block ×3, first 2 shown]
	s_waitcnt lgkmcnt(3)
	v_dot4c_i32_i8_e32 v162, v14, v7
	v_dot4c_i32_i8_e32 v162, v15, v11
	s_waitcnt lgkmcnt(2)
	v_dot4c_i32_i8_e32 v162, v16, v8
	v_dot4c_i32_i8_e32 v162, v17, v12
	;; [unrolled: 3-line block ×3, first 2 shown]
	ds_read_b128 v[8:11], v127 offset:64
	ds_read_b128 v[12:15], v127 offset:80
	ds_read2_b32 v[6:7], v132 offset0:4 offset1:5
	ds_read2_b32 v[144:145], v131 offset0:6 offset1:7
	;; [unrolled: 1-line block ×5, first 2 shown]
	s_waitcnt lgkmcnt(6)
	v_dot4c_i32_i8_e32 v163, v20, v8
	s_waitcnt lgkmcnt(5)
	v_dot4c_i32_i8_e32 v163, v21, v12
	ds_read2_b32 v[18:19], v129 offset0:52 offset1:53
	ds_read2_b32 v[20:21], v129 offset0:54 offset1:55
	;; [unrolled: 1-line block ×3, first 2 shown]
	v_dot4c_i32_i8_e32 v164, v142, v8
	s_waitcnt lgkmcnt(3)
	v_dot4c_i32_i8_e32 v163, v16, v9
	v_add_u32_e32 v16, 0x2148, v129
	v_dot4c_i32_i8_e32 v163, v17, v13
	ds_read2_b32 v[16:17], v16 offset1:1
	s_waitcnt lgkmcnt(3)
	v_dot4c_i32_i8_e32 v163, v18, v10
	v_dot4c_i32_i8_e32 v163, v19, v14
	s_waitcnt lgkmcnt(2)
	v_dot4c_i32_i8_e32 v163, v20, v11
	v_add_u32_e32 v18, 0x2150, v129
	v_add_u32_e32 v20, 0x2158, v129
	;; [unrolled: 1-line block ×3, first 2 shown]
	v_dot4c_i32_i8_e32 v163, v21, v15
	v_dot4c_i32_i8_e32 v164, v143, v12
	ds_read2_b32 v[18:19], v18 offset1:1
	ds_read2_b32 v[20:21], v20 offset1:1
	;; [unrolled: 1-line block ×3, first 2 shown]
	s_waitcnt lgkmcnt(3)
	v_dot4c_i32_i8_e32 v164, v16, v9
	v_dot4c_i32_i8_e32 v164, v17, v13
	s_waitcnt lgkmcnt(2)
	v_dot4c_i32_i8_e32 v164, v18, v10
	v_dot4c_i32_i8_e32 v164, v19, v14
	v_mov_b32_e32 v165, 0
	s_waitcnt lgkmcnt(1)
	v_dot4c_i32_i8_e32 v164, v20, v11
	s_waitcnt lgkmcnt(0)
	v_dot4c_i32_i8_e32 v165, v142, v8
	v_add_u32_e32 v16, 0x41c8, v129
	v_add_u32_e32 v18, 0x41d0, v129
	;; [unrolled: 1-line block ×4, first 2 shown]
	v_dot4c_i32_i8_e32 v164, v21, v15
	ds_read2_b32 v[20:21], v133 offset0:4 offset1:5
	ds_read2_b32 v[152:153], v132 offset0:6 offset1:7
	v_dot4c_i32_i8_e32 v165, v143, v12
	ds_read2_b32 v[16:17], v16 offset1:1
	ds_read2_b32 v[18:19], v18 offset1:1
	;; [unrolled: 1-line block ×4, first 2 shown]
	v_mov_b32_e32 v166, 0
	v_mov_b32_e32 v167, 0
	;; [unrolled: 1-line block ×3, first 2 shown]
	s_waitcnt lgkmcnt(3)
	v_dot4c_i32_i8_e32 v165, v16, v9
	s_waitcnt lgkmcnt(0)
	v_dot4c_i32_i8_e32 v166, v154, v8
	v_add_u32_e32 v8, 0x6248, v129
	v_dot4c_i32_i8_e32 v165, v17, v13
	ds_read2_b32 v[16:17], v8 offset1:1
	v_dot4c_i32_i8_e32 v165, v18, v10
	v_dot4c_i32_i8_e32 v165, v19, v14
	;; [unrolled: 1-line block ×4, first 2 shown]
	v_add_u32_e32 v12, 0x6250, v129
	v_add_u32_e32 v142, 0x6258, v129
	v_dot4c_i32_i8_e32 v165, v143, v15
	v_add_u32_e32 v8, 0x2160, v129
	ds_read2_b32 v[18:19], v12 offset1:1
	ds_read2_b32 v[142:143], v142 offset1:1
	;; [unrolled: 1-line block ×3, first 2 shown]
	s_waitcnt lgkmcnt(3)
	v_dot4c_i32_i8_e32 v166, v16, v9
	v_dot4c_i32_i8_e32 v166, v17, v13
	s_waitcnt lgkmcnt(2)
	v_dot4c_i32_i8_e32 v166, v18, v10
	v_dot4c_i32_i8_e32 v166, v19, v14
	ds_read_b128 v[16:19], v127 offset:96
	s_waitcnt lgkmcnt(2)
	v_dot4c_i32_i8_e32 v166, v142, v11
	ds_read_b128 v[8:11], v127 offset:112
	ds_read2_b32 v[12:13], v129 offset0:58 offset1:59
	v_dot4c_i32_i8_e32 v166, v143, v15
	s_waitcnt lgkmcnt(2)
	v_dot4c_i32_i8_e32 v167, v150, v16
	v_dot4c_i32_i8_e32 v168, v154, v16
	s_waitcnt lgkmcnt(1)
	v_dot4c_i32_i8_e32 v167, v151, v8
	ds_read2_b32 v[14:15], v129 offset0:60 offset1:61
	ds_read2_b32 v[142:143], v130 offset0:4 offset1:5
	;; [unrolled: 1-line block ×3, first 2 shown]
	s_waitcnt lgkmcnt(3)
	v_dot4c_i32_i8_e32 v167, v12, v17
	v_add_u32_e32 v12, 0x2168, v129
	v_dot4c_i32_i8_e32 v167, v13, v9
	ds_read2_b32 v[12:13], v12 offset1:1
	s_waitcnt lgkmcnt(3)
	v_dot4c_i32_i8_e32 v167, v14, v18
	v_dot4c_i32_i8_e32 v167, v15, v10
	s_waitcnt lgkmcnt(1)
	v_dot4c_i32_i8_e32 v167, v150, v19
	v_add_u32_e32 v14, 0x2170, v129
	v_add_u32_e32 v150, 0x2178, v129
	;; [unrolled: 1-line block ×3, first 2 shown]
	v_dot4c_i32_i8_e32 v167, v151, v11
	v_dot4c_i32_i8_e32 v168, v155, v8
	ds_read2_b32 v[14:15], v14 offset1:1
	ds_read2_b32 v[150:151], v150 offset1:1
	;; [unrolled: 1-line block ×3, first 2 shown]
	s_waitcnt lgkmcnt(3)
	v_dot4c_i32_i8_e32 v168, v12, v17
	v_dot4c_i32_i8_e32 v168, v13, v9
	s_waitcnt lgkmcnt(2)
	v_dot4c_i32_i8_e32 v168, v14, v18
	v_dot4c_i32_i8_e32 v168, v15, v10
	s_waitcnt lgkmcnt(1)
	v_dot4c_i32_i8_e32 v168, v150, v19
	v_cvt_f32_i32_e32 v15, v156
	v_cvt_f32_i32_e32 v14, v25
	v_dot4c_i32_i8_e32 v168, v151, v11
	v_cvt_f32_i32_e32 v151, v160
	v_cvt_f32_i32_e32 v150, v159
	v_mov_b32_e32 v12, v142
	v_mov_b32_e32 v13, v146
	v_pk_mul_f32 v[12:13], v[2:3], v[12:13] op_sel_hi:[0,1]
	v_mov_b32_e32 v146, v143
	v_pk_fma_f32 v[12:13], v[12:13], v[14:15], v[104:105]
	v_pk_mul_f32 v[14:15], v[2:3], v[146:147] op_sel:[1,0]
	v_mov_b32_e32 v104, v148
	v_pk_fma_f32 v[12:13], v[14:15], v[150:151], v[12:13]
	v_cvt_f32_i32_e32 v15, v164
	v_cvt_f32_i32_e32 v14, v163
	v_mov_b32_e32 v105, v144
	v_pk_mul_f32 v[104:105], v[4:5], v[104:105] op_sel_hi:[0,1]
	v_mov_b32_e32 v142, v5
	v_pk_fma_f32 v[12:13], v[104:105], v[14:15], v[12:13]
	v_cvt_f32_i32_e32 v15, v168
	v_cvt_f32_i32_e32 v14, v167
	v_mov_b32_e32 v144, v149
	v_pk_mul_f32 v[104:105], v[142:143], v[144:145] op_sel_hi:[0,1]
	v_add_u32_e32 v5, 0x41e8, v129
	v_pk_fma_f32 v[104:105], v[104:105], v[14:15], v[12:13]
	ds_read2_b32 v[12:13], v5 offset1:1
	v_mov_b32_e32 v25, 0
	s_waitcnt lgkmcnt(1)
	v_dot4c_i32_i8_e32 v25, v154, v16
	v_add_u32_e32 v14, 0x41f0, v129
	v_dot4c_i32_i8_e32 v25, v155, v8
	v_add_u32_e32 v143, 0x41f8, v129
	v_add_u32_e32 v5, 0x6260, v129
	ds_read2_b32 v[14:15], v14 offset1:1
	ds_read2_b32 v[144:145], v143 offset1:1
	;; [unrolled: 1-line block ×3, first 2 shown]
	s_waitcnt lgkmcnt(3)
	v_dot4c_i32_i8_e32 v25, v12, v17
	v_add_u32_e32 v5, 0x6268, v129
	v_dot4c_i32_i8_e32 v25, v13, v9
	ds_read2_b32 v[12:13], v5 offset1:1
	s_waitcnt lgkmcnt(3)
	v_dot4c_i32_i8_e32 v25, v14, v18
	v_add_u32_e32 v5, 0x6270, v129
	v_dot4c_i32_i8_e32 v25, v15, v10
	v_mov_b32_e32 v143, 0
	ds_read2_b32 v[14:15], v5 offset1:1
	s_waitcnt lgkmcnt(3)
	v_dot4c_i32_i8_e32 v25, v144, v19
	s_waitcnt lgkmcnt(2)
	v_dot4c_i32_i8_e32 v143, v146, v16
	v_add_u32_e32 v5, 0x6278, v129
	v_dot4c_i32_i8_e32 v25, v145, v11
	v_dot4c_i32_i8_e32 v143, v147, v8
	ds_read2_b32 v[144:145], v5 offset1:1
	s_waitcnt lgkmcnt(2)
	v_dot4c_i32_i8_e32 v143, v12, v17
	v_dot4c_i32_i8_e32 v143, v13, v9
	s_waitcnt lgkmcnt(1)
	v_dot4c_i32_i8_e32 v143, v14, v18
	v_dot4c_i32_i8_e32 v143, v15, v10
	;; [unrolled: 3-line block ×3, first 2 shown]
	v_cvt_f32_i32_e32 v11, v158
	v_cvt_f32_i32_e32 v10, v157
	v_cvt_f32_i32_e32 v13, v162
	v_cvt_f32_i32_e32 v12, v161
	v_mov_b32_e32 v8, v6
	v_mov_b32_e32 v9, v20
	v_pk_mul_f32 v[8:9], v[2:3], v[8:9] op_sel_hi:[0,1]
	v_mov_b32_e32 v20, v7
	v_pk_fma_f32 v[8:9], v[8:9], v[10:11], v[100:101]
	v_pk_mul_f32 v[2:3], v[2:3], v[20:21] op_sel:[1,0]
	v_mov_b32_e32 v6, v152
	v_pk_fma_f32 v[2:3], v[2:3], v[12:13], v[8:9]
	v_mov_b32_e32 v7, v106
	v_cvt_f32_i32_e32 v9, v166
	v_cvt_f32_i32_e32 v8, v165
	v_pk_mul_f32 v[4:5], v[4:5], v[6:7] op_sel_hi:[0,1]
	v_cvt_f32_i32_e32 v7, v143
	v_cvt_f32_i32_e32 v6, v25
	v_mov_b32_e32 v106, v153
	v_pk_fma_f32 v[2:3], v[4:5], v[8:9], v[2:3]
	v_pk_mul_f32 v[4:5], v[142:143], v[106:107] op_sel_hi:[0,1]
	v_pk_fma_f32 v[100:101], v[4:5], v[6:7], v[2:3]
	s_barrier
.LBB181_5:                              ;   in Loop: Header=BB181_6 Depth=1
	s_add_i32 s14, s14, 8
	s_addk_i32 s24, 0x100
	v_lshl_add_u64 v[28:29], v[28:29], 0, s[8:9]
	v_lshl_add_u64 v[30:31], v[30:31], 0, s[18:19]
	;; [unrolled: 1-line block ×36, first 2 shown]
	s_cmp_ge_i32 s14, s23
	v_lshl_add_u64 v[102:103], v[102:103], 0, s[18:19]
	s_cbranch_scc1 .LBB181_19
.LBB181_6:                              ; =>This Inner Loop Header: Depth=1
	v_lshl_add_u64 v[2:3], v[30:31], 0, s[16:17]
	global_load_dword v10, v[2:3], off offset:6
	v_lshl_add_u64 v[2:3], v[32:33], 0, s[16:17]
	global_load_dword v11, v[2:3], off offset:2
	v_lshl_add_u64 v[4:5], v[36:37], 0, s[16:17]
	v_lshl_add_u64 v[2:3], v[34:35], 0, s[16:17]
	global_load_dword v12, v[4:5], off
	global_load_dword v13, v[2:3], off offset:6
	v_lshl_add_u64 v[2:3], v[38:39], 0, s[16:17]
	v_lshl_add_u64 v[6:7], v[42:43], 0, s[16:17]
	;; [unrolled: 1-line block ×4, first 2 shown]
	global_load_dword v14, v[2:3], off offset:6
	s_nop 0
	global_load_dword v2, v[4:5], off
	s_nop 0
	global_load_dword v6, v[6:7], off offset:6
	s_nop 0
	global_load_dword v7, v[8:9], off
	s_add_i32 s2, s24, 0xffffff80
	s_cmp_lt_i32 s2, s15
	s_waitcnt vmcnt(7)
	v_and_b32_e32 v4, 0xf0f0f0f, v10
	v_lshrrev_b32_e32 v5, 4, v10
	s_waitcnt vmcnt(6)
	v_ashrrev_i32_e32 v3, v24, v11
	v_lshlrev_b32_e32 v11, 4, v3
	s_waitcnt vmcnt(5)
	v_ashrrev_i32_e32 v8, v24, v12
	s_waitcnt vmcnt(4)
	v_and_b32_e32 v9, 0xf0f0f0f, v13
	v_lshrrev_b32_e32 v10, 4, v13
	v_lshlrev_b32_e32 v12, 11, v3
	v_lshlrev_b32_e32 v13, 18, v3
	;; [unrolled: 1-line block ×3, first 2 shown]
	v_lshrrev_b32_e32 v16, 12, v3
	v_lshrrev_b32_e32 v17, 5, v3
	v_lshlrev_b32_e32 v18, 2, v3
	v_lshlrev_b32_e32 v3, 9, v3
	v_lshlrev_b32_e32 v19, 4, v8
	v_lshlrev_b32_e32 v20, 11, v8
	v_lshlrev_b32_e32 v21, 18, v8
	v_lshlrev_b32_e32 v25, 25, v8
	v_and_b32_e32 v11, 16, v11
	v_and_b32_e32 v12, 0x1000, v12
	;; [unrolled: 1-line block ×13, first 2 shown]
	v_or3_b32 v11, v11, v4, v12
	v_or3_b32 v4, v4, v13, v15
	;; [unrolled: 1-line block ×5, first 2 shown]
	v_and_b32_e32 v15, 0x1f00, v11
	v_lshlrev_b16_e32 v11, 8, v11
	v_and_b32_sdwa v16, v4, s25 dst_sel:DWORD dst_unused:UNUSED_PAD src0_sel:WORD_1 src1_sel:DWORD
	v_lshlrev_b16_sdwa v4, v141, v4 dst_sel:DWORD dst_unused:UNUSED_PAD src0_sel:DWORD src1_sel:WORD_1
	v_or3_b32 v3, v12, v3, v5
	v_and_b32_e32 v5, 0x1f00, v13
	v_lshlrev_b16_e32 v12, 8, v13
	v_and_b32_sdwa v13, v9, s25 dst_sel:DWORD dst_unused:UNUSED_PAD src0_sel:WORD_1 src1_sel:DWORD
	v_lshlrev_b16_sdwa v9, v141, v9 dst_sel:DWORD dst_unused:UNUSED_PAD src0_sel:DWORD src1_sel:WORD_1
	v_add_u16_e32 v11, 0xf000, v11
	v_add_u16_e32 v4, 0xf000, v4
	v_lshlrev_b16_e32 v18, 8, v3
	v_and_b32_sdwa v19, v3, s27 dst_sel:DWORD dst_unused:UNUSED_PAD src0_sel:WORD_1 src1_sel:DWORD
	v_and_b32_e32 v17, 0x1f00, v3
	v_lshlrev_b16_sdwa v3, v141, v3 dst_sel:DWORD dst_unused:UNUSED_PAD src0_sel:DWORD src1_sel:WORD_1
	v_add_u16_e32 v12, 0xf000, v12
	v_add_u16_e32 v9, 0xf000, v9
	v_or_b32_sdwa v11, v15, v11 dst_sel:DWORD dst_unused:UNUSED_PAD src0_sel:DWORD src1_sel:BYTE_1
	v_or_b32_sdwa v4, v16, v4 dst_sel:DWORD dst_unused:UNUSED_PAD src0_sel:DWORD src1_sel:BYTE_1
	v_add_i16 v15, v18, s26 clamp
	v_add_i16 v16, v19, s26 clamp
	;; [unrolled: 1-line block ×3, first 2 shown]
	v_or_b32_sdwa v5, v5, v12 dst_sel:DWORD dst_unused:UNUSED_PAD src0_sel:DWORD src1_sel:BYTE_1
	v_or_b32_sdwa v9, v13, v9 dst_sel:DWORD dst_unused:UNUSED_PAD src0_sel:DWORD src1_sel:BYTE_1
	v_add_u16_e32 v11, 0xf000, v11
	v_add_u16_sdwa v4, v4, s26 dst_sel:WORD_1 dst_unused:UNUSED_PAD src0_sel:DWORD src1_sel:DWORD
	v_or_b32_sdwa v12, v17, v15 dst_sel:DWORD dst_unused:UNUSED_PAD src0_sel:DWORD src1_sel:BYTE_1
	v_and_b32_e32 v13, 0xffffff00, v16
	v_or_b32_e32 v4, v11, v4
	v_add_u16_e32 v11, 0xf000, v12
	v_or_b32_sdwa v3, v3, v13 dst_sel:WORD_1 dst_unused:UNUSED_PAD src0_sel:BYTE_1 src1_sel:DWORD
	v_lshrrev_b32_e32 v106, 12, v8
	v_or_b32_e32 v3, v11, v3
	v_lshrrev_b32_e32 v107, 5, v8
	ds_write2_b32 v108, v4, v3 offset1:1
	v_lshlrev_b32_e32 v4, 2, v8
	v_and_b32_e32 v106, 16, v106
	v_and_b32_e32 v3, 0x1000, v107
	v_and_b32_e32 v4, 0x100000, v4
	v_lshlrev_b32_e32 v8, 9, v8
	v_and_b32_e32 v10, 0xf0f0f0f, v10
	v_and_b32_e32 v8, 0x10000000, v8
	v_or3_b32 v3, v3, v106, v4
	v_or3_b32 v3, v3, v8, v10
	v_lshlrev_b16_e32 v8, 8, v3
	v_and_b32_e32 v4, 0x1f00, v3
	v_add_i16 v8, v8, s26 clamp
	v_or_b32_sdwa v4, v4, v8 dst_sel:DWORD dst_unused:UNUSED_PAD src0_sel:DWORD src1_sel:BYTE_1
	v_and_b32_sdwa v8, v3, s27 dst_sel:DWORD dst_unused:UNUSED_PAD src0_sel:WORD_1 src1_sel:DWORD
	v_add_i16 v8, v8, s26 clamp
	v_lshlrev_b16_sdwa v3, v141, v3 dst_sel:DWORD dst_unused:UNUSED_PAD src0_sel:DWORD src1_sel:WORD_1
	v_and_b32_e32 v8, 0xffffff00, v8
	v_add_i16 v3, v3, s26 clamp
	v_add_u16_e32 v5, 0xf000, v5
	v_add_u16_sdwa v9, v9, s26 dst_sel:WORD_1 dst_unused:UNUSED_PAD src0_sel:DWORD src1_sel:DWORD
	v_add_u16_e32 v4, 0xf000, v4
	v_or_b32_sdwa v3, v3, v8 dst_sel:WORD_1 dst_unused:UNUSED_PAD src0_sel:BYTE_1 src1_sel:DWORD
	v_or_b32_e32 v5, v5, v9
	v_or_b32_e32 v3, v4, v3
	s_waitcnt vmcnt(2)
	v_ashrrev_i32_e32 v8, v24, v2
	ds_write2_b32 v109, v5, v3 offset1:1
	v_lshlrev_b32_e32 v3, 4, v8
	v_lshlrev_b32_e32 v4, 11, v8
	v_and_b32_e32 v2, 0xf0f0f0f, v14
	v_and_b32_e32 v3, 16, v3
	;; [unrolled: 1-line block ×3, first 2 shown]
	v_or3_b32 v3, v3, v2, v4
	v_lshlrev_b32_e32 v4, 18, v8
	v_lshlrev_b32_e32 v5, 25, v8
	v_and_b32_e32 v4, 0x100000, v4
	v_and_b32_e32 v5, 0x10000000, v5
	v_or3_b32 v2, v2, v4, v5
	v_and_b32_e32 v4, 0x1f00, v3
	v_lshlrev_b16_e32 v3, 8, v3
	v_add_u16_e32 v3, 0xf000, v3
	v_or_b32_sdwa v3, v4, v3 dst_sel:DWORD dst_unused:UNUSED_PAD src0_sel:DWORD src1_sel:BYTE_1
	v_add_u16_e32 v9, 0xf000, v3
	v_and_b32_sdwa v3, v2, s25 dst_sel:DWORD dst_unused:UNUSED_PAD src0_sel:WORD_1 src1_sel:DWORD
	v_lshlrev_b16_sdwa v2, v141, v2 dst_sel:DWORD dst_unused:UNUSED_PAD src0_sel:DWORD src1_sel:WORD_1
	v_add_u16_e32 v2, 0xf000, v2
	v_or_b32_sdwa v2, v3, v2 dst_sel:DWORD dst_unused:UNUSED_PAD src0_sel:DWORD src1_sel:BYTE_1
	v_lshl_add_u64 v[4:5], v[48:49], 0, s[16:17]
	v_add_u16_sdwa v10, v2, s26 dst_sel:WORD_1 dst_unused:UNUSED_PAD src0_sel:DWORD src1_sel:DWORD
	v_lshl_add_u64 v[2:3], v[46:47], 0, s[16:17]
	global_load_dword v11, v[4:5], off
	global_load_dword v12, v[2:3], off offset:6
	v_or_b32_e32 v2, v9, v10
	v_lshrrev_b32_e32 v4, 12, v8
	v_lshrrev_b32_e32 v5, 5, v8
	v_lshlrev_b32_e32 v9, 2, v8
	v_lshrrev_b32_e32 v3, 4, v14
	v_and_b32_e32 v4, 16, v4
	v_and_b32_e32 v5, 0x1000, v5
	;; [unrolled: 1-line block ×3, first 2 shown]
	v_lshlrev_b32_e32 v8, 9, v8
	v_and_b32_e32 v3, 0xf0f0f0f, v3
	v_and_b32_e32 v8, 0x10000000, v8
	v_or3_b32 v4, v5, v4, v9
	v_or3_b32 v3, v4, v8, v3
	v_lshlrev_b16_e32 v5, 8, v3
	v_and_b32_e32 v4, 0x1f00, v3
	v_add_i16 v5, v5, s26 clamp
	v_or_b32_sdwa v4, v4, v5 dst_sel:DWORD dst_unused:UNUSED_PAD src0_sel:DWORD src1_sel:BYTE_1
	v_and_b32_sdwa v5, v3, s27 dst_sel:DWORD dst_unused:UNUSED_PAD src0_sel:WORD_1 src1_sel:DWORD
	v_add_i16 v5, v5, s26 clamp
	v_lshlrev_b16_sdwa v3, v141, v3 dst_sel:DWORD dst_unused:UNUSED_PAD src0_sel:DWORD src1_sel:WORD_1
	v_and_b32_e32 v5, 0xffffff00, v5
	v_add_i16 v3, v3, s26 clamp
	v_add_u16_e32 v4, 0xf000, v4
	v_or_b32_sdwa v3, v3, v5 dst_sel:WORD_1 dst_unused:UNUSED_PAD src0_sel:BYTE_1 src1_sel:DWORD
	s_waitcnt vmcnt(2)
	v_ashrrev_i32_e32 v7, v24, v7
	v_or_b32_e32 v3, v4, v3
	ds_write2_b32 v110, v2, v3 offset1:1
	v_lshlrev_b32_e32 v3, 4, v7
	v_lshlrev_b32_e32 v4, 11, v7
	v_and_b32_e32 v2, 0xf0f0f0f, v6
	v_and_b32_e32 v3, 16, v3
	;; [unrolled: 1-line block ×3, first 2 shown]
	v_or3_b32 v3, v3, v2, v4
	v_lshlrev_b32_e32 v4, 18, v7
	v_lshlrev_b32_e32 v5, 25, v7
	v_and_b32_e32 v4, 0x100000, v4
	v_and_b32_e32 v5, 0x10000000, v5
	v_or3_b32 v2, v2, v4, v5
	v_and_b32_e32 v4, 0x1f00, v3
	v_lshlrev_b16_e32 v3, 8, v3
	v_add_u16_e32 v3, 0xf000, v3
	v_or_b32_sdwa v3, v4, v3 dst_sel:DWORD dst_unused:UNUSED_PAD src0_sel:DWORD src1_sel:BYTE_1
	v_add_u16_e32 v8, 0xf000, v3
	v_and_b32_sdwa v3, v2, s25 dst_sel:DWORD dst_unused:UNUSED_PAD src0_sel:WORD_1 src1_sel:DWORD
	v_lshlrev_b16_sdwa v2, v141, v2 dst_sel:DWORD dst_unused:UNUSED_PAD src0_sel:DWORD src1_sel:WORD_1
	v_add_u16_e32 v2, 0xf000, v2
	v_or_b32_sdwa v2, v3, v2 dst_sel:DWORD dst_unused:UNUSED_PAD src0_sel:DWORD src1_sel:BYTE_1
	v_lshl_add_u64 v[4:5], v[52:53], 0, s[16:17]
	v_add_u16_sdwa v9, v2, s26 dst_sel:WORD_1 dst_unused:UNUSED_PAD src0_sel:DWORD src1_sel:DWORD
	v_lshl_add_u64 v[2:3], v[50:51], 0, s[16:17]
	global_load_dword v10, v[4:5], off
	global_load_dword v13, v[2:3], off offset:6
	v_lshrrev_b32_e32 v3, 4, v6
	v_lshrrev_b32_e32 v4, 12, v7
	;; [unrolled: 1-line block ×3, first 2 shown]
	v_lshlrev_b32_e32 v6, 2, v7
	v_and_b32_e32 v4, 16, v4
	v_and_b32_e32 v5, 0x1000, v5
	v_and_b32_e32 v6, 0x100000, v6
	v_lshlrev_b32_e32 v7, 9, v7
	v_and_b32_e32 v3, 0xf0f0f0f, v3
	v_and_b32_e32 v7, 0x10000000, v7
	v_or3_b32 v4, v5, v4, v6
	v_or3_b32 v3, v4, v7, v3
	v_lshlrev_b16_e32 v5, 8, v3
	v_and_b32_e32 v4, 0x1f00, v3
	v_add_i16 v5, v5, s26 clamp
	v_or_b32_sdwa v4, v4, v5 dst_sel:DWORD dst_unused:UNUSED_PAD src0_sel:DWORD src1_sel:BYTE_1
	v_and_b32_sdwa v5, v3, s27 dst_sel:DWORD dst_unused:UNUSED_PAD src0_sel:WORD_1 src1_sel:DWORD
	v_add_i16 v5, v5, s26 clamp
	v_lshlrev_b16_sdwa v3, v141, v3 dst_sel:DWORD dst_unused:UNUSED_PAD src0_sel:DWORD src1_sel:WORD_1
	v_and_b32_e32 v5, 0xffffff00, v5
	v_add_i16 v3, v3, s26 clamp
	v_add_u16_e32 v4, 0xf000, v4
	v_or_b32_sdwa v3, v3, v5 dst_sel:WORD_1 dst_unused:UNUSED_PAD src0_sel:BYTE_1 src1_sel:DWORD
	v_or_b32_e32 v2, v8, v9
	v_or_b32_e32 v3, v4, v3
	ds_write2_b32 v111, v2, v3 offset1:1
	s_waitcnt vmcnt(3)
	v_ashrrev_i32_e32 v6, v24, v11
	v_lshlrev_b32_e32 v3, 4, v6
	v_lshlrev_b32_e32 v4, 11, v6
	s_waitcnt vmcnt(2)
	v_and_b32_e32 v2, 0xf0f0f0f, v12
	v_and_b32_e32 v3, 16, v3
	v_and_b32_e32 v4, 0x1000, v4
	v_or3_b32 v3, v3, v2, v4
	v_lshlrev_b32_e32 v4, 18, v6
	v_lshlrev_b32_e32 v5, 25, v6
	v_and_b32_e32 v4, 0x100000, v4
	v_and_b32_e32 v5, 0x10000000, v5
	v_or3_b32 v2, v2, v4, v5
	v_and_b32_e32 v4, 0x1f00, v3
	v_lshlrev_b16_e32 v3, 8, v3
	v_add_u16_e32 v3, 0xf000, v3
	v_or_b32_sdwa v3, v4, v3 dst_sel:DWORD dst_unused:UNUSED_PAD src0_sel:DWORD src1_sel:BYTE_1
	v_add_u16_e32 v7, 0xf000, v3
	v_and_b32_sdwa v3, v2, s25 dst_sel:DWORD dst_unused:UNUSED_PAD src0_sel:WORD_1 src1_sel:DWORD
	v_lshlrev_b16_sdwa v2, v141, v2 dst_sel:DWORD dst_unused:UNUSED_PAD src0_sel:DWORD src1_sel:WORD_1
	v_add_u16_e32 v2, 0xf000, v2
	v_or_b32_sdwa v2, v3, v2 dst_sel:DWORD dst_unused:UNUSED_PAD src0_sel:DWORD src1_sel:BYTE_1
	v_lshl_add_u64 v[4:5], v[56:57], 0, s[16:17]
	v_add_u16_sdwa v8, v2, s26 dst_sel:WORD_1 dst_unused:UNUSED_PAD src0_sel:DWORD src1_sel:DWORD
	v_lshl_add_u64 v[2:3], v[54:55], 0, s[16:17]
	global_load_dword v9, v[4:5], off
	global_load_dword v11, v[2:3], off offset:6
	v_or_b32_e32 v2, v7, v8
	v_lshrrev_b32_e32 v4, 12, v6
	v_lshrrev_b32_e32 v5, 5, v6
	v_lshlrev_b32_e32 v7, 2, v6
	v_lshrrev_b32_e32 v3, 4, v12
	v_and_b32_e32 v4, 16, v4
	v_and_b32_e32 v5, 0x1000, v5
	v_and_b32_e32 v7, 0x100000, v7
	v_lshlrev_b32_e32 v6, 9, v6
	v_and_b32_e32 v3, 0xf0f0f0f, v3
	v_and_b32_e32 v6, 0x10000000, v6
	v_or3_b32 v4, v5, v4, v7
	v_or3_b32 v3, v4, v6, v3
	v_lshlrev_b16_e32 v5, 8, v3
	v_and_b32_e32 v4, 0x1f00, v3
	v_add_i16 v5, v5, s26 clamp
	v_or_b32_sdwa v4, v4, v5 dst_sel:DWORD dst_unused:UNUSED_PAD src0_sel:DWORD src1_sel:BYTE_1
	v_and_b32_sdwa v5, v3, s27 dst_sel:DWORD dst_unused:UNUSED_PAD src0_sel:WORD_1 src1_sel:DWORD
	v_add_i16 v5, v5, s26 clamp
	v_lshlrev_b16_sdwa v3, v141, v3 dst_sel:DWORD dst_unused:UNUSED_PAD src0_sel:DWORD src1_sel:WORD_1
	v_and_b32_e32 v5, 0xffffff00, v5
	v_add_i16 v3, v3, s26 clamp
	v_add_u16_e32 v4, 0xf000, v4
	v_or_b32_sdwa v3, v3, v5 dst_sel:WORD_1 dst_unused:UNUSED_PAD src0_sel:BYTE_1 src1_sel:DWORD
	s_waitcnt vmcnt(3)
	v_ashrrev_i32_e32 v6, v24, v10
	v_or_b32_e32 v3, v4, v3
	ds_write2_b32 v112, v2, v3 offset1:1
	v_lshlrev_b32_e32 v3, 4, v6
	v_lshlrev_b32_e32 v4, 11, v6
	s_waitcnt vmcnt(2)
	v_and_b32_e32 v2, 0xf0f0f0f, v13
	v_and_b32_e32 v3, 16, v3
	v_and_b32_e32 v4, 0x1000, v4
	v_or3_b32 v3, v3, v2, v4
	v_lshlrev_b32_e32 v4, 18, v6
	v_lshlrev_b32_e32 v5, 25, v6
	v_and_b32_e32 v4, 0x100000, v4
	v_and_b32_e32 v5, 0x10000000, v5
	v_or3_b32 v2, v2, v4, v5
	v_and_b32_e32 v4, 0x1f00, v3
	v_lshlrev_b16_e32 v3, 8, v3
	v_add_u16_e32 v3, 0xf000, v3
	v_or_b32_sdwa v3, v4, v3 dst_sel:DWORD dst_unused:UNUSED_PAD src0_sel:DWORD src1_sel:BYTE_1
	v_add_u16_e32 v7, 0xf000, v3
	v_and_b32_sdwa v3, v2, s25 dst_sel:DWORD dst_unused:UNUSED_PAD src0_sel:WORD_1 src1_sel:DWORD
	v_lshlrev_b16_sdwa v2, v141, v2 dst_sel:DWORD dst_unused:UNUSED_PAD src0_sel:DWORD src1_sel:WORD_1
	v_add_u16_e32 v2, 0xf000, v2
	v_or_b32_sdwa v2, v3, v2 dst_sel:DWORD dst_unused:UNUSED_PAD src0_sel:DWORD src1_sel:BYTE_1
	v_lshl_add_u64 v[4:5], v[60:61], 0, s[16:17]
	v_add_u16_sdwa v8, v2, s26 dst_sel:WORD_1 dst_unused:UNUSED_PAD src0_sel:DWORD src1_sel:DWORD
	v_lshl_add_u64 v[2:3], v[58:59], 0, s[16:17]
	global_load_dword v10, v[4:5], off
	global_load_dword v12, v[2:3], off offset:6
	v_or_b32_e32 v2, v7, v8
	v_lshrrev_b32_e32 v4, 12, v6
	v_lshrrev_b32_e32 v5, 5, v6
	v_lshlrev_b32_e32 v7, 2, v6
	v_lshrrev_b32_e32 v3, 4, v13
	v_and_b32_e32 v4, 16, v4
	v_and_b32_e32 v5, 0x1000, v5
	v_and_b32_e32 v7, 0x100000, v7
	v_lshlrev_b32_e32 v6, 9, v6
	v_and_b32_e32 v3, 0xf0f0f0f, v3
	v_and_b32_e32 v6, 0x10000000, v6
	v_or3_b32 v4, v5, v4, v7
	v_or3_b32 v3, v4, v6, v3
	v_lshlrev_b16_e32 v5, 8, v3
	v_and_b32_e32 v4, 0x1f00, v3
	v_add_i16 v5, v5, s26 clamp
	v_or_b32_sdwa v4, v4, v5 dst_sel:DWORD dst_unused:UNUSED_PAD src0_sel:DWORD src1_sel:BYTE_1
	v_and_b32_sdwa v5, v3, s27 dst_sel:DWORD dst_unused:UNUSED_PAD src0_sel:WORD_1 src1_sel:DWORD
	v_add_i16 v5, v5, s26 clamp
	v_lshlrev_b16_sdwa v3, v141, v3 dst_sel:DWORD dst_unused:UNUSED_PAD src0_sel:DWORD src1_sel:WORD_1
	v_and_b32_e32 v5, 0xffffff00, v5
	v_add_i16 v3, v3, s26 clamp
	v_add_u16_e32 v4, 0xf000, v4
	v_or_b32_sdwa v3, v3, v5 dst_sel:WORD_1 dst_unused:UNUSED_PAD src0_sel:BYTE_1 src1_sel:DWORD
	s_waitcnt vmcnt(3)
	v_ashrrev_i32_e32 v6, v24, v9
	v_or_b32_e32 v3, v4, v3
	ds_write2_b32 v113, v2, v3 offset1:1
	;; [unrolled: 54-line block ×9, first 2 shown]
	v_lshlrev_b32_e32 v3, 4, v6
	v_lshlrev_b32_e32 v4, 11, v6
	s_waitcnt vmcnt(2)
	v_and_b32_e32 v2, 0xf0f0f0f, v12
	v_and_b32_e32 v3, 16, v3
	v_and_b32_e32 v4, 0x1000, v4
	v_or3_b32 v3, v3, v2, v4
	v_lshlrev_b32_e32 v4, 18, v6
	v_lshlrev_b32_e32 v5, 25, v6
	v_and_b32_e32 v4, 0x100000, v4
	v_and_b32_e32 v5, 0x10000000, v5
	v_or3_b32 v2, v2, v4, v5
	v_and_b32_e32 v4, 0x1f00, v3
	v_lshlrev_b16_e32 v3, 8, v3
	v_add_u16_e32 v3, 0xf000, v3
	v_or_b32_sdwa v3, v4, v3 dst_sel:DWORD dst_unused:UNUSED_PAD src0_sel:DWORD src1_sel:BYTE_1
	v_and_b32_sdwa v4, v2, s25 dst_sel:DWORD dst_unused:UNUSED_PAD src0_sel:WORD_1 src1_sel:DWORD
	v_lshlrev_b16_sdwa v2, v141, v2 dst_sel:DWORD dst_unused:UNUSED_PAD src0_sel:DWORD src1_sel:WORD_1
	v_add_u16_e32 v2, 0xf000, v2
	v_or_b32_sdwa v2, v4, v2 dst_sel:DWORD dst_unused:UNUSED_PAD src0_sel:DWORD src1_sel:BYTE_1
	v_add_u16_e32 v3, 0xf000, v3
	v_add_u16_sdwa v2, v2, s26 dst_sel:WORD_1 dst_unused:UNUSED_PAD src0_sel:DWORD src1_sel:DWORD
	v_lshrrev_b32_e32 v10, 12, v6
	v_or_b32_e32 v7, v3, v2
	v_lshrrev_b32_e32 v2, 4, v12
	v_and_b32_e32 v8, 0xf0f0f0f, v2
	v_lshl_add_u64 v[2:3], v[90:91], 0, s[16:17]
	v_lshl_add_u64 v[4:5], v[92:93], 0, s[16:17]
	global_load_dword v4, v[4:5], off
	s_nop 0
	global_load_dword v5, v[2:3], off offset:6
	v_and_b32_e32 v2, 16, v10
	v_lshrrev_b32_e32 v3, 5, v6
	v_lshlrev_b32_e32 v10, 2, v6
	v_and_b32_e32 v3, 0x1000, v3
	v_and_b32_e32 v10, 0x100000, v10
	v_lshlrev_b32_e32 v6, 9, v6
	v_and_b32_e32 v6, 0x10000000, v6
	v_or3_b32 v2, v3, v2, v10
	v_or3_b32 v2, v2, v6, v8
	v_lshlrev_b16_e32 v6, 8, v2
	v_and_b32_e32 v3, 0x1f00, v2
	v_add_i16 v6, v6, s26 clamp
	v_or_b32_sdwa v3, v3, v6 dst_sel:DWORD dst_unused:UNUSED_PAD src0_sel:DWORD src1_sel:BYTE_1
	v_and_b32_sdwa v6, v2, s27 dst_sel:DWORD dst_unused:UNUSED_PAD src0_sel:WORD_1 src1_sel:DWORD
	v_add_i16 v6, v6, s26 clamp
	v_lshlrev_b16_sdwa v2, v141, v2 dst_sel:DWORD dst_unused:UNUSED_PAD src0_sel:DWORD src1_sel:WORD_1
	v_and_b32_e32 v6, 0xffffff00, v6
	v_add_i16 v2, v2, s26 clamp
	v_add_u16_e32 v3, 0xf000, v3
	v_or_b32_sdwa v2, v2, v6 dst_sel:WORD_1 dst_unused:UNUSED_PAD src0_sel:BYTE_1 src1_sel:DWORD
	s_waitcnt vmcnt(3)
	v_ashrrev_i32_e32 v6, v24, v9
	v_or_b32_e32 v2, v3, v2
	ds_write2_b32 v121, v7, v2 offset1:1
	v_lshlrev_b32_e32 v3, 4, v6
	v_lshlrev_b32_e32 v7, 11, v6
	s_waitcnt vmcnt(2)
	v_and_b32_e32 v2, 0xf0f0f0f, v13
	v_and_b32_e32 v3, 16, v3
	;; [unrolled: 1-line block ×3, first 2 shown]
	v_or3_b32 v3, v3, v2, v7
	v_lshlrev_b32_e32 v7, 18, v6
	v_lshlrev_b32_e32 v8, 25, v6
	v_and_b32_e32 v7, 0x100000, v7
	v_and_b32_e32 v8, 0x10000000, v8
	v_or3_b32 v2, v2, v7, v8
	v_and_b32_e32 v7, 0x1f00, v3
	v_lshlrev_b16_e32 v3, 8, v3
	v_add_u16_e32 v3, 0xf000, v3
	v_or_b32_sdwa v3, v7, v3 dst_sel:DWORD dst_unused:UNUSED_PAD src0_sel:DWORD src1_sel:BYTE_1
	v_add_u16_e32 v7, 0xf000, v3
	v_and_b32_sdwa v3, v2, s25 dst_sel:DWORD dst_unused:UNUSED_PAD src0_sel:WORD_1 src1_sel:DWORD
	v_lshlrev_b16_sdwa v2, v141, v2 dst_sel:DWORD dst_unused:UNUSED_PAD src0_sel:DWORD src1_sel:WORD_1
	v_add_u16_e32 v2, 0xf000, v2
	v_or_b32_sdwa v8, v3, v2 dst_sel:DWORD dst_unused:UNUSED_PAD src0_sel:DWORD src1_sel:BYTE_1
	v_lshl_add_u64 v[2:3], v[94:95], 0, s[16:17]
	global_load_ushort v9, v[2:3], off
	v_lshl_add_u64 v[2:3], v[96:97], 0, s[16:17]
	global_load_ushort v10, v[2:3], off
	;; [unrolled: 2-line block ×4, first 2 shown]
	v_add_u16_sdwa v8, v8, s26 dst_sel:WORD_1 dst_unused:UNUSED_PAD src0_sel:DWORD src1_sel:DWORD
	v_lshrrev_b32_e32 v12, 5, v6
	v_or_b32_e32 v3, v7, v8
	v_lshrrev_b32_e32 v7, 4, v13
	v_lshrrev_b32_e32 v8, 12, v6
	v_lshlrev_b32_e32 v13, 2, v6
	v_and_b32_e32 v8, 16, v8
	v_and_b32_e32 v12, 0x1000, v12
	;; [unrolled: 1-line block ×3, first 2 shown]
	v_lshlrev_b32_e32 v6, 9, v6
	v_and_b32_e32 v7, 0xf0f0f0f, v7
	v_and_b32_e32 v6, 0x10000000, v6
	v_or3_b32 v8, v12, v8, v13
	v_or3_b32 v6, v8, v6, v7
	v_lshlrev_b16_e32 v8, 8, v6
	v_and_b32_e32 v7, 0x1f00, v6
	v_add_i16 v8, v8, s26 clamp
	v_or_b32_sdwa v7, v7, v8 dst_sel:DWORD dst_unused:UNUSED_PAD src0_sel:DWORD src1_sel:BYTE_1
	v_and_b32_sdwa v8, v6, s27 dst_sel:DWORD dst_unused:UNUSED_PAD src0_sel:WORD_1 src1_sel:DWORD
	v_add_i16 v8, v8, s26 clamp
	v_lshlrev_b16_sdwa v6, v141, v6 dst_sel:DWORD dst_unused:UNUSED_PAD src0_sel:DWORD src1_sel:WORD_1
	v_and_b32_e32 v8, 0xffffff00, v8
	v_add_i16 v6, v6, s26 clamp
	v_add_u16_e32 v7, 0xf000, v7
	v_or_b32_sdwa v6, v6, v8 dst_sel:WORD_1 dst_unused:UNUSED_PAD src0_sel:BYTE_1 src1_sel:DWORD
	s_waitcnt vmcnt(0)
	v_cvt_f32_f16_e32 v2, v2
	v_or_b32_e32 v6, v7, v6
	ds_write2_b32 v122, v3, v6 offset1:1
	v_ashrrev_i32_e32 v3, v24, v4
	v_lshlrev_b32_e32 v6, 4, v3
	v_lshlrev_b32_e32 v7, 11, v3
	v_and_b32_e32 v4, 0xf0f0f0f, v5
	v_and_b32_e32 v6, 16, v6
	;; [unrolled: 1-line block ×3, first 2 shown]
	v_or3_b32 v6, v6, v4, v7
	v_lshlrev_b32_e32 v7, 18, v3
	v_lshlrev_b32_e32 v8, 25, v3
	v_and_b32_e32 v7, 0x100000, v7
	v_and_b32_e32 v8, 0x10000000, v8
	v_or3_b32 v4, v4, v7, v8
	v_and_b32_e32 v7, 0x1f00, v6
	v_lshlrev_b16_e32 v6, 8, v6
	v_add_u16_e32 v6, 0xf000, v6
	v_or_b32_sdwa v6, v7, v6 dst_sel:DWORD dst_unused:UNUSED_PAD src0_sel:DWORD src1_sel:BYTE_1
	v_and_b32_sdwa v7, v4, s25 dst_sel:DWORD dst_unused:UNUSED_PAD src0_sel:WORD_1 src1_sel:DWORD
	v_lshlrev_b16_sdwa v4, v141, v4 dst_sel:DWORD dst_unused:UNUSED_PAD src0_sel:DWORD src1_sel:WORD_1
	v_add_u16_e32 v4, 0xf000, v4
	v_or_b32_sdwa v4, v7, v4 dst_sel:DWORD dst_unused:UNUSED_PAD src0_sel:DWORD src1_sel:BYTE_1
	v_add_u16_e32 v6, 0xf000, v6
	v_add_u16_sdwa v4, v4, s26 dst_sel:WORD_1 dst_unused:UNUSED_PAD src0_sel:DWORD src1_sel:DWORD
	v_lshrrev_b32_e32 v7, 5, v3
	v_or_b32_e32 v4, v6, v4
	v_lshrrev_b32_e32 v6, 12, v3
	v_lshlrev_b32_e32 v8, 2, v3
	v_lshrrev_b32_e32 v5, 4, v5
	v_and_b32_e32 v6, 16, v6
	v_and_b32_e32 v7, 0x1000, v7
	;; [unrolled: 1-line block ×3, first 2 shown]
	v_lshlrev_b32_e32 v3, 9, v3
	v_and_b32_e32 v5, 0xf0f0f0f, v5
	v_and_b32_e32 v3, 0x10000000, v3
	v_or3_b32 v6, v7, v6, v8
	v_or3_b32 v3, v6, v3, v5
	v_lshlrev_b16_e32 v6, 8, v3
	v_and_b32_e32 v5, 0x1f00, v3
	v_add_i16 v6, v6, s26 clamp
	v_or_b32_sdwa v5, v5, v6 dst_sel:DWORD dst_unused:UNUSED_PAD src0_sel:DWORD src1_sel:BYTE_1
	v_and_b32_sdwa v6, v3, s27 dst_sel:DWORD dst_unused:UNUSED_PAD src0_sel:WORD_1 src1_sel:DWORD
	v_add_i16 v6, v6, s26 clamp
	v_lshlrev_b16_sdwa v3, v141, v3 dst_sel:DWORD dst_unused:UNUSED_PAD src0_sel:DWORD src1_sel:WORD_1
	v_and_b32_e32 v6, 0xffffff00, v6
	v_add_i16 v3, v3, s26 clamp
	v_add_u16_e32 v5, 0xf000, v5
	v_or_b32_sdwa v3, v3, v6 dst_sel:WORD_1 dst_unused:UNUSED_PAD src0_sel:BYTE_1 src1_sel:DWORD
	v_cvt_f32_f16_e32 v6, v10
	v_or_b32_e32 v3, v5, v3
	v_cvt_f32_f16_e32 v5, v9
	ds_write2_b32 v123, v4, v3 offset1:1
	v_cvt_f32_f16_e32 v3, v11
	ds_write_b32 v137, v5
	ds_write_b32 v138, v6
	;; [unrolled: 1-line block ×4, first 2 shown]
	s_cbranch_scc0 .LBB181_5
; %bb.7:                                ;   in Loop: Header=BB181_6 Depth=1
	v_add_u32_e32 v2, s14, v124
	v_cmp_gt_i32_e64 s[2:3], s5, v2
	s_and_b64 s[20:21], s[0:1], s[2:3]
	s_and_saveexec_b64 s[2:3], s[20:21]
	s_cbranch_execz .LBB181_9
; %bb.8:                                ;   in Loop: Header=BB181_6 Depth=1
	v_add_u32_e32 v2, s14, v136
	v_mad_i64_i32 v[2:3], s[20:21], v2, 36, v[26:27]
	global_load_dword v2, v[2:3], off offset:4
	s_waitcnt vmcnt(0)
	ds_write_b32 v125, v2
.LBB181_9:                              ;   in Loop: Header=BB181_6 Depth=1
	s_or_b64 exec, exec, s[2:3]
	s_and_saveexec_b64 s[20:21], vcc
	s_cbranch_execz .LBB181_12
; %bb.10:                               ;   in Loop: Header=BB181_6 Depth=1
	v_add_u32_e32 v2, s14, v22
	v_cmp_gt_i32_e64 s[2:3], s5, v2
	s_and_b64 s[2:3], s[0:1], s[2:3]
	s_and_b64 exec, exec, s[2:3]
	s_cbranch_execz .LBB181_12
; %bb.11:                               ;   in Loop: Header=BB181_6 Depth=1
	v_add_u32_e32 v2, s14, v23
	v_mad_i64_i32 v[2:3], s[2:3], v2, 36, s[10:11]
	global_load_dword v2, v[2:3], off
	s_waitcnt vmcnt(0)
	v_cvt_f32_f16_e32 v2, v2
	ds_write_b32 v126, v2
.LBB181_12:                             ;   in Loop: Header=BB181_6 Depth=1
	s_or_b64 exec, exec, s[20:21]
	s_waitcnt lgkmcnt(0)
	s_barrier
	ds_read_b128 v[2:5], v128
	ds_read2_b32 v[106:107], v129 offset1:1
	ds_read_b128 v[14:17], v127
	ds_read_b128 v[18:21], v127 offset:16
	ds_read_b128 v[6:9], v127 offset:32
	;; [unrolled: 1-line block ×3, first 2 shown]
	ds_read2_b32 v[142:143], v129 offset0:2 offset1:3
	v_mov_b32_e32 v25, 0
	s_waitcnt lgkmcnt(4)
	v_dot4c_i32_i8_e32 v25, v106, v14
	s_waitcnt lgkmcnt(3)
	v_dot4c_i32_i8_e32 v25, v107, v18
	ds_read2_b32 v[106:107], v129 offset0:4 offset1:5
	ds_read2_b32 v[144:145], v129 offset0:6 offset1:7
	;; [unrolled: 1-line block ×3, first 2 shown]
	s_waitcnt lgkmcnt(3)
	v_dot4c_i32_i8_e32 v25, v142, v15
	v_dot4c_i32_i8_e32 v25, v143, v19
	s_waitcnt lgkmcnt(2)
	v_dot4c_i32_i8_e32 v25, v106, v16
	v_add_u32_e32 v106, 0x2080, v129
	ds_read2_b32 v[142:143], v106 offset1:1
	v_mov_b32_e32 v156, 0
	v_dot4c_i32_i8_e32 v25, v107, v20
	ds_read2_b32 v[106:107], v133 offset0:2 offset1:3
	s_waitcnt lgkmcnt(3)
	v_dot4c_i32_i8_e32 v25, v144, v17
	s_waitcnt lgkmcnt(1)
	v_dot4c_i32_i8_e32 v156, v142, v14
	v_add_u32_e32 v142, 0x2088, v129
	v_dot4c_i32_i8_e32 v156, v143, v18
	ds_read2_b32 v[142:143], v142 offset1:1
	v_add_u32_e32 v144, 0x2090, v129
	v_add_u32_e32 v148, 0x2098, v129
	;; [unrolled: 1-line block ×3, first 2 shown]
	v_dot4c_i32_i8_e32 v25, v145, v21
	ds_read2_b32 v[144:145], v144 offset1:1
	ds_read2_b32 v[148:149], v148 offset1:1
	;; [unrolled: 1-line block ×3, first 2 shown]
	s_waitcnt lgkmcnt(3)
	v_dot4c_i32_i8_e32 v156, v142, v15
	v_dot4c_i32_i8_e32 v156, v143, v19
	s_waitcnt lgkmcnt(2)
	v_dot4c_i32_i8_e32 v156, v144, v16
	v_dot4c_i32_i8_e32 v156, v145, v20
	v_mov_b32_e32 v157, 0
	s_waitcnt lgkmcnt(1)
	v_dot4c_i32_i8_e32 v156, v148, v17
	s_waitcnt lgkmcnt(0)
	v_dot4c_i32_i8_e32 v157, v150, v14
	v_add_u32_e32 v142, 0x4108, v129
	v_add_u32_e32 v144, 0x4110, v129
	;; [unrolled: 1-line block ×4, first 2 shown]
	v_dot4c_i32_i8_e32 v156, v149, v21
	v_dot4c_i32_i8_e32 v157, v151, v18
	ds_read2_b32 v[142:143], v142 offset1:1
	ds_read2_b32 v[144:145], v144 offset1:1
	;; [unrolled: 1-line block ×4, first 2 shown]
	v_mov_b32_e32 v158, 0
	v_mov_b32_e32 v159, 0
	v_dot4c_i32_i8_e32 v159, v146, v6
	s_waitcnt lgkmcnt(3)
	v_dot4c_i32_i8_e32 v157, v142, v15
	s_waitcnt lgkmcnt(0)
	v_dot4c_i32_i8_e32 v158, v150, v14
	v_add_u32_e32 v14, 0x6188, v129
	v_dot4c_i32_i8_e32 v157, v143, v19
	ds_read2_b32 v[142:143], v14 offset1:1
	v_dot4c_i32_i8_e32 v157, v144, v16
	v_dot4c_i32_i8_e32 v157, v145, v20
	;; [unrolled: 1-line block ×4, first 2 shown]
	v_add_u32_e32 v18, 0x6190, v129
	v_add_u32_e32 v148, 0x6198, v129
	v_dot4c_i32_i8_e32 v157, v149, v21
	v_add_u32_e32 v14, 0x20a0, v129
	ds_read2_b32 v[144:145], v18 offset1:1
	ds_read2_b32 v[148:149], v148 offset1:1
	;; [unrolled: 1-line block ×3, first 2 shown]
	s_waitcnt lgkmcnt(3)
	v_dot4c_i32_i8_e32 v158, v142, v15
	v_dot4c_i32_i8_e32 v158, v143, v19
	ds_read2_b32 v[14:15], v129 offset0:10 offset1:11
	s_waitcnt lgkmcnt(3)
	v_dot4c_i32_i8_e32 v158, v144, v16
	v_dot4c_i32_i8_e32 v158, v145, v20
	s_waitcnt lgkmcnt(2)
	v_dot4c_i32_i8_e32 v158, v148, v17
	v_dot4c_i32_i8_e32 v158, v149, v21
	;; [unrolled: 1-line block ×3, first 2 shown]
	ds_read2_b32 v[16:17], v129 offset0:12 offset1:13
	ds_read2_b32 v[18:19], v129 offset0:14 offset1:15
	;; [unrolled: 1-line block ×3, first 2 shown]
	s_waitcnt lgkmcnt(3)
	v_dot4c_i32_i8_e32 v159, v14, v7
	v_add_u32_e32 v14, 0x20a8, v129
	v_dot4c_i32_i8_e32 v159, v15, v11
	ds_read2_b32 v[14:15], v14 offset1:1
	s_waitcnt lgkmcnt(3)
	v_dot4c_i32_i8_e32 v159, v16, v8
	v_dot4c_i32_i8_e32 v159, v17, v12
	v_mov_b32_e32 v160, 0
	s_waitcnt lgkmcnt(2)
	v_dot4c_i32_i8_e32 v159, v18, v9
	v_dot4c_i32_i8_e32 v160, v150, v6
	v_add_u32_e32 v16, 0x20b0, v129
	v_add_u32_e32 v18, 0x20b8, v129
	;; [unrolled: 1-line block ×3, first 2 shown]
	v_dot4c_i32_i8_e32 v159, v19, v13
	v_dot4c_i32_i8_e32 v160, v151, v10
	ds_read2_b32 v[16:17], v16 offset1:1
	ds_read2_b32 v[18:19], v18 offset1:1
	;; [unrolled: 1-line block ×3, first 2 shown]
	s_waitcnt lgkmcnt(3)
	v_dot4c_i32_i8_e32 v160, v14, v7
	v_dot4c_i32_i8_e32 v160, v15, v11
	s_waitcnt lgkmcnt(2)
	v_dot4c_i32_i8_e32 v160, v16, v8
	v_dot4c_i32_i8_e32 v160, v17, v12
	v_mov_b32_e32 v161, 0
	s_waitcnt lgkmcnt(1)
	v_dot4c_i32_i8_e32 v160, v18, v9
	s_waitcnt lgkmcnt(0)
	v_dot4c_i32_i8_e32 v161, v142, v6
	v_add_u32_e32 v14, 0x4128, v129
	v_add_u32_e32 v16, 0x4130, v129
	;; [unrolled: 1-line block ×4, first 2 shown]
	v_dot4c_i32_i8_e32 v160, v19, v13
	v_dot4c_i32_i8_e32 v161, v143, v10
	ds_read2_b32 v[14:15], v14 offset1:1
	ds_read2_b32 v[16:17], v16 offset1:1
	;; [unrolled: 1-line block ×4, first 2 shown]
	v_mov_b32_e32 v162, 0
	v_mov_b32_e32 v163, 0
	;; [unrolled: 1-line block ×3, first 2 shown]
	s_waitcnt lgkmcnt(3)
	v_dot4c_i32_i8_e32 v161, v14, v7
	s_waitcnt lgkmcnt(0)
	v_dot4c_i32_i8_e32 v162, v142, v6
	v_add_u32_e32 v6, 0x61a8, v129
	v_dot4c_i32_i8_e32 v161, v15, v11
	ds_read2_b32 v[14:15], v6 offset1:1
	v_dot4c_i32_i8_e32 v161, v16, v8
	v_dot4c_i32_i8_e32 v161, v17, v12
	;; [unrolled: 1-line block ×4, first 2 shown]
	v_add_u32_e32 v10, 0x61b0, v129
	v_add_u32_e32 v18, 0x61b8, v129
	v_dot4c_i32_i8_e32 v161, v19, v13
	v_add_u32_e32 v6, 0x20c0, v129
	ds_read2_b32 v[16:17], v10 offset1:1
	ds_read2_b32 v[18:19], v18 offset1:1
	;; [unrolled: 1-line block ×3, first 2 shown]
	s_waitcnt lgkmcnt(3)
	v_dot4c_i32_i8_e32 v162, v14, v7
	v_dot4c_i32_i8_e32 v162, v15, v11
	s_waitcnt lgkmcnt(2)
	v_dot4c_i32_i8_e32 v162, v16, v8
	v_dot4c_i32_i8_e32 v162, v17, v12
	;; [unrolled: 3-line block ×3, first 2 shown]
	ds_read_b128 v[8:11], v127 offset:64
	ds_read_b128 v[12:15], v127 offset:80
	ds_read2_b32 v[6:7], v132 offset1:1
	ds_read2_b32 v[144:145], v131 offset0:2 offset1:3
	ds_read2_b32 v[146:147], v131 offset1:1
	ds_read2_b32 v[148:149], v130 offset0:2 offset1:3
	ds_read2_b32 v[16:17], v129 offset0:18 offset1:19
	s_waitcnt lgkmcnt(6)
	v_dot4c_i32_i8_e32 v163, v20, v8
	s_waitcnt lgkmcnt(5)
	v_dot4c_i32_i8_e32 v163, v21, v12
	ds_read2_b32 v[18:19], v129 offset0:20 offset1:21
	ds_read2_b32 v[20:21], v129 offset0:22 offset1:23
	;; [unrolled: 1-line block ×3, first 2 shown]
	v_dot4c_i32_i8_e32 v164, v142, v8
	s_waitcnt lgkmcnt(3)
	v_dot4c_i32_i8_e32 v163, v16, v9
	v_add_u32_e32 v16, 0x20c8, v129
	v_dot4c_i32_i8_e32 v163, v17, v13
	ds_read2_b32 v[16:17], v16 offset1:1
	s_waitcnt lgkmcnt(3)
	v_dot4c_i32_i8_e32 v163, v18, v10
	v_dot4c_i32_i8_e32 v163, v19, v14
	s_waitcnt lgkmcnt(2)
	v_dot4c_i32_i8_e32 v163, v20, v11
	v_add_u32_e32 v18, 0x20d0, v129
	v_add_u32_e32 v20, 0x20d8, v129
	;; [unrolled: 1-line block ×3, first 2 shown]
	v_dot4c_i32_i8_e32 v163, v21, v15
	v_dot4c_i32_i8_e32 v164, v143, v12
	ds_read2_b32 v[18:19], v18 offset1:1
	ds_read2_b32 v[20:21], v20 offset1:1
	;; [unrolled: 1-line block ×3, first 2 shown]
	s_waitcnt lgkmcnt(3)
	v_dot4c_i32_i8_e32 v164, v16, v9
	v_dot4c_i32_i8_e32 v164, v17, v13
	s_waitcnt lgkmcnt(2)
	v_dot4c_i32_i8_e32 v164, v18, v10
	v_dot4c_i32_i8_e32 v164, v19, v14
	v_mov_b32_e32 v165, 0
	s_waitcnt lgkmcnt(1)
	v_dot4c_i32_i8_e32 v164, v20, v11
	s_waitcnt lgkmcnt(0)
	v_dot4c_i32_i8_e32 v165, v142, v8
	v_add_u32_e32 v16, 0x4148, v129
	v_add_u32_e32 v18, 0x4150, v129
	;; [unrolled: 1-line block ×4, first 2 shown]
	v_dot4c_i32_i8_e32 v164, v21, v15
	ds_read2_b32 v[20:21], v133 offset1:1
	ds_read2_b32 v[152:153], v132 offset0:2 offset1:3
	v_dot4c_i32_i8_e32 v165, v143, v12
	ds_read2_b32 v[16:17], v16 offset1:1
	ds_read2_b32 v[18:19], v18 offset1:1
	;; [unrolled: 1-line block ×4, first 2 shown]
	v_mov_b32_e32 v166, 0
	v_mov_b32_e32 v167, 0
	v_mov_b32_e32 v168, 0
	s_waitcnt lgkmcnt(3)
	v_dot4c_i32_i8_e32 v165, v16, v9
	s_waitcnt lgkmcnt(0)
	v_dot4c_i32_i8_e32 v166, v154, v8
	v_add_u32_e32 v8, 0x61c8, v129
	v_dot4c_i32_i8_e32 v165, v17, v13
	ds_read2_b32 v[16:17], v8 offset1:1
	v_dot4c_i32_i8_e32 v165, v18, v10
	v_dot4c_i32_i8_e32 v165, v19, v14
	;; [unrolled: 1-line block ×4, first 2 shown]
	v_add_u32_e32 v12, 0x61d0, v129
	v_add_u32_e32 v142, 0x61d8, v129
	v_dot4c_i32_i8_e32 v165, v143, v15
	v_add_u32_e32 v8, 0x20e0, v129
	ds_read2_b32 v[18:19], v12 offset1:1
	ds_read2_b32 v[142:143], v142 offset1:1
	;; [unrolled: 1-line block ×3, first 2 shown]
	s_waitcnt lgkmcnt(3)
	v_dot4c_i32_i8_e32 v166, v16, v9
	v_dot4c_i32_i8_e32 v166, v17, v13
	s_waitcnt lgkmcnt(2)
	v_dot4c_i32_i8_e32 v166, v18, v10
	v_dot4c_i32_i8_e32 v166, v19, v14
	ds_read_b128 v[16:19], v127 offset:96
	s_waitcnt lgkmcnt(2)
	v_dot4c_i32_i8_e32 v166, v142, v11
	ds_read_b128 v[8:11], v127 offset:112
	ds_read2_b32 v[12:13], v129 offset0:26 offset1:27
	v_dot4c_i32_i8_e32 v166, v143, v15
	s_waitcnt lgkmcnt(2)
	v_dot4c_i32_i8_e32 v167, v150, v16
	v_dot4c_i32_i8_e32 v168, v154, v16
	s_waitcnt lgkmcnt(1)
	v_dot4c_i32_i8_e32 v167, v151, v8
	ds_read2_b32 v[14:15], v129 offset0:28 offset1:29
	ds_read2_b32 v[142:143], v130 offset1:1
	ds_read2_b32 v[150:151], v129 offset0:30 offset1:31
	s_waitcnt lgkmcnt(3)
	v_dot4c_i32_i8_e32 v167, v12, v17
	v_add_u32_e32 v12, 0x20e8, v129
	v_dot4c_i32_i8_e32 v167, v13, v9
	ds_read2_b32 v[12:13], v12 offset1:1
	s_waitcnt lgkmcnt(3)
	v_dot4c_i32_i8_e32 v167, v14, v18
	v_dot4c_i32_i8_e32 v167, v15, v10
	s_waitcnt lgkmcnt(1)
	v_dot4c_i32_i8_e32 v167, v150, v19
	v_add_u32_e32 v14, 0x20f0, v129
	v_add_u32_e32 v150, 0x20f8, v129
	;; [unrolled: 1-line block ×3, first 2 shown]
	v_dot4c_i32_i8_e32 v167, v151, v11
	v_dot4c_i32_i8_e32 v168, v155, v8
	ds_read2_b32 v[14:15], v14 offset1:1
	ds_read2_b32 v[150:151], v150 offset1:1
	;; [unrolled: 1-line block ×3, first 2 shown]
	s_waitcnt lgkmcnt(3)
	v_dot4c_i32_i8_e32 v168, v12, v17
	v_dot4c_i32_i8_e32 v168, v13, v9
	s_waitcnt lgkmcnt(2)
	v_dot4c_i32_i8_e32 v168, v14, v18
	v_dot4c_i32_i8_e32 v168, v15, v10
	s_waitcnt lgkmcnt(1)
	v_dot4c_i32_i8_e32 v168, v150, v19
	v_cvt_f32_i32_e32 v15, v156
	v_cvt_f32_i32_e32 v14, v25
	v_dot4c_i32_i8_e32 v168, v151, v11
	v_cvt_f32_i32_e32 v151, v160
	v_cvt_f32_i32_e32 v150, v159
	v_mov_b32_e32 v12, v142
	v_mov_b32_e32 v13, v146
	v_pk_mul_f32 v[12:13], v[2:3], v[12:13] op_sel_hi:[0,1]
	v_mov_b32_e32 v146, v143
	v_pk_fma_f32 v[12:13], v[12:13], v[14:15], v[104:105]
	v_pk_mul_f32 v[14:15], v[2:3], v[146:147] op_sel:[1,0]
	v_mov_b32_e32 v104, v148
	v_pk_fma_f32 v[12:13], v[14:15], v[150:151], v[12:13]
	v_cvt_f32_i32_e32 v15, v164
	v_cvt_f32_i32_e32 v14, v163
	v_mov_b32_e32 v105, v144
	v_pk_mul_f32 v[104:105], v[4:5], v[104:105] op_sel_hi:[0,1]
	v_mov_b32_e32 v142, v5
	v_pk_fma_f32 v[12:13], v[104:105], v[14:15], v[12:13]
	v_cvt_f32_i32_e32 v15, v168
	v_cvt_f32_i32_e32 v14, v167
	v_mov_b32_e32 v144, v149
	v_pk_mul_f32 v[104:105], v[142:143], v[144:145] op_sel_hi:[0,1]
	v_add_u32_e32 v5, 0x4168, v129
	v_pk_fma_f32 v[104:105], v[104:105], v[14:15], v[12:13]
	ds_read2_b32 v[12:13], v5 offset1:1
	v_mov_b32_e32 v25, 0
	s_waitcnt lgkmcnt(1)
	v_dot4c_i32_i8_e32 v25, v154, v16
	v_add_u32_e32 v14, 0x4170, v129
	v_dot4c_i32_i8_e32 v25, v155, v8
	v_add_u32_e32 v143, 0x4178, v129
	v_add_u32_e32 v5, 0x61e0, v129
	ds_read2_b32 v[14:15], v14 offset1:1
	ds_read2_b32 v[144:145], v143 offset1:1
	;; [unrolled: 1-line block ×3, first 2 shown]
	s_waitcnt lgkmcnt(3)
	v_dot4c_i32_i8_e32 v25, v12, v17
	v_add_u32_e32 v5, 0x61e8, v129
	v_dot4c_i32_i8_e32 v25, v13, v9
	ds_read2_b32 v[12:13], v5 offset1:1
	s_waitcnt lgkmcnt(3)
	v_dot4c_i32_i8_e32 v25, v14, v18
	v_add_u32_e32 v5, 0x61f0, v129
	v_dot4c_i32_i8_e32 v25, v15, v10
	v_mov_b32_e32 v143, 0
	ds_read2_b32 v[14:15], v5 offset1:1
	s_waitcnt lgkmcnt(3)
	v_dot4c_i32_i8_e32 v25, v144, v19
	s_waitcnt lgkmcnt(2)
	v_dot4c_i32_i8_e32 v143, v146, v16
	v_add_u32_e32 v5, 0x61f8, v129
	v_dot4c_i32_i8_e32 v25, v145, v11
	v_dot4c_i32_i8_e32 v143, v147, v8
	ds_read2_b32 v[144:145], v5 offset1:1
	s_waitcnt lgkmcnt(2)
	v_dot4c_i32_i8_e32 v143, v12, v17
	v_dot4c_i32_i8_e32 v143, v13, v9
	s_waitcnt lgkmcnt(1)
	v_dot4c_i32_i8_e32 v143, v14, v18
	v_dot4c_i32_i8_e32 v143, v15, v10
	;; [unrolled: 3-line block ×3, first 2 shown]
	v_cvt_f32_i32_e32 v11, v158
	v_cvt_f32_i32_e32 v10, v157
	;; [unrolled: 1-line block ×4, first 2 shown]
	v_mov_b32_e32 v8, v6
	v_mov_b32_e32 v9, v20
	v_pk_mul_f32 v[8:9], v[2:3], v[8:9] op_sel_hi:[0,1]
	v_mov_b32_e32 v20, v7
	v_pk_fma_f32 v[8:9], v[8:9], v[10:11], v[100:101]
	v_pk_mul_f32 v[2:3], v[2:3], v[20:21] op_sel:[1,0]
	v_mov_b32_e32 v6, v152
	v_pk_fma_f32 v[2:3], v[2:3], v[12:13], v[8:9]
	v_mov_b32_e32 v7, v106
	v_cvt_f32_i32_e32 v9, v166
	v_cvt_f32_i32_e32 v8, v165
	v_pk_mul_f32 v[4:5], v[4:5], v[6:7] op_sel_hi:[0,1]
	v_cvt_f32_i32_e32 v7, v143
	v_cvt_f32_i32_e32 v6, v25
	v_mov_b32_e32 v106, v153
	v_pk_fma_f32 v[2:3], v[4:5], v[8:9], v[2:3]
	v_pk_mul_f32 v[4:5], v[142:143], v[106:107] op_sel_hi:[0,1]
	v_pk_fma_f32 v[100:101], v[4:5], v[6:7], v[2:3]
	s_cmp_ge_i32 s24, s15
	s_barrier
	s_cbranch_scc1 .LBB181_5
; %bb.13:                               ;   in Loop: Header=BB181_6 Depth=1
	v_add_u32_e32 v2, s14, v134
	v_cmp_gt_i32_e64 s[2:3], s5, v2
	s_and_b64 s[20:21], s[0:1], s[2:3]
	s_and_saveexec_b64 s[2:3], s[20:21]
	s_cbranch_execz .LBB181_15
; %bb.14:                               ;   in Loop: Header=BB181_6 Depth=1
	v_add_u32_e32 v2, s14, v135
	v_mad_i64_i32 v[2:3], s[20:21], v2, 36, v[26:27]
	global_load_dword v2, v[2:3], off offset:4
	s_waitcnt vmcnt(0)
	ds_write_b32 v125, v2
.LBB181_15:                             ;   in Loop: Header=BB181_6 Depth=1
	s_or_b64 exec, exec, s[2:3]
	s_and_saveexec_b64 s[20:21], vcc
	s_cbranch_execz .LBB181_4
; %bb.16:                               ;   in Loop: Header=BB181_6 Depth=1
	v_add3_u32 v2, v22, s14, 4
	v_cmp_gt_i32_e64 s[2:3], s5, v2
	s_and_b64 s[2:3], s[0:1], s[2:3]
	s_and_b64 exec, exec, s[2:3]
	s_cbranch_execz .LBB181_4
; %bb.17:                               ;   in Loop: Header=BB181_6 Depth=1
	global_load_dword v2, v[28:29], off
	s_waitcnt vmcnt(0)
	v_cvt_f32_f16_e32 v2, v2
	ds_write_b32 v126, v2
	s_branch .LBB181_4
.LBB181_18:
	v_mov_b32_e32 v100, v101
	v_mov_b32_e32 v105, v101
	;; [unrolled: 1-line block ×3, first 2 shown]
.LBB181_19:
	s_mul_i32 s0, s7, s4
	s_waitcnt vmcnt(0)
	v_cmp_gt_i32_e32 vcc, s0, v1
	s_and_saveexec_b64 s[0:1], vcc
	s_cbranch_execz .LBB181_28
; %bb.20:
	v_and_b32_e32 v0, 0x3ff, v0
	v_add_u32_e32 v2, s22, v0
	v_mul_lo_u32 v0, v1, s6
	v_cmp_gt_u32_e32 vcc, s6, v2
	s_and_saveexec_b64 s[0:1], vcc
	s_cbranch_execz .LBB181_22
; %bb.21:
	v_add_u32_e32 v4, v0, v2
	v_mov_b32_e32 v5, 0
	v_lshl_add_u64 v[4:5], v[4:5], 2, s[12:13]
	global_store_dword v[4:5], v104, off
.LBB181_22:
	s_or_b64 exec, exec, s[0:1]
	v_add_u32_e32 v1, 32, v2
	v_cmp_gt_u32_e32 vcc, s6, v1
	s_and_saveexec_b64 s[0:1], vcc
	s_cbranch_execz .LBB181_24
; %bb.23:
	v_add_u32_e32 v4, v0, v1
	v_mov_b32_e32 v5, 0
	v_lshl_add_u64 v[4:5], v[4:5], 2, s[12:13]
	global_store_dword v[4:5], v105, off
.LBB181_24:
	s_or_b64 exec, exec, s[0:1]
	v_add_u32_e32 v1, 64, v2
	;; [unrolled: 11-line block ×3, first 2 shown]
	v_cmp_gt_u32_e32 vcc, s6, v1
	s_and_b64 exec, exec, vcc
	s_cbranch_execz .LBB181_28
; %bb.27:
	v_add_u32_e32 v0, v0, v1
	v_mov_b32_e32 v1, 0
	v_lshl_add_u64 v[0:1], v[0:1], 2, s[12:13]
	global_store_dword v[0:1], v101, off
.LBB181_28:
	s_endpgm
	.section	.rodata,"a",@progbits
	.p2align	6, 0x0
	.amdhsa_kernel _ZL8moe_q5_0IfLb0EEvPKvS1_PT_PKiS5_S5_iiiiiii
		.amdhsa_group_segment_fixed_size 38656
		.amdhsa_private_segment_fixed_size 0
		.amdhsa_kernarg_size 76
		.amdhsa_user_sgpr_count 2
		.amdhsa_user_sgpr_dispatch_ptr 0
		.amdhsa_user_sgpr_queue_ptr 0
		.amdhsa_user_sgpr_kernarg_segment_ptr 1
		.amdhsa_user_sgpr_dispatch_id 0
		.amdhsa_user_sgpr_kernarg_preload_length 0
		.amdhsa_user_sgpr_kernarg_preload_offset 0
		.amdhsa_user_sgpr_private_segment_size 0
		.amdhsa_uses_dynamic_stack 0
		.amdhsa_enable_private_segment 0
		.amdhsa_system_sgpr_workgroup_id_x 1
		.amdhsa_system_sgpr_workgroup_id_y 1
		.amdhsa_system_sgpr_workgroup_id_z 0
		.amdhsa_system_sgpr_workgroup_info 0
		.amdhsa_system_vgpr_workitem_id 1
		.amdhsa_next_free_vgpr 169
		.amdhsa_next_free_sgpr 28
		.amdhsa_accum_offset 172
		.amdhsa_reserve_vcc 1
		.amdhsa_float_round_mode_32 0
		.amdhsa_float_round_mode_16_64 0
		.amdhsa_float_denorm_mode_32 3
		.amdhsa_float_denorm_mode_16_64 3
		.amdhsa_dx10_clamp 1
		.amdhsa_ieee_mode 1
		.amdhsa_fp16_overflow 0
		.amdhsa_tg_split 0
		.amdhsa_exception_fp_ieee_invalid_op 0
		.amdhsa_exception_fp_denorm_src 0
		.amdhsa_exception_fp_ieee_div_zero 0
		.amdhsa_exception_fp_ieee_overflow 0
		.amdhsa_exception_fp_ieee_underflow 0
		.amdhsa_exception_fp_ieee_inexact 0
		.amdhsa_exception_int_div_zero 0
	.end_amdhsa_kernel
	.section	.text._ZL8moe_q5_0IfLb0EEvPKvS1_PT_PKiS5_S5_iiiiiii,"axG",@progbits,_ZL8moe_q5_0IfLb0EEvPKvS1_PT_PKiS5_S5_iiiiiii,comdat
.Lfunc_end181:
	.size	_ZL8moe_q5_0IfLb0EEvPKvS1_PT_PKiS5_S5_iiiiiii, .Lfunc_end181-_ZL8moe_q5_0IfLb0EEvPKvS1_PT_PKiS5_S5_iiiiiii
                                        ; -- End function
	.section	.AMDGPU.csdata,"",@progbits
; Kernel info:
; codeLenInByte = 12640
; NumSgprs: 34
; NumVgprs: 169
; NumAgprs: 0
; TotalNumVgprs: 169
; ScratchSize: 0
; MemoryBound: 0
; FloatMode: 240
; IeeeMode: 1
; LDSByteSize: 38656 bytes/workgroup (compile time only)
; SGPRBlocks: 4
; VGPRBlocks: 21
; NumSGPRsForWavesPerEU: 34
; NumVGPRsForWavesPerEU: 169
; AccumOffset: 172
; Occupancy: 1
; WaveLimiterHint : 1
; COMPUTE_PGM_RSRC2:SCRATCH_EN: 0
; COMPUTE_PGM_RSRC2:USER_SGPR: 2
; COMPUTE_PGM_RSRC2:TRAP_HANDLER: 0
; COMPUTE_PGM_RSRC2:TGID_X_EN: 1
; COMPUTE_PGM_RSRC2:TGID_Y_EN: 1
; COMPUTE_PGM_RSRC2:TGID_Z_EN: 0
; COMPUTE_PGM_RSRC2:TIDIG_COMP_CNT: 1
; COMPUTE_PGM_RSRC3_GFX90A:ACCUM_OFFSET: 42
; COMPUTE_PGM_RSRC3_GFX90A:TG_SPLIT: 0
	.section	.text._ZL8moe_q5_0IfLb1EEvPKvS1_PT_PKiS5_S5_iiiiiii,"axG",@progbits,_ZL8moe_q5_0IfLb1EEvPKvS1_PT_PKiS5_S5_iiiiiii,comdat
	.globl	_ZL8moe_q5_0IfLb1EEvPKvS1_PT_PKiS5_S5_iiiiiii ; -- Begin function _ZL8moe_q5_0IfLb1EEvPKvS1_PT_PKiS5_S5_iiiiiii
	.p2align	8
	.type	_ZL8moe_q5_0IfLb1EEvPKvS1_PT_PKiS5_S5_iiiiiii,@function
_ZL8moe_q5_0IfLb1EEvPKvS1_PT_PKiS5_S5_iiiiiii: ; @_ZL8moe_q5_0IfLb1EEvPKvS1_PT_PKiS5_S5_iiiiiii
; %bb.0:
	s_load_dwordx4 s[4:7], s[0:1], 0x18
	s_mov_b32 s8, s3
	s_mov_b32 s9, 0
	s_lshl_b64 s[10:11], s[8:9], 2
	s_waitcnt lgkmcnt(0)
	s_add_u32 s6, s6, s10
	s_addc_u32 s7, s7, s11
	s_load_dword s3, s[6:7], 0x0
	s_waitcnt lgkmcnt(0)
	s_cmpk_gt_u32 s3, 0xff
	s_cbranch_scc1 .LBB182_28
; %bb.1:
	s_load_dwordx2 s[6:7], s[0:1], 0x28
	s_waitcnt lgkmcnt(0)
	s_load_dword s7, s[6:7], 0x0
	s_lshl_b32 s6, s8, 3
	s_waitcnt lgkmcnt(0)
	s_cmp_gt_u32 s6, s7
	s_cbranch_scc1 .LBB182_28
; %bb.2:
	v_bfe_u32 v2, v0, 10, 10
	v_mov_b32_e32 v4, s4
	v_mov_b32_e32 v5, s5
	v_add_u32_e32 v132, s6, v2
	v_mov_b32_e32 v133, 0
	v_lshl_add_u64 v[4:5], v[132:133], 2, v[4:5]
	global_load_dword v1, v[4:5], off
	s_load_dwordx8 s[4:11], s[0:1], 0x30
	s_load_dwordx2 s[16:17], s[0:1], 0x10
	s_waitcnt lgkmcnt(0)
	s_lshl_b32 s11, s2, 7
	s_cmp_lt_i32 s5, 32
	s_cbranch_scc1 .LBB182_18
; %bb.3:
	s_load_dwordx4 s[12:15], s[0:1], 0x0
	s_ashr_i32 s0, s5, 31
	s_lshr_b32 s0, s0, 27
	s_add_i32 s0, s5, s0
	s_ashr_i32 s24, s0, 5
	s_ashr_i32 s0, s8, 31
	s_lshr_b32 s0, s0, 27
	s_add_i32 s0, s8, s0
	s_ashr_i32 s8, s0, 5
	s_not_b32 s0, s11
	s_mul_i32 s18, s3, s4
	s_add_i32 s3, s0, s6
	v_and_b32_e32 v22, 0x3ff, v0
	v_min_i32_e32 v5, s3, v2
	v_lshlrev_b32_e32 v4, 3, v22
	s_movk_i32 s6, 0x104
	v_mul_lo_u32 v9, v5, s24
	v_mad_u64_u32 v[26:27], s[0:1], v5, s6, v[4:5]
	v_add_u32_e32 v5, 8, v2
	v_min_i32_e32 v5, s3, v5
	v_mul_lo_u32 v10, v5, s24
	v_mad_u64_u32 v[28:29], s[0:1], v5, s6, v[4:5]
	v_add_u32_e32 v5, 16, v2
	v_min_i32_e32 v5, s3, v5
	;; [unrolled: 4-line block ×15, first 2 shown]
	v_lshlrev_b32_e32 v6, 2, v2
	v_lshrrev_b32_e32 v27, 3, v22
	v_mad_u64_u32 v[56:57], s[0:1], v5, s6, v[4:5]
	v_add_u32_e32 v4, v27, v6
	v_mul_lo_u32 v55, v5, s24
	v_min_i32_e32 v5, s3, v4
	v_ashrrev_i32_e32 v7, 31, v5
	v_lshrrev_b32_e32 v7, 30, v7
	v_and_b32_e32 v57, 7, v22
	v_mul_lo_u32 v126, v5, s24
	v_add_u32_e32 v7, v5, v7
	v_lshlrev_b32_e32 v133, 5, v5
	v_add_u32_e32 v5, 32, v4
	v_and_b32_e32 v7, -4, v7
	v_lshlrev_b32_e32 v23, 2, v57
	s_mov_b32 s0, 0x8200
	v_min_i32_e32 v5, s3, v5
	v_add3_u32 v132, v7, v23, s0
	v_ashrrev_i32_e32 v7, 31, v5
	v_lshrrev_b32_e32 v7, 30, v7
	v_mul_lo_u32 v128, v5, s24
	v_add_u32_e32 v7, v5, v7
	v_lshlrev_b32_e32 v137, 5, v5
	v_add_u32_e32 v5, 64, v4
	v_and_b32_e32 v7, -4, v7
	v_min_i32_e32 v5, s3, v5
	v_add3_u32 v136, v7, v23, s0
	v_ashrrev_i32_e32 v7, 31, v5
	v_add_u32_e32 v4, 0x60, v4
	v_lshrrev_b32_e32 v7, 30, v7
	v_min_i32_e32 v4, s3, v4
	v_mul_lo_u32 v130, v5, s24
	v_add_u32_e32 v7, v5, v7
	v_lshlrev_b32_e32 v139, 5, v5
	v_ashrrev_i32_e32 v5, 31, v4
	v_lshrrev_b32_e32 v5, 30, v5
	v_add_u32_e32 v5, v4, v5
	v_lshlrev_b32_e32 v3, 2, v22
	v_mov_b32_e32 v25, 0
	v_and_b32_e32 v5, -4, v5
	v_and_b32_e32 v7, -4, v7
	v_mul_lo_u32 v134, v4, s24
	v_add3_u32 v140, v5, v23, s0
	v_lshlrev_b32_e32 v141, 5, v4
	v_and_b32_e32 v4, 28, v3
	v_mov_b32_e32 v5, v25
	v_and_b32_e32 v24, 12, v3
	v_add3_u32 v138, v7, v23, s0
	v_and_b32_e32 v7, 31, v22
	s_waitcnt lgkmcnt(0)
	v_lshl_add_u64 v[58:59], s[14:15], 0, v[4:5]
	v_lshlrev_b32_e32 v3, 7, v2
	v_mov_b32_e32 v5, 0x9680
	v_lshl_or_b32 v4, v7, 2, v3
	v_add_u32_e32 v33, 0x9280, v3
	v_lshl_add_u32 v35, v2, 4, v5
	v_and_b32_e32 v2, 0xfc, v22
	v_lshlrev_b32_e32 v3, 5, v22
	v_add_u32_e32 v29, 0x9280, v4
	v_or_b32_e32 v4, v6, v22
	v_add3_u32 v39, v3, v2, s0
	v_add_u32_e32 v2, 32, v22
	v_lshl_add_u32 v31, v4, 2, v5
	v_and_b32_e32 v3, 0x1fc, v2
	v_lshlrev_b32_e32 v4, 5, v2
	v_add3_u32 v41, v4, v3, s0
	v_add_u32_e32 v3, 64, v22
	v_and_b32_e32 v4, 0x1fc, v3
	v_lshlrev_b32_e32 v3, 5, v3
	s_abs_i32 s3, s10
	v_add3_u32 v43, v3, v4, s0
	v_cvt_f32_u32_e32 v4, s3
	v_add_u32_e32 v3, 0x60, v22
	v_and_b32_e32 v5, 0x1fc, v3
	v_lshlrev_b32_e32 v3, 5, v3
	v_add3_u32 v45, v3, v5, s0
	v_rcp_iflag_f32_e32 v3, v4
	s_sub_i32 s0, 0, s3
	s_waitcnt vmcnt(0)
	v_sub_u32_e32 v4, 0, v1
	v_max_i32_e32 v4, v1, v4
	v_mul_f32_e32 v3, 0x4f7ffffe, v3
	v_cvt_u32_f32_e32 v3, v3
	v_lshrrev_b32_e32 v47, 3, v2
	v_xor_b32_e32 v2, s10, v1
	v_ashrrev_i32_e32 v2, 31, v2
	v_mul_lo_u32 v5, s0, v3
	v_mul_hi_u32 v5, v3, v5
	v_add_u32_e32 v3, v3, v5
	v_mul_hi_u32 v3, v4, v3
	v_mul_lo_u32 v5, v3, s3
	v_sub_u32_e32 v4, v4, v5
	v_add_u32_e32 v5, 1, v3
	v_cmp_le_u32_e64 s[0:1], s3, v4
	v_mov_b32_e32 v23, v25
	s_mul_i32 s2, s24, s11
	v_cndmask_b32_e64 v3, v3, v5, s[0:1]
	v_subrev_u32_e32 v5, s3, v4
	v_cndmask_b32_e64 v4, v4, v5, s[0:1]
	v_add_u32_e32 v5, 1, v3
	v_cmp_le_u32_e64 s[0:1], s3, v4
	s_mul_hi_i32 s3, s2, 22
	s_mul_i32 s6, s2, 22
	v_cndmask_b32_e64 v3, v3, v5, s[0:1]
	v_xor_b32_e32 v3, v3, v2
	v_sub_u32_e32 v2, v3, v2
	v_cmp_gt_i32_e64 s[0:1], s7, v2
	v_mul_lo_u32 v2, v2, s8
	v_ashrrev_i32_e32 v3, 31, v2
	v_lshl_add_u64 v[4:5], v[2:3], 0, v[22:23]
	v_mad_u64_u32 v[6:7], s[20:21], v4, 36, s[14:15]
	v_lshrrev_b32_e32 v8, 2, v22
	v_mad_i32_i24 v7, v5, 36, v7
	s_mov_b64 s[20:21], 0x90
	v_add_u32_e32 v23, v22, v2
	v_add_u32_e32 v49, v47, v2
	;; [unrolled: 1-line block ×3, first 2 shown]
	v_mov_b32_e32 v2, s6
	v_mov_b32_e32 v3, s3
	v_lshl_add_u64 v[60:61], v[6:7], 0, s[20:21]
	v_mad_u64_u32 v[2:3], s[20:21], v8, 22, v[2:3]
	v_mad_i64_i32 v[4:5], s[20:21], v9, 22, v[2:3]
	v_lshl_add_u64 v[6:7], v[4:5], 0, v[24:25]
	v_lshl_add_u64 v[64:65], s[12:13], 0, v[4:5]
	v_mad_i64_i32 v[4:5], s[20:21], v10, 22, v[2:3]
	v_lshl_add_u64 v[4:5], v[4:5], 0, s[12:13]
	v_lshl_add_u64 v[66:67], v[4:5], 0, v[24:25]
	v_lshl_add_u64 v[68:69], v[4:5], 0, 2
	v_mad_i64_i32 v[4:5], s[20:21], v11, 22, v[2:3]
	v_lshl_add_u64 v[4:5], v[4:5], 0, s[12:13]
	;; [unrolled: 4-line block ×13, first 2 shown]
	v_lshl_add_u64 v[114:115], v[4:5], 0, v[24:25]
	v_lshl_add_u64 v[116:117], v[4:5], 0, 2
	v_mad_i64_i32 v[4:5], s[20:21], v53, 22, v[2:3]
	v_mad_i64_i32 v[2:3], s[20:21], v55, 22, v[2:3]
	v_lshl_add_u64 v[2:3], v[2:3], 0, s[12:13]
	v_lshl_add_u64 v[122:123], v[2:3], 0, v[24:25]
	;; [unrolled: 1-line block ×3, first 2 shown]
	v_mad_i64_i32 v[2:3], s[20:21], v126, 22, 0
	v_mad_i64_i32 v[2:3], s[20:21], s2, 22, v[2:3]
	v_mad_u64_u32 v[2:3], s[20:21], v57, 22, v[2:3]
	v_lshl_add_u64 v[126:127], s[12:13], 0, v[2:3]
	v_mad_i64_i32 v[2:3], s[20:21], v128, 22, 0
	v_mad_i64_i32 v[2:3], s[20:21], s2, 22, v[2:3]
	v_mad_u64_u32 v[2:3], s[20:21], v57, 22, v[2:3]
	v_lshl_add_u64 v[128:129], s[12:13], 0, v[2:3]
	;; [unrolled: 4-line block ×3, first 2 shown]
	v_mad_i64_i32 v[2:3], s[20:21], v134, 22, 0
	v_mad_i64_i32 v[2:3], s[2:3], s2, 22, v[2:3]
	v_lshl_add_u64 v[4:5], v[4:5], 0, s[12:13]
	v_mad_u64_u32 v[2:3], s[2:3], v57, 22, v[2:3]
	s_ashr_i32 s19, s18, 31
	s_mov_b32 s4, 0
	v_cmp_gt_u32_e32 vcc, 4, v22
	v_mul_u32_u24_e32 v37, 0x104, v22
	v_lshl_add_u64 v[62:63], s[12:13], 0, v[6:7]
	v_lshl_add_u64 v[118:119], v[4:5], 0, v[24:25]
	;; [unrolled: 1-line block ×4, first 2 shown]
	s_movk_i32 s6, 0x80
	s_movk_i32 s25, 0x1f00
	;; [unrolled: 1-line block ×4, first 2 shown]
	v_add_u32_e32 v53, v132, v133
	v_add_u32_e32 v55, v136, v137
	;; [unrolled: 1-line block ×4, first 2 shown]
	s_mov_b64 s[12:13], 0x120
	s_mov_b64 s[20:21], 0xb0
	v_mov_b32_e32 v141, 8
	v_mov_b32_e32 v136, v25
	;; [unrolled: 1-line block ×5, first 2 shown]
	s_branch .LBB182_6
.LBB182_4:                              ;   in Loop: Header=BB182_6 Depth=1
	s_or_b64 exec, exec, s[22:23]
	s_waitcnt lgkmcnt(0)
	s_barrier
	ds_read_b128 v[2:5], v35
	ds_read2_b32 v[138:139], v37 offset0:32 offset1:33
	ds_read_b128 v[14:17], v33
	ds_read_b128 v[18:21], v33 offset:16
	ds_read_b128 v[6:9], v33 offset:32
	;; [unrolled: 1-line block ×3, first 2 shown]
	ds_read2_b32 v[142:143], v37 offset0:34 offset1:35
	v_mov_b32_e32 v25, 0
	s_waitcnt lgkmcnt(4)
	v_dot4c_i32_i8_e32 v25, v138, v14
	s_waitcnt lgkmcnt(3)
	v_dot4c_i32_i8_e32 v25, v139, v18
	ds_read2_b32 v[138:139], v37 offset0:36 offset1:37
	ds_read2_b32 v[144:145], v37 offset0:38 offset1:39
	;; [unrolled: 1-line block ×3, first 2 shown]
	s_waitcnt lgkmcnt(3)
	v_dot4c_i32_i8_e32 v25, v142, v15
	v_dot4c_i32_i8_e32 v25, v143, v19
	s_waitcnt lgkmcnt(2)
	v_dot4c_i32_i8_e32 v25, v138, v16
	v_add_u32_e32 v138, 0x2100, v37
	ds_read2_b32 v[142:143], v138 offset1:1
	v_mov_b32_e32 v156, 0
	v_dot4c_i32_i8_e32 v25, v139, v20
	ds_read2_b32 v[138:139], v45 offset0:6 offset1:7
	s_waitcnt lgkmcnt(3)
	v_dot4c_i32_i8_e32 v25, v144, v17
	s_waitcnt lgkmcnt(1)
	v_dot4c_i32_i8_e32 v156, v142, v14
	v_add_u32_e32 v142, 0x2108, v37
	v_dot4c_i32_i8_e32 v156, v143, v18
	ds_read2_b32 v[142:143], v142 offset1:1
	v_add_u32_e32 v144, 0x2110, v37
	v_add_u32_e32 v148, 0x2118, v37
	;; [unrolled: 1-line block ×3, first 2 shown]
	v_dot4c_i32_i8_e32 v25, v145, v21
	ds_read2_b32 v[144:145], v144 offset1:1
	ds_read2_b32 v[148:149], v148 offset1:1
	;; [unrolled: 1-line block ×3, first 2 shown]
	s_waitcnt lgkmcnt(3)
	v_dot4c_i32_i8_e32 v156, v142, v15
	v_dot4c_i32_i8_e32 v156, v143, v19
	s_waitcnt lgkmcnt(2)
	v_dot4c_i32_i8_e32 v156, v144, v16
	v_dot4c_i32_i8_e32 v156, v145, v20
	v_mov_b32_e32 v157, 0
	s_waitcnt lgkmcnt(1)
	v_dot4c_i32_i8_e32 v156, v148, v17
	s_waitcnt lgkmcnt(0)
	v_dot4c_i32_i8_e32 v157, v150, v14
	v_add_u32_e32 v142, 0x4188, v37
	v_add_u32_e32 v144, 0x4190, v37
	;; [unrolled: 1-line block ×4, first 2 shown]
	v_dot4c_i32_i8_e32 v156, v149, v21
	v_dot4c_i32_i8_e32 v157, v151, v18
	ds_read2_b32 v[142:143], v142 offset1:1
	ds_read2_b32 v[144:145], v144 offset1:1
	;; [unrolled: 1-line block ×4, first 2 shown]
	v_mov_b32_e32 v158, 0
	v_mov_b32_e32 v159, 0
	v_dot4c_i32_i8_e32 v159, v146, v6
	s_waitcnt lgkmcnt(3)
	v_dot4c_i32_i8_e32 v157, v142, v15
	s_waitcnt lgkmcnt(0)
	v_dot4c_i32_i8_e32 v158, v150, v14
	v_add_u32_e32 v14, 0x6208, v37
	v_dot4c_i32_i8_e32 v157, v143, v19
	ds_read2_b32 v[142:143], v14 offset1:1
	v_dot4c_i32_i8_e32 v157, v144, v16
	v_dot4c_i32_i8_e32 v157, v145, v20
	;; [unrolled: 1-line block ×4, first 2 shown]
	v_add_u32_e32 v18, 0x6210, v37
	v_add_u32_e32 v148, 0x6218, v37
	v_dot4c_i32_i8_e32 v157, v149, v21
	v_add_u32_e32 v14, 0x2120, v37
	ds_read2_b32 v[144:145], v18 offset1:1
	ds_read2_b32 v[148:149], v148 offset1:1
	;; [unrolled: 1-line block ×3, first 2 shown]
	s_waitcnt lgkmcnt(3)
	v_dot4c_i32_i8_e32 v158, v142, v15
	v_dot4c_i32_i8_e32 v158, v143, v19
	ds_read2_b32 v[14:15], v37 offset0:42 offset1:43
	s_waitcnt lgkmcnt(3)
	v_dot4c_i32_i8_e32 v158, v144, v16
	v_dot4c_i32_i8_e32 v158, v145, v20
	s_waitcnt lgkmcnt(2)
	v_dot4c_i32_i8_e32 v158, v148, v17
	v_dot4c_i32_i8_e32 v158, v149, v21
	;; [unrolled: 1-line block ×3, first 2 shown]
	ds_read2_b32 v[16:17], v37 offset0:44 offset1:45
	ds_read2_b32 v[18:19], v37 offset0:46 offset1:47
	;; [unrolled: 1-line block ×3, first 2 shown]
	s_waitcnt lgkmcnt(3)
	v_dot4c_i32_i8_e32 v159, v14, v7
	v_add_u32_e32 v14, 0x2128, v37
	v_dot4c_i32_i8_e32 v159, v15, v11
	ds_read2_b32 v[14:15], v14 offset1:1
	s_waitcnt lgkmcnt(3)
	v_dot4c_i32_i8_e32 v159, v16, v8
	v_dot4c_i32_i8_e32 v159, v17, v12
	v_mov_b32_e32 v160, 0
	s_waitcnt lgkmcnt(2)
	v_dot4c_i32_i8_e32 v159, v18, v9
	v_dot4c_i32_i8_e32 v160, v150, v6
	v_add_u32_e32 v16, 0x2130, v37
	v_add_u32_e32 v18, 0x2138, v37
	;; [unrolled: 1-line block ×3, first 2 shown]
	v_dot4c_i32_i8_e32 v159, v19, v13
	v_dot4c_i32_i8_e32 v160, v151, v10
	ds_read2_b32 v[16:17], v16 offset1:1
	ds_read2_b32 v[18:19], v18 offset1:1
	;; [unrolled: 1-line block ×3, first 2 shown]
	s_waitcnt lgkmcnt(3)
	v_dot4c_i32_i8_e32 v160, v14, v7
	v_dot4c_i32_i8_e32 v160, v15, v11
	s_waitcnt lgkmcnt(2)
	v_dot4c_i32_i8_e32 v160, v16, v8
	v_dot4c_i32_i8_e32 v160, v17, v12
	v_mov_b32_e32 v161, 0
	s_waitcnt lgkmcnt(1)
	v_dot4c_i32_i8_e32 v160, v18, v9
	s_waitcnt lgkmcnt(0)
	v_dot4c_i32_i8_e32 v161, v142, v6
	v_add_u32_e32 v14, 0x41a8, v37
	v_add_u32_e32 v16, 0x41b0, v37
	;; [unrolled: 1-line block ×4, first 2 shown]
	v_dot4c_i32_i8_e32 v160, v19, v13
	v_dot4c_i32_i8_e32 v161, v143, v10
	ds_read2_b32 v[14:15], v14 offset1:1
	ds_read2_b32 v[16:17], v16 offset1:1
	;; [unrolled: 1-line block ×4, first 2 shown]
	v_mov_b32_e32 v162, 0
	v_mov_b32_e32 v163, 0
	;; [unrolled: 1-line block ×3, first 2 shown]
	s_waitcnt lgkmcnt(3)
	v_dot4c_i32_i8_e32 v161, v14, v7
	s_waitcnt lgkmcnt(0)
	v_dot4c_i32_i8_e32 v162, v142, v6
	v_add_u32_e32 v6, 0x6228, v37
	v_dot4c_i32_i8_e32 v161, v15, v11
	ds_read2_b32 v[14:15], v6 offset1:1
	v_dot4c_i32_i8_e32 v161, v16, v8
	v_dot4c_i32_i8_e32 v161, v17, v12
	;; [unrolled: 1-line block ×4, first 2 shown]
	v_add_u32_e32 v10, 0x6230, v37
	v_add_u32_e32 v18, 0x6238, v37
	v_dot4c_i32_i8_e32 v161, v19, v13
	v_add_u32_e32 v6, 0x2140, v37
	ds_read2_b32 v[16:17], v10 offset1:1
	ds_read2_b32 v[18:19], v18 offset1:1
	;; [unrolled: 1-line block ×3, first 2 shown]
	s_waitcnt lgkmcnt(3)
	v_dot4c_i32_i8_e32 v162, v14, v7
	v_dot4c_i32_i8_e32 v162, v15, v11
	s_waitcnt lgkmcnt(2)
	v_dot4c_i32_i8_e32 v162, v16, v8
	v_dot4c_i32_i8_e32 v162, v17, v12
	s_waitcnt lgkmcnt(1)
	v_dot4c_i32_i8_e32 v162, v18, v9
	v_dot4c_i32_i8_e32 v162, v19, v13
	ds_read_b128 v[8:11], v33 offset:64
	ds_read_b128 v[12:15], v33 offset:80
	ds_read2_b32 v[6:7], v43 offset0:4 offset1:5
	ds_read2_b32 v[144:145], v41 offset0:6 offset1:7
	;; [unrolled: 1-line block ×5, first 2 shown]
	s_waitcnt lgkmcnt(6)
	v_dot4c_i32_i8_e32 v163, v20, v8
	s_waitcnt lgkmcnt(5)
	v_dot4c_i32_i8_e32 v163, v21, v12
	ds_read2_b32 v[18:19], v37 offset0:52 offset1:53
	ds_read2_b32 v[20:21], v37 offset0:54 offset1:55
	;; [unrolled: 1-line block ×3, first 2 shown]
	v_dot4c_i32_i8_e32 v164, v142, v8
	s_waitcnt lgkmcnt(3)
	v_dot4c_i32_i8_e32 v163, v16, v9
	v_add_u32_e32 v16, 0x2148, v37
	v_dot4c_i32_i8_e32 v163, v17, v13
	ds_read2_b32 v[16:17], v16 offset1:1
	s_waitcnt lgkmcnt(3)
	v_dot4c_i32_i8_e32 v163, v18, v10
	v_dot4c_i32_i8_e32 v163, v19, v14
	s_waitcnt lgkmcnt(2)
	v_dot4c_i32_i8_e32 v163, v20, v11
	v_add_u32_e32 v18, 0x2150, v37
	v_add_u32_e32 v20, 0x2158, v37
	;; [unrolled: 1-line block ×3, first 2 shown]
	v_dot4c_i32_i8_e32 v163, v21, v15
	v_dot4c_i32_i8_e32 v164, v143, v12
	ds_read2_b32 v[18:19], v18 offset1:1
	ds_read2_b32 v[20:21], v20 offset1:1
	;; [unrolled: 1-line block ×3, first 2 shown]
	s_waitcnt lgkmcnt(3)
	v_dot4c_i32_i8_e32 v164, v16, v9
	v_dot4c_i32_i8_e32 v164, v17, v13
	s_waitcnt lgkmcnt(2)
	v_dot4c_i32_i8_e32 v164, v18, v10
	v_dot4c_i32_i8_e32 v164, v19, v14
	v_mov_b32_e32 v165, 0
	s_waitcnt lgkmcnt(1)
	v_dot4c_i32_i8_e32 v164, v20, v11
	s_waitcnt lgkmcnt(0)
	v_dot4c_i32_i8_e32 v165, v142, v8
	v_add_u32_e32 v16, 0x41c8, v37
	v_add_u32_e32 v18, 0x41d0, v37
	;; [unrolled: 1-line block ×4, first 2 shown]
	v_dot4c_i32_i8_e32 v164, v21, v15
	ds_read2_b32 v[20:21], v45 offset0:4 offset1:5
	ds_read2_b32 v[152:153], v43 offset0:6 offset1:7
	v_dot4c_i32_i8_e32 v165, v143, v12
	ds_read2_b32 v[16:17], v16 offset1:1
	ds_read2_b32 v[18:19], v18 offset1:1
	;; [unrolled: 1-line block ×4, first 2 shown]
	v_mov_b32_e32 v166, 0
	v_mov_b32_e32 v167, 0
	;; [unrolled: 1-line block ×3, first 2 shown]
	s_waitcnt lgkmcnt(3)
	v_dot4c_i32_i8_e32 v165, v16, v9
	s_waitcnt lgkmcnt(0)
	v_dot4c_i32_i8_e32 v166, v154, v8
	v_add_u32_e32 v8, 0x6248, v37
	v_dot4c_i32_i8_e32 v165, v17, v13
	ds_read2_b32 v[16:17], v8 offset1:1
	v_dot4c_i32_i8_e32 v165, v18, v10
	v_dot4c_i32_i8_e32 v165, v19, v14
	;; [unrolled: 1-line block ×4, first 2 shown]
	v_add_u32_e32 v12, 0x6250, v37
	v_add_u32_e32 v142, 0x6258, v37
	v_dot4c_i32_i8_e32 v165, v143, v15
	v_add_u32_e32 v8, 0x2160, v37
	ds_read2_b32 v[18:19], v12 offset1:1
	ds_read2_b32 v[142:143], v142 offset1:1
	;; [unrolled: 1-line block ×3, first 2 shown]
	s_waitcnt lgkmcnt(3)
	v_dot4c_i32_i8_e32 v166, v16, v9
	v_dot4c_i32_i8_e32 v166, v17, v13
	s_waitcnt lgkmcnt(2)
	v_dot4c_i32_i8_e32 v166, v18, v10
	v_dot4c_i32_i8_e32 v166, v19, v14
	ds_read_b128 v[16:19], v33 offset:96
	s_waitcnt lgkmcnt(2)
	v_dot4c_i32_i8_e32 v166, v142, v11
	ds_read_b128 v[8:11], v33 offset:112
	ds_read2_b32 v[12:13], v37 offset0:58 offset1:59
	v_dot4c_i32_i8_e32 v166, v143, v15
	s_waitcnt lgkmcnt(2)
	v_dot4c_i32_i8_e32 v167, v150, v16
	v_dot4c_i32_i8_e32 v168, v154, v16
	s_waitcnt lgkmcnt(1)
	v_dot4c_i32_i8_e32 v167, v151, v8
	ds_read2_b32 v[14:15], v37 offset0:60 offset1:61
	ds_read2_b32 v[142:143], v39 offset0:4 offset1:5
	;; [unrolled: 1-line block ×3, first 2 shown]
	s_waitcnt lgkmcnt(3)
	v_dot4c_i32_i8_e32 v167, v12, v17
	v_add_u32_e32 v12, 0x2168, v37
	v_dot4c_i32_i8_e32 v167, v13, v9
	ds_read2_b32 v[12:13], v12 offset1:1
	s_waitcnt lgkmcnt(3)
	v_dot4c_i32_i8_e32 v167, v14, v18
	v_dot4c_i32_i8_e32 v167, v15, v10
	s_waitcnt lgkmcnt(1)
	v_dot4c_i32_i8_e32 v167, v150, v19
	v_add_u32_e32 v14, 0x2170, v37
	v_add_u32_e32 v150, 0x2178, v37
	;; [unrolled: 1-line block ×3, first 2 shown]
	v_dot4c_i32_i8_e32 v167, v151, v11
	v_dot4c_i32_i8_e32 v168, v155, v8
	ds_read2_b32 v[14:15], v14 offset1:1
	ds_read2_b32 v[150:151], v150 offset1:1
	;; [unrolled: 1-line block ×3, first 2 shown]
	s_waitcnt lgkmcnt(3)
	v_dot4c_i32_i8_e32 v168, v12, v17
	v_dot4c_i32_i8_e32 v168, v13, v9
	s_waitcnt lgkmcnt(2)
	v_dot4c_i32_i8_e32 v168, v14, v18
	v_dot4c_i32_i8_e32 v168, v15, v10
	s_waitcnt lgkmcnt(1)
	v_dot4c_i32_i8_e32 v168, v150, v19
	v_cvt_f32_i32_e32 v15, v156
	v_cvt_f32_i32_e32 v14, v25
	v_dot4c_i32_i8_e32 v168, v151, v11
	v_cvt_f32_i32_e32 v151, v160
	v_cvt_f32_i32_e32 v150, v159
	v_mov_b32_e32 v12, v142
	v_mov_b32_e32 v13, v146
	v_pk_mul_f32 v[12:13], v[2:3], v[12:13] op_sel_hi:[0,1]
	v_mov_b32_e32 v146, v143
	v_pk_fma_f32 v[12:13], v[12:13], v[14:15], v[136:137]
	v_pk_mul_f32 v[14:15], v[2:3], v[146:147] op_sel:[1,0]
	v_mov_b32_e32 v136, v148
	v_pk_fma_f32 v[12:13], v[14:15], v[150:151], v[12:13]
	v_cvt_f32_i32_e32 v15, v164
	v_cvt_f32_i32_e32 v14, v163
	v_mov_b32_e32 v137, v144
	v_pk_mul_f32 v[136:137], v[4:5], v[136:137] op_sel_hi:[0,1]
	v_mov_b32_e32 v142, v5
	v_pk_fma_f32 v[12:13], v[136:137], v[14:15], v[12:13]
	v_cvt_f32_i32_e32 v15, v168
	v_cvt_f32_i32_e32 v14, v167
	v_mov_b32_e32 v144, v149
	v_pk_mul_f32 v[136:137], v[142:143], v[144:145] op_sel_hi:[0,1]
	v_add_u32_e32 v5, 0x41e8, v37
	v_pk_fma_f32 v[136:137], v[136:137], v[14:15], v[12:13]
	ds_read2_b32 v[12:13], v5 offset1:1
	v_mov_b32_e32 v25, 0
	s_waitcnt lgkmcnt(1)
	v_dot4c_i32_i8_e32 v25, v154, v16
	v_add_u32_e32 v14, 0x41f0, v37
	v_dot4c_i32_i8_e32 v25, v155, v8
	v_add_u32_e32 v143, 0x41f8, v37
	v_add_u32_e32 v5, 0x6260, v37
	ds_read2_b32 v[14:15], v14 offset1:1
	ds_read2_b32 v[144:145], v143 offset1:1
	;; [unrolled: 1-line block ×3, first 2 shown]
	s_waitcnt lgkmcnt(3)
	v_dot4c_i32_i8_e32 v25, v12, v17
	v_add_u32_e32 v5, 0x6268, v37
	v_dot4c_i32_i8_e32 v25, v13, v9
	ds_read2_b32 v[12:13], v5 offset1:1
	s_waitcnt lgkmcnt(3)
	v_dot4c_i32_i8_e32 v25, v14, v18
	v_add_u32_e32 v5, 0x6270, v37
	v_dot4c_i32_i8_e32 v25, v15, v10
	v_mov_b32_e32 v143, 0
	ds_read2_b32 v[14:15], v5 offset1:1
	s_waitcnt lgkmcnt(3)
	v_dot4c_i32_i8_e32 v25, v144, v19
	s_waitcnt lgkmcnt(2)
	v_dot4c_i32_i8_e32 v143, v146, v16
	v_add_u32_e32 v5, 0x6278, v37
	v_dot4c_i32_i8_e32 v25, v145, v11
	v_dot4c_i32_i8_e32 v143, v147, v8
	ds_read2_b32 v[144:145], v5 offset1:1
	s_waitcnt lgkmcnt(2)
	v_dot4c_i32_i8_e32 v143, v12, v17
	v_dot4c_i32_i8_e32 v143, v13, v9
	s_waitcnt lgkmcnt(1)
	v_dot4c_i32_i8_e32 v143, v14, v18
	v_dot4c_i32_i8_e32 v143, v15, v10
	;; [unrolled: 3-line block ×3, first 2 shown]
	v_cvt_f32_i32_e32 v11, v158
	v_cvt_f32_i32_e32 v10, v157
	;; [unrolled: 1-line block ×4, first 2 shown]
	v_mov_b32_e32 v8, v6
	v_mov_b32_e32 v9, v20
	v_pk_mul_f32 v[8:9], v[2:3], v[8:9] op_sel_hi:[0,1]
	v_mov_b32_e32 v20, v7
	v_pk_fma_f32 v[8:9], v[8:9], v[10:11], v[132:133]
	v_pk_mul_f32 v[2:3], v[2:3], v[20:21] op_sel:[1,0]
	v_mov_b32_e32 v6, v152
	v_pk_fma_f32 v[2:3], v[2:3], v[12:13], v[8:9]
	v_mov_b32_e32 v7, v138
	v_cvt_f32_i32_e32 v9, v166
	v_cvt_f32_i32_e32 v8, v165
	v_pk_mul_f32 v[4:5], v[4:5], v[6:7] op_sel_hi:[0,1]
	v_cvt_f32_i32_e32 v7, v143
	v_cvt_f32_i32_e32 v6, v25
	v_mov_b32_e32 v138, v153
	v_pk_fma_f32 v[2:3], v[4:5], v[8:9], v[2:3]
	v_pk_mul_f32 v[4:5], v[142:143], v[138:139] op_sel_hi:[0,1]
	v_pk_fma_f32 v[132:133], v[4:5], v[6:7], v[2:3]
	s_barrier
.LBB182_5:                              ;   in Loop: Header=BB182_6 Depth=1
	s_add_i32 s4, s4, 8
	s_addk_i32 s6, 0x100
	v_lshl_add_u64 v[60:61], v[60:61], 0, s[12:13]
	v_lshl_add_u64 v[62:63], v[62:63], 0, s[20:21]
	v_lshl_add_u64 v[64:65], v[64:65], 0, s[20:21]
	v_lshl_add_u64 v[66:67], v[66:67], 0, s[20:21]
	v_lshl_add_u64 v[68:69], v[68:69], 0, s[20:21]
	v_lshl_add_u64 v[70:71], v[70:71], 0, s[20:21]
	v_lshl_add_u64 v[72:73], v[72:73], 0, s[20:21]
	v_lshl_add_u64 v[74:75], v[74:75], 0, s[20:21]
	v_lshl_add_u64 v[76:77], v[76:77], 0, s[20:21]
	v_lshl_add_u64 v[78:79], v[78:79], 0, s[20:21]
	v_lshl_add_u64 v[80:81], v[80:81], 0, s[20:21]
	v_lshl_add_u64 v[82:83], v[82:83], 0, s[20:21]
	v_lshl_add_u64 v[84:85], v[84:85], 0, s[20:21]
	v_lshl_add_u64 v[86:87], v[86:87], 0, s[20:21]
	v_lshl_add_u64 v[88:89], v[88:89], 0, s[20:21]
	v_lshl_add_u64 v[90:91], v[90:91], 0, s[20:21]
	v_lshl_add_u64 v[92:93], v[92:93], 0, s[20:21]
	v_lshl_add_u64 v[94:95], v[94:95], 0, s[20:21]
	v_lshl_add_u64 v[96:97], v[96:97], 0, s[20:21]
	v_lshl_add_u64 v[98:99], v[98:99], 0, s[20:21]
	v_lshl_add_u64 v[100:101], v[100:101], 0, s[20:21]
	v_lshl_add_u64 v[102:103], v[102:103], 0, s[20:21]
	v_lshl_add_u64 v[104:105], v[104:105], 0, s[20:21]
	v_lshl_add_u64 v[106:107], v[106:107], 0, s[20:21]
	v_lshl_add_u64 v[108:109], v[108:109], 0, s[20:21]
	v_lshl_add_u64 v[110:111], v[110:111], 0, s[20:21]
	v_lshl_add_u64 v[112:113], v[112:113], 0, s[20:21]
	v_lshl_add_u64 v[114:115], v[114:115], 0, s[20:21]
	v_lshl_add_u64 v[116:117], v[116:117], 0, s[20:21]
	v_lshl_add_u64 v[118:119], v[118:119], 0, s[20:21]
	v_lshl_add_u64 v[120:121], v[120:121], 0, s[20:21]
	v_lshl_add_u64 v[122:123], v[122:123], 0, s[20:21]
	v_lshl_add_u64 v[124:125], v[124:125], 0, s[20:21]
	v_lshl_add_u64 v[126:127], v[126:127], 0, s[20:21]
	v_lshl_add_u64 v[128:129], v[128:129], 0, s[20:21]
	v_lshl_add_u64 v[130:131], v[130:131], 0, s[20:21]
	s_cmp_ge_i32 s4, s24
	v_lshl_add_u64 v[134:135], v[134:135], 0, s[20:21]
	s_cbranch_scc1 .LBB182_19
.LBB182_6:                              ; =>This Inner Loop Header: Depth=1
	v_lshl_add_u64 v[2:3], v[62:63], 0, s[18:19]
	global_load_dword v10, v[2:3], off offset:6
	v_lshl_add_u64 v[2:3], v[64:65], 0, s[18:19]
	global_load_dword v11, v[2:3], off offset:2
	v_lshl_add_u64 v[4:5], v[68:69], 0, s[18:19]
	v_lshl_add_u64 v[2:3], v[66:67], 0, s[18:19]
	global_load_dword v12, v[4:5], off
	global_load_dword v13, v[2:3], off offset:6
	v_lshl_add_u64 v[2:3], v[70:71], 0, s[18:19]
	v_lshl_add_u64 v[6:7], v[74:75], 0, s[18:19]
	;; [unrolled: 1-line block ×4, first 2 shown]
	global_load_dword v14, v[2:3], off offset:6
	s_nop 0
	global_load_dword v2, v[4:5], off
	s_nop 0
	global_load_dword v6, v[6:7], off offset:6
	s_nop 0
	global_load_dword v7, v[8:9], off
	s_add_i32 s2, s6, 0xffffff80
	s_cmp_lt_i32 s2, s5
	s_waitcnt vmcnt(7)
	v_and_b32_e32 v4, 0xf0f0f0f, v10
	v_lshrrev_b32_e32 v5, 4, v10
	s_waitcnt vmcnt(6)
	v_ashrrev_i32_e32 v3, v24, v11
	v_lshlrev_b32_e32 v11, 4, v3
	s_waitcnt vmcnt(5)
	v_ashrrev_i32_e32 v8, v24, v12
	s_waitcnt vmcnt(4)
	v_and_b32_e32 v9, 0xf0f0f0f, v13
	v_lshrrev_b32_e32 v10, 4, v13
	v_lshlrev_b32_e32 v12, 11, v3
	v_lshlrev_b32_e32 v13, 18, v3
	;; [unrolled: 1-line block ×3, first 2 shown]
	v_lshrrev_b32_e32 v16, 12, v3
	v_lshrrev_b32_e32 v17, 5, v3
	v_lshlrev_b32_e32 v18, 2, v3
	v_lshlrev_b32_e32 v3, 9, v3
	;; [unrolled: 1-line block ×6, first 2 shown]
	v_and_b32_e32 v11, 16, v11
	v_and_b32_e32 v12, 0x1000, v12
	;; [unrolled: 1-line block ×13, first 2 shown]
	v_or3_b32 v11, v11, v4, v12
	v_or3_b32 v4, v4, v13, v15
	;; [unrolled: 1-line block ×5, first 2 shown]
	v_and_b32_e32 v15, 0x1f00, v11
	v_lshlrev_b16_e32 v11, 8, v11
	v_and_b32_sdwa v16, v4, s25 dst_sel:DWORD dst_unused:UNUSED_PAD src0_sel:WORD_1 src1_sel:DWORD
	v_lshlrev_b16_sdwa v4, v141, v4 dst_sel:DWORD dst_unused:UNUSED_PAD src0_sel:DWORD src1_sel:WORD_1
	v_or3_b32 v3, v12, v3, v5
	v_and_b32_e32 v5, 0x1f00, v13
	v_lshlrev_b16_e32 v12, 8, v13
	v_and_b32_sdwa v13, v9, s25 dst_sel:DWORD dst_unused:UNUSED_PAD src0_sel:WORD_1 src1_sel:DWORD
	v_lshlrev_b16_sdwa v9, v141, v9 dst_sel:DWORD dst_unused:UNUSED_PAD src0_sel:DWORD src1_sel:WORD_1
	v_add_u16_e32 v11, 0xf000, v11
	v_add_u16_e32 v4, 0xf000, v4
	v_lshlrev_b16_e32 v18, 8, v3
	v_and_b32_sdwa v19, v3, s27 dst_sel:DWORD dst_unused:UNUSED_PAD src0_sel:WORD_1 src1_sel:DWORD
	v_and_b32_e32 v17, 0x1f00, v3
	v_lshlrev_b16_sdwa v3, v141, v3 dst_sel:DWORD dst_unused:UNUSED_PAD src0_sel:DWORD src1_sel:WORD_1
	v_add_u16_e32 v12, 0xf000, v12
	v_add_u16_e32 v9, 0xf000, v9
	v_or_b32_sdwa v11, v15, v11 dst_sel:DWORD dst_unused:UNUSED_PAD src0_sel:DWORD src1_sel:BYTE_1
	v_or_b32_sdwa v4, v16, v4 dst_sel:DWORD dst_unused:UNUSED_PAD src0_sel:DWORD src1_sel:BYTE_1
	v_add_i16 v15, v18, s26 clamp
	v_add_i16 v16, v19, s26 clamp
	;; [unrolled: 1-line block ×3, first 2 shown]
	v_or_b32_sdwa v5, v5, v12 dst_sel:DWORD dst_unused:UNUSED_PAD src0_sel:DWORD src1_sel:BYTE_1
	v_or_b32_sdwa v9, v13, v9 dst_sel:DWORD dst_unused:UNUSED_PAD src0_sel:DWORD src1_sel:BYTE_1
	v_add_u16_e32 v11, 0xf000, v11
	v_add_u16_sdwa v4, v4, s26 dst_sel:WORD_1 dst_unused:UNUSED_PAD src0_sel:DWORD src1_sel:DWORD
	v_or_b32_sdwa v12, v17, v15 dst_sel:DWORD dst_unused:UNUSED_PAD src0_sel:DWORD src1_sel:BYTE_1
	v_and_b32_e32 v13, 0xffffff00, v16
	v_or_b32_e32 v4, v11, v4
	v_add_u16_e32 v11, 0xf000, v12
	v_or_b32_sdwa v3, v3, v13 dst_sel:WORD_1 dst_unused:UNUSED_PAD src0_sel:BYTE_1 src1_sel:DWORD
	v_lshrrev_b32_e32 v138, 12, v8
	v_or_b32_e32 v3, v11, v3
	v_lshrrev_b32_e32 v139, 5, v8
	ds_write2_b32 v26, v4, v3 offset1:1
	v_lshlrev_b32_e32 v4, 2, v8
	v_and_b32_e32 v138, 16, v138
	v_and_b32_e32 v3, 0x1000, v139
	;; [unrolled: 1-line block ×3, first 2 shown]
	v_lshlrev_b32_e32 v8, 9, v8
	v_and_b32_e32 v10, 0xf0f0f0f, v10
	v_and_b32_e32 v8, 0x10000000, v8
	v_or3_b32 v3, v3, v138, v4
	v_or3_b32 v3, v3, v8, v10
	v_lshlrev_b16_e32 v8, 8, v3
	v_and_b32_e32 v4, 0x1f00, v3
	v_add_i16 v8, v8, s26 clamp
	v_or_b32_sdwa v4, v4, v8 dst_sel:DWORD dst_unused:UNUSED_PAD src0_sel:DWORD src1_sel:BYTE_1
	v_and_b32_sdwa v8, v3, s27 dst_sel:DWORD dst_unused:UNUSED_PAD src0_sel:WORD_1 src1_sel:DWORD
	v_add_i16 v8, v8, s26 clamp
	v_lshlrev_b16_sdwa v3, v141, v3 dst_sel:DWORD dst_unused:UNUSED_PAD src0_sel:DWORD src1_sel:WORD_1
	v_and_b32_e32 v8, 0xffffff00, v8
	v_add_i16 v3, v3, s26 clamp
	v_add_u16_e32 v5, 0xf000, v5
	v_add_u16_sdwa v9, v9, s26 dst_sel:WORD_1 dst_unused:UNUSED_PAD src0_sel:DWORD src1_sel:DWORD
	v_add_u16_e32 v4, 0xf000, v4
	v_or_b32_sdwa v3, v3, v8 dst_sel:WORD_1 dst_unused:UNUSED_PAD src0_sel:BYTE_1 src1_sel:DWORD
	v_or_b32_e32 v5, v5, v9
	v_or_b32_e32 v3, v4, v3
	s_waitcnt vmcnt(2)
	v_ashrrev_i32_e32 v8, v24, v2
	ds_write2_b32 v28, v5, v3 offset1:1
	v_lshlrev_b32_e32 v3, 4, v8
	v_lshlrev_b32_e32 v4, 11, v8
	v_and_b32_e32 v2, 0xf0f0f0f, v14
	v_and_b32_e32 v3, 16, v3
	;; [unrolled: 1-line block ×3, first 2 shown]
	v_or3_b32 v3, v3, v2, v4
	v_lshlrev_b32_e32 v4, 18, v8
	v_lshlrev_b32_e32 v5, 25, v8
	v_and_b32_e32 v4, 0x100000, v4
	v_and_b32_e32 v5, 0x10000000, v5
	v_or3_b32 v2, v2, v4, v5
	v_and_b32_e32 v4, 0x1f00, v3
	v_lshlrev_b16_e32 v3, 8, v3
	v_add_u16_e32 v3, 0xf000, v3
	v_or_b32_sdwa v3, v4, v3 dst_sel:DWORD dst_unused:UNUSED_PAD src0_sel:DWORD src1_sel:BYTE_1
	v_add_u16_e32 v9, 0xf000, v3
	v_and_b32_sdwa v3, v2, s25 dst_sel:DWORD dst_unused:UNUSED_PAD src0_sel:WORD_1 src1_sel:DWORD
	v_lshlrev_b16_sdwa v2, v141, v2 dst_sel:DWORD dst_unused:UNUSED_PAD src0_sel:DWORD src1_sel:WORD_1
	v_add_u16_e32 v2, 0xf000, v2
	v_or_b32_sdwa v2, v3, v2 dst_sel:DWORD dst_unused:UNUSED_PAD src0_sel:DWORD src1_sel:BYTE_1
	v_lshl_add_u64 v[4:5], v[80:81], 0, s[18:19]
	v_add_u16_sdwa v10, v2, s26 dst_sel:WORD_1 dst_unused:UNUSED_PAD src0_sel:DWORD src1_sel:DWORD
	v_lshl_add_u64 v[2:3], v[78:79], 0, s[18:19]
	global_load_dword v11, v[4:5], off
	global_load_dword v12, v[2:3], off offset:6
	v_or_b32_e32 v2, v9, v10
	v_lshrrev_b32_e32 v4, 12, v8
	v_lshrrev_b32_e32 v5, 5, v8
	v_lshlrev_b32_e32 v9, 2, v8
	v_lshrrev_b32_e32 v3, 4, v14
	v_and_b32_e32 v4, 16, v4
	v_and_b32_e32 v5, 0x1000, v5
	v_and_b32_e32 v9, 0x100000, v9
	v_lshlrev_b32_e32 v8, 9, v8
	v_and_b32_e32 v3, 0xf0f0f0f, v3
	v_and_b32_e32 v8, 0x10000000, v8
	v_or3_b32 v4, v5, v4, v9
	v_or3_b32 v3, v4, v8, v3
	v_lshlrev_b16_e32 v5, 8, v3
	v_and_b32_e32 v4, 0x1f00, v3
	v_add_i16 v5, v5, s26 clamp
	v_or_b32_sdwa v4, v4, v5 dst_sel:DWORD dst_unused:UNUSED_PAD src0_sel:DWORD src1_sel:BYTE_1
	v_and_b32_sdwa v5, v3, s27 dst_sel:DWORD dst_unused:UNUSED_PAD src0_sel:WORD_1 src1_sel:DWORD
	v_add_i16 v5, v5, s26 clamp
	v_lshlrev_b16_sdwa v3, v141, v3 dst_sel:DWORD dst_unused:UNUSED_PAD src0_sel:DWORD src1_sel:WORD_1
	v_and_b32_e32 v5, 0xffffff00, v5
	v_add_i16 v3, v3, s26 clamp
	v_add_u16_e32 v4, 0xf000, v4
	v_or_b32_sdwa v3, v3, v5 dst_sel:WORD_1 dst_unused:UNUSED_PAD src0_sel:BYTE_1 src1_sel:DWORD
	s_waitcnt vmcnt(2)
	v_ashrrev_i32_e32 v7, v24, v7
	v_or_b32_e32 v3, v4, v3
	ds_write2_b32 v30, v2, v3 offset1:1
	v_lshlrev_b32_e32 v3, 4, v7
	v_lshlrev_b32_e32 v4, 11, v7
	v_and_b32_e32 v2, 0xf0f0f0f, v6
	v_and_b32_e32 v3, 16, v3
	v_and_b32_e32 v4, 0x1000, v4
	v_or3_b32 v3, v3, v2, v4
	v_lshlrev_b32_e32 v4, 18, v7
	v_lshlrev_b32_e32 v5, 25, v7
	v_and_b32_e32 v4, 0x100000, v4
	v_and_b32_e32 v5, 0x10000000, v5
	v_or3_b32 v2, v2, v4, v5
	v_and_b32_e32 v4, 0x1f00, v3
	v_lshlrev_b16_e32 v3, 8, v3
	v_add_u16_e32 v3, 0xf000, v3
	v_or_b32_sdwa v3, v4, v3 dst_sel:DWORD dst_unused:UNUSED_PAD src0_sel:DWORD src1_sel:BYTE_1
	v_add_u16_e32 v8, 0xf000, v3
	v_and_b32_sdwa v3, v2, s25 dst_sel:DWORD dst_unused:UNUSED_PAD src0_sel:WORD_1 src1_sel:DWORD
	v_lshlrev_b16_sdwa v2, v141, v2 dst_sel:DWORD dst_unused:UNUSED_PAD src0_sel:DWORD src1_sel:WORD_1
	v_add_u16_e32 v2, 0xf000, v2
	v_or_b32_sdwa v2, v3, v2 dst_sel:DWORD dst_unused:UNUSED_PAD src0_sel:DWORD src1_sel:BYTE_1
	v_lshl_add_u64 v[4:5], v[84:85], 0, s[18:19]
	v_add_u16_sdwa v9, v2, s26 dst_sel:WORD_1 dst_unused:UNUSED_PAD src0_sel:DWORD src1_sel:DWORD
	v_lshl_add_u64 v[2:3], v[82:83], 0, s[18:19]
	global_load_dword v10, v[4:5], off
	global_load_dword v13, v[2:3], off offset:6
	v_lshrrev_b32_e32 v3, 4, v6
	v_lshrrev_b32_e32 v4, 12, v7
	;; [unrolled: 1-line block ×3, first 2 shown]
	v_lshlrev_b32_e32 v6, 2, v7
	v_and_b32_e32 v4, 16, v4
	v_and_b32_e32 v5, 0x1000, v5
	;; [unrolled: 1-line block ×3, first 2 shown]
	v_lshlrev_b32_e32 v7, 9, v7
	v_and_b32_e32 v3, 0xf0f0f0f, v3
	v_and_b32_e32 v7, 0x10000000, v7
	v_or3_b32 v4, v5, v4, v6
	v_or3_b32 v3, v4, v7, v3
	v_lshlrev_b16_e32 v5, 8, v3
	v_and_b32_e32 v4, 0x1f00, v3
	v_add_i16 v5, v5, s26 clamp
	v_or_b32_sdwa v4, v4, v5 dst_sel:DWORD dst_unused:UNUSED_PAD src0_sel:DWORD src1_sel:BYTE_1
	v_and_b32_sdwa v5, v3, s27 dst_sel:DWORD dst_unused:UNUSED_PAD src0_sel:WORD_1 src1_sel:DWORD
	v_add_i16 v5, v5, s26 clamp
	v_lshlrev_b16_sdwa v3, v141, v3 dst_sel:DWORD dst_unused:UNUSED_PAD src0_sel:DWORD src1_sel:WORD_1
	v_and_b32_e32 v5, 0xffffff00, v5
	v_add_i16 v3, v3, s26 clamp
	v_add_u16_e32 v4, 0xf000, v4
	v_or_b32_sdwa v3, v3, v5 dst_sel:WORD_1 dst_unused:UNUSED_PAD src0_sel:BYTE_1 src1_sel:DWORD
	v_or_b32_e32 v2, v8, v9
	v_or_b32_e32 v3, v4, v3
	ds_write2_b32 v32, v2, v3 offset1:1
	s_waitcnt vmcnt(3)
	v_ashrrev_i32_e32 v6, v24, v11
	v_lshlrev_b32_e32 v3, 4, v6
	v_lshlrev_b32_e32 v4, 11, v6
	s_waitcnt vmcnt(2)
	v_and_b32_e32 v2, 0xf0f0f0f, v12
	v_and_b32_e32 v3, 16, v3
	v_and_b32_e32 v4, 0x1000, v4
	v_or3_b32 v3, v3, v2, v4
	v_lshlrev_b32_e32 v4, 18, v6
	v_lshlrev_b32_e32 v5, 25, v6
	v_and_b32_e32 v4, 0x100000, v4
	v_and_b32_e32 v5, 0x10000000, v5
	v_or3_b32 v2, v2, v4, v5
	v_and_b32_e32 v4, 0x1f00, v3
	v_lshlrev_b16_e32 v3, 8, v3
	v_add_u16_e32 v3, 0xf000, v3
	v_or_b32_sdwa v3, v4, v3 dst_sel:DWORD dst_unused:UNUSED_PAD src0_sel:DWORD src1_sel:BYTE_1
	v_add_u16_e32 v7, 0xf000, v3
	v_and_b32_sdwa v3, v2, s25 dst_sel:DWORD dst_unused:UNUSED_PAD src0_sel:WORD_1 src1_sel:DWORD
	v_lshlrev_b16_sdwa v2, v141, v2 dst_sel:DWORD dst_unused:UNUSED_PAD src0_sel:DWORD src1_sel:WORD_1
	v_add_u16_e32 v2, 0xf000, v2
	v_or_b32_sdwa v2, v3, v2 dst_sel:DWORD dst_unused:UNUSED_PAD src0_sel:DWORD src1_sel:BYTE_1
	v_lshl_add_u64 v[4:5], v[88:89], 0, s[18:19]
	v_add_u16_sdwa v8, v2, s26 dst_sel:WORD_1 dst_unused:UNUSED_PAD src0_sel:DWORD src1_sel:DWORD
	v_lshl_add_u64 v[2:3], v[86:87], 0, s[18:19]
	global_load_dword v9, v[4:5], off
	global_load_dword v11, v[2:3], off offset:6
	v_or_b32_e32 v2, v7, v8
	v_lshrrev_b32_e32 v4, 12, v6
	v_lshrrev_b32_e32 v5, 5, v6
	v_lshlrev_b32_e32 v7, 2, v6
	v_lshrrev_b32_e32 v3, 4, v12
	v_and_b32_e32 v4, 16, v4
	v_and_b32_e32 v5, 0x1000, v5
	v_and_b32_e32 v7, 0x100000, v7
	v_lshlrev_b32_e32 v6, 9, v6
	v_and_b32_e32 v3, 0xf0f0f0f, v3
	v_and_b32_e32 v6, 0x10000000, v6
	v_or3_b32 v4, v5, v4, v7
	v_or3_b32 v3, v4, v6, v3
	v_lshlrev_b16_e32 v5, 8, v3
	v_and_b32_e32 v4, 0x1f00, v3
	v_add_i16 v5, v5, s26 clamp
	v_or_b32_sdwa v4, v4, v5 dst_sel:DWORD dst_unused:UNUSED_PAD src0_sel:DWORD src1_sel:BYTE_1
	v_and_b32_sdwa v5, v3, s27 dst_sel:DWORD dst_unused:UNUSED_PAD src0_sel:WORD_1 src1_sel:DWORD
	v_add_i16 v5, v5, s26 clamp
	v_lshlrev_b16_sdwa v3, v141, v3 dst_sel:DWORD dst_unused:UNUSED_PAD src0_sel:DWORD src1_sel:WORD_1
	v_and_b32_e32 v5, 0xffffff00, v5
	v_add_i16 v3, v3, s26 clamp
	v_add_u16_e32 v4, 0xf000, v4
	v_or_b32_sdwa v3, v3, v5 dst_sel:WORD_1 dst_unused:UNUSED_PAD src0_sel:BYTE_1 src1_sel:DWORD
	s_waitcnt vmcnt(3)
	v_ashrrev_i32_e32 v6, v24, v10
	v_or_b32_e32 v3, v4, v3
	ds_write2_b32 v34, v2, v3 offset1:1
	v_lshlrev_b32_e32 v3, 4, v6
	v_lshlrev_b32_e32 v4, 11, v6
	s_waitcnt vmcnt(2)
	v_and_b32_e32 v2, 0xf0f0f0f, v13
	v_and_b32_e32 v3, 16, v3
	v_and_b32_e32 v4, 0x1000, v4
	v_or3_b32 v3, v3, v2, v4
	v_lshlrev_b32_e32 v4, 18, v6
	v_lshlrev_b32_e32 v5, 25, v6
	v_and_b32_e32 v4, 0x100000, v4
	v_and_b32_e32 v5, 0x10000000, v5
	v_or3_b32 v2, v2, v4, v5
	v_and_b32_e32 v4, 0x1f00, v3
	v_lshlrev_b16_e32 v3, 8, v3
	v_add_u16_e32 v3, 0xf000, v3
	v_or_b32_sdwa v3, v4, v3 dst_sel:DWORD dst_unused:UNUSED_PAD src0_sel:DWORD src1_sel:BYTE_1
	v_add_u16_e32 v7, 0xf000, v3
	v_and_b32_sdwa v3, v2, s25 dst_sel:DWORD dst_unused:UNUSED_PAD src0_sel:WORD_1 src1_sel:DWORD
	v_lshlrev_b16_sdwa v2, v141, v2 dst_sel:DWORD dst_unused:UNUSED_PAD src0_sel:DWORD src1_sel:WORD_1
	v_add_u16_e32 v2, 0xf000, v2
	v_or_b32_sdwa v2, v3, v2 dst_sel:DWORD dst_unused:UNUSED_PAD src0_sel:DWORD src1_sel:BYTE_1
	v_lshl_add_u64 v[4:5], v[92:93], 0, s[18:19]
	v_add_u16_sdwa v8, v2, s26 dst_sel:WORD_1 dst_unused:UNUSED_PAD src0_sel:DWORD src1_sel:DWORD
	v_lshl_add_u64 v[2:3], v[90:91], 0, s[18:19]
	global_load_dword v10, v[4:5], off
	global_load_dword v12, v[2:3], off offset:6
	v_or_b32_e32 v2, v7, v8
	v_lshrrev_b32_e32 v4, 12, v6
	v_lshrrev_b32_e32 v5, 5, v6
	v_lshlrev_b32_e32 v7, 2, v6
	v_lshrrev_b32_e32 v3, 4, v13
	v_and_b32_e32 v4, 16, v4
	v_and_b32_e32 v5, 0x1000, v5
	v_and_b32_e32 v7, 0x100000, v7
	v_lshlrev_b32_e32 v6, 9, v6
	v_and_b32_e32 v3, 0xf0f0f0f, v3
	v_and_b32_e32 v6, 0x10000000, v6
	v_or3_b32 v4, v5, v4, v7
	v_or3_b32 v3, v4, v6, v3
	v_lshlrev_b16_e32 v5, 8, v3
	v_and_b32_e32 v4, 0x1f00, v3
	v_add_i16 v5, v5, s26 clamp
	v_or_b32_sdwa v4, v4, v5 dst_sel:DWORD dst_unused:UNUSED_PAD src0_sel:DWORD src1_sel:BYTE_1
	v_and_b32_sdwa v5, v3, s27 dst_sel:DWORD dst_unused:UNUSED_PAD src0_sel:WORD_1 src1_sel:DWORD
	v_add_i16 v5, v5, s26 clamp
	v_lshlrev_b16_sdwa v3, v141, v3 dst_sel:DWORD dst_unused:UNUSED_PAD src0_sel:DWORD src1_sel:WORD_1
	v_and_b32_e32 v5, 0xffffff00, v5
	v_add_i16 v3, v3, s26 clamp
	v_add_u16_e32 v4, 0xf000, v4
	v_or_b32_sdwa v3, v3, v5 dst_sel:WORD_1 dst_unused:UNUSED_PAD src0_sel:BYTE_1 src1_sel:DWORD
	s_waitcnt vmcnt(3)
	v_ashrrev_i32_e32 v6, v24, v9
	v_or_b32_e32 v3, v4, v3
	ds_write2_b32 v36, v2, v3 offset1:1
	;; [unrolled: 54-line block ×9, first 2 shown]
	v_lshlrev_b32_e32 v3, 4, v6
	v_lshlrev_b32_e32 v4, 11, v6
	s_waitcnt vmcnt(2)
	v_and_b32_e32 v2, 0xf0f0f0f, v12
	v_and_b32_e32 v3, 16, v3
	;; [unrolled: 1-line block ×3, first 2 shown]
	v_or3_b32 v3, v3, v2, v4
	v_lshlrev_b32_e32 v4, 18, v6
	v_lshlrev_b32_e32 v5, 25, v6
	v_and_b32_e32 v4, 0x100000, v4
	v_and_b32_e32 v5, 0x10000000, v5
	v_or3_b32 v2, v2, v4, v5
	v_and_b32_e32 v4, 0x1f00, v3
	v_lshlrev_b16_e32 v3, 8, v3
	v_add_u16_e32 v3, 0xf000, v3
	v_or_b32_sdwa v3, v4, v3 dst_sel:DWORD dst_unused:UNUSED_PAD src0_sel:DWORD src1_sel:BYTE_1
	v_and_b32_sdwa v4, v2, s25 dst_sel:DWORD dst_unused:UNUSED_PAD src0_sel:WORD_1 src1_sel:DWORD
	v_lshlrev_b16_sdwa v2, v141, v2 dst_sel:DWORD dst_unused:UNUSED_PAD src0_sel:DWORD src1_sel:WORD_1
	v_add_u16_e32 v2, 0xf000, v2
	v_or_b32_sdwa v2, v4, v2 dst_sel:DWORD dst_unused:UNUSED_PAD src0_sel:DWORD src1_sel:BYTE_1
	v_add_u16_e32 v3, 0xf000, v3
	v_add_u16_sdwa v2, v2, s26 dst_sel:WORD_1 dst_unused:UNUSED_PAD src0_sel:DWORD src1_sel:DWORD
	v_lshrrev_b32_e32 v10, 12, v6
	v_or_b32_e32 v7, v3, v2
	v_lshrrev_b32_e32 v2, 4, v12
	v_and_b32_e32 v8, 0xf0f0f0f, v2
	v_lshl_add_u64 v[2:3], v[122:123], 0, s[18:19]
	v_lshl_add_u64 v[4:5], v[124:125], 0, s[18:19]
	global_load_dword v4, v[4:5], off
	s_nop 0
	global_load_dword v5, v[2:3], off offset:6
	v_and_b32_e32 v2, 16, v10
	v_lshrrev_b32_e32 v3, 5, v6
	v_lshlrev_b32_e32 v10, 2, v6
	v_and_b32_e32 v3, 0x1000, v3
	v_and_b32_e32 v10, 0x100000, v10
	v_lshlrev_b32_e32 v6, 9, v6
	v_and_b32_e32 v6, 0x10000000, v6
	v_or3_b32 v2, v3, v2, v10
	v_or3_b32 v2, v2, v6, v8
	v_lshlrev_b16_e32 v6, 8, v2
	v_and_b32_e32 v3, 0x1f00, v2
	v_add_i16 v6, v6, s26 clamp
	v_or_b32_sdwa v3, v3, v6 dst_sel:DWORD dst_unused:UNUSED_PAD src0_sel:DWORD src1_sel:BYTE_1
	v_and_b32_sdwa v6, v2, s27 dst_sel:DWORD dst_unused:UNUSED_PAD src0_sel:WORD_1 src1_sel:DWORD
	v_add_i16 v6, v6, s26 clamp
	v_lshlrev_b16_sdwa v2, v141, v2 dst_sel:DWORD dst_unused:UNUSED_PAD src0_sel:DWORD src1_sel:WORD_1
	v_and_b32_e32 v6, 0xffffff00, v6
	v_add_i16 v2, v2, s26 clamp
	v_add_u16_e32 v3, 0xf000, v3
	v_or_b32_sdwa v2, v2, v6 dst_sel:WORD_1 dst_unused:UNUSED_PAD src0_sel:BYTE_1 src1_sel:DWORD
	s_waitcnt vmcnt(3)
	v_ashrrev_i32_e32 v6, v24, v9
	v_or_b32_e32 v2, v3, v2
	ds_write2_b32 v52, v7, v2 offset1:1
	v_lshlrev_b32_e32 v3, 4, v6
	v_lshlrev_b32_e32 v7, 11, v6
	s_waitcnt vmcnt(2)
	v_and_b32_e32 v2, 0xf0f0f0f, v13
	v_and_b32_e32 v3, 16, v3
	;; [unrolled: 1-line block ×3, first 2 shown]
	v_or3_b32 v3, v3, v2, v7
	v_lshlrev_b32_e32 v7, 18, v6
	v_lshlrev_b32_e32 v8, 25, v6
	v_and_b32_e32 v7, 0x100000, v7
	v_and_b32_e32 v8, 0x10000000, v8
	v_or3_b32 v2, v2, v7, v8
	v_and_b32_e32 v7, 0x1f00, v3
	v_lshlrev_b16_e32 v3, 8, v3
	v_add_u16_e32 v3, 0xf000, v3
	v_or_b32_sdwa v3, v7, v3 dst_sel:DWORD dst_unused:UNUSED_PAD src0_sel:DWORD src1_sel:BYTE_1
	v_add_u16_e32 v7, 0xf000, v3
	v_and_b32_sdwa v3, v2, s25 dst_sel:DWORD dst_unused:UNUSED_PAD src0_sel:WORD_1 src1_sel:DWORD
	v_lshlrev_b16_sdwa v2, v141, v2 dst_sel:DWORD dst_unused:UNUSED_PAD src0_sel:DWORD src1_sel:WORD_1
	v_add_u16_e32 v2, 0xf000, v2
	v_or_b32_sdwa v8, v3, v2 dst_sel:DWORD dst_unused:UNUSED_PAD src0_sel:DWORD src1_sel:BYTE_1
	v_lshl_add_u64 v[2:3], v[126:127], 0, s[18:19]
	global_load_ushort v9, v[2:3], off
	v_lshl_add_u64 v[2:3], v[128:129], 0, s[18:19]
	global_load_ushort v10, v[2:3], off
	;; [unrolled: 2-line block ×4, first 2 shown]
	v_add_u16_sdwa v8, v8, s26 dst_sel:WORD_1 dst_unused:UNUSED_PAD src0_sel:DWORD src1_sel:DWORD
	v_lshrrev_b32_e32 v12, 5, v6
	v_or_b32_e32 v3, v7, v8
	v_lshrrev_b32_e32 v7, 4, v13
	v_lshrrev_b32_e32 v8, 12, v6
	v_lshlrev_b32_e32 v13, 2, v6
	v_and_b32_e32 v8, 16, v8
	v_and_b32_e32 v12, 0x1000, v12
	;; [unrolled: 1-line block ×3, first 2 shown]
	v_lshlrev_b32_e32 v6, 9, v6
	v_and_b32_e32 v7, 0xf0f0f0f, v7
	v_and_b32_e32 v6, 0x10000000, v6
	v_or3_b32 v8, v12, v8, v13
	v_or3_b32 v6, v8, v6, v7
	v_lshlrev_b16_e32 v8, 8, v6
	v_and_b32_e32 v7, 0x1f00, v6
	v_add_i16 v8, v8, s26 clamp
	v_or_b32_sdwa v7, v7, v8 dst_sel:DWORD dst_unused:UNUSED_PAD src0_sel:DWORD src1_sel:BYTE_1
	v_and_b32_sdwa v8, v6, s27 dst_sel:DWORD dst_unused:UNUSED_PAD src0_sel:WORD_1 src1_sel:DWORD
	v_add_i16 v8, v8, s26 clamp
	v_lshlrev_b16_sdwa v6, v141, v6 dst_sel:DWORD dst_unused:UNUSED_PAD src0_sel:DWORD src1_sel:WORD_1
	v_and_b32_e32 v8, 0xffffff00, v8
	v_add_i16 v6, v6, s26 clamp
	v_add_u16_e32 v7, 0xf000, v7
	v_or_b32_sdwa v6, v6, v8 dst_sel:WORD_1 dst_unused:UNUSED_PAD src0_sel:BYTE_1 src1_sel:DWORD
	s_waitcnt vmcnt(0)
	v_cvt_f32_f16_e32 v2, v2
	v_or_b32_e32 v6, v7, v6
	ds_write2_b32 v54, v3, v6 offset1:1
	v_ashrrev_i32_e32 v3, v24, v4
	v_lshlrev_b32_e32 v6, 4, v3
	v_lshlrev_b32_e32 v7, 11, v3
	v_and_b32_e32 v4, 0xf0f0f0f, v5
	v_and_b32_e32 v6, 16, v6
	;; [unrolled: 1-line block ×3, first 2 shown]
	v_or3_b32 v6, v6, v4, v7
	v_lshlrev_b32_e32 v7, 18, v3
	v_lshlrev_b32_e32 v8, 25, v3
	v_and_b32_e32 v7, 0x100000, v7
	v_and_b32_e32 v8, 0x10000000, v8
	v_or3_b32 v4, v4, v7, v8
	v_and_b32_e32 v7, 0x1f00, v6
	v_lshlrev_b16_e32 v6, 8, v6
	v_add_u16_e32 v6, 0xf000, v6
	v_or_b32_sdwa v6, v7, v6 dst_sel:DWORD dst_unused:UNUSED_PAD src0_sel:DWORD src1_sel:BYTE_1
	v_and_b32_sdwa v7, v4, s25 dst_sel:DWORD dst_unused:UNUSED_PAD src0_sel:WORD_1 src1_sel:DWORD
	v_lshlrev_b16_sdwa v4, v141, v4 dst_sel:DWORD dst_unused:UNUSED_PAD src0_sel:DWORD src1_sel:WORD_1
	v_add_u16_e32 v4, 0xf000, v4
	v_or_b32_sdwa v4, v7, v4 dst_sel:DWORD dst_unused:UNUSED_PAD src0_sel:DWORD src1_sel:BYTE_1
	v_add_u16_e32 v6, 0xf000, v6
	v_add_u16_sdwa v4, v4, s26 dst_sel:WORD_1 dst_unused:UNUSED_PAD src0_sel:DWORD src1_sel:DWORD
	v_lshrrev_b32_e32 v7, 5, v3
	v_or_b32_e32 v4, v6, v4
	v_lshrrev_b32_e32 v6, 12, v3
	v_lshlrev_b32_e32 v8, 2, v3
	v_lshrrev_b32_e32 v5, 4, v5
	v_and_b32_e32 v6, 16, v6
	v_and_b32_e32 v7, 0x1000, v7
	;; [unrolled: 1-line block ×3, first 2 shown]
	v_lshlrev_b32_e32 v3, 9, v3
	v_and_b32_e32 v5, 0xf0f0f0f, v5
	v_and_b32_e32 v3, 0x10000000, v3
	v_or3_b32 v6, v7, v6, v8
	v_or3_b32 v3, v6, v3, v5
	v_lshlrev_b16_e32 v6, 8, v3
	v_and_b32_e32 v5, 0x1f00, v3
	v_add_i16 v6, v6, s26 clamp
	v_or_b32_sdwa v5, v5, v6 dst_sel:DWORD dst_unused:UNUSED_PAD src0_sel:DWORD src1_sel:BYTE_1
	v_and_b32_sdwa v6, v3, s27 dst_sel:DWORD dst_unused:UNUSED_PAD src0_sel:WORD_1 src1_sel:DWORD
	v_add_i16 v6, v6, s26 clamp
	v_lshlrev_b16_sdwa v3, v141, v3 dst_sel:DWORD dst_unused:UNUSED_PAD src0_sel:DWORD src1_sel:WORD_1
	v_and_b32_e32 v6, 0xffffff00, v6
	v_add_i16 v3, v3, s26 clamp
	v_add_u16_e32 v5, 0xf000, v5
	v_or_b32_sdwa v3, v3, v6 dst_sel:WORD_1 dst_unused:UNUSED_PAD src0_sel:BYTE_1 src1_sel:DWORD
	v_cvt_f32_f16_e32 v6, v10
	v_or_b32_e32 v3, v5, v3
	v_cvt_f32_f16_e32 v5, v9
	ds_write2_b32 v56, v4, v3 offset1:1
	v_cvt_f32_f16_e32 v3, v11
	ds_write_b32 v53, v5
	ds_write_b32 v55, v6
	;; [unrolled: 1-line block ×4, first 2 shown]
	s_cbranch_scc0 .LBB182_5
; %bb.7:                                ;   in Loop: Header=BB182_6 Depth=1
	v_add_u32_e32 v2, s4, v27
	v_cmp_gt_i32_e64 s[2:3], s8, v2
	s_and_b64 s[22:23], s[0:1], s[2:3]
	s_and_saveexec_b64 s[2:3], s[22:23]
	s_cbranch_execz .LBB182_9
; %bb.8:                                ;   in Loop: Header=BB182_6 Depth=1
	v_add_u32_e32 v2, s4, v51
	v_mad_i64_i32 v[2:3], s[22:23], v2, 36, v[58:59]
	global_load_dword v2, v[2:3], off offset:4
	s_waitcnt vmcnt(0)
	ds_write_b32 v29, v2
.LBB182_9:                              ;   in Loop: Header=BB182_6 Depth=1
	s_or_b64 exec, exec, s[2:3]
	s_and_saveexec_b64 s[22:23], vcc
	s_cbranch_execz .LBB182_12
; %bb.10:                               ;   in Loop: Header=BB182_6 Depth=1
	v_add_u32_e32 v2, s4, v22
	v_cmp_gt_i32_e64 s[2:3], s8, v2
	s_and_b64 s[2:3], s[0:1], s[2:3]
	s_and_b64 exec, exec, s[2:3]
	s_cbranch_execz .LBB182_12
; %bb.11:                               ;   in Loop: Header=BB182_6 Depth=1
	v_add_u32_e32 v2, s4, v23
	v_mad_i64_i32 v[2:3], s[2:3], v2, 36, s[14:15]
	global_load_dword v2, v[2:3], off
	s_waitcnt vmcnt(0)
	v_cvt_f32_f16_e32 v2, v2
	ds_write_b32 v31, v2
.LBB182_12:                             ;   in Loop: Header=BB182_6 Depth=1
	s_or_b64 exec, exec, s[22:23]
	s_waitcnt lgkmcnt(0)
	s_barrier
	ds_read_b128 v[2:5], v35
	ds_read2_b32 v[138:139], v37 offset1:1
	ds_read_b128 v[14:17], v33
	ds_read_b128 v[18:21], v33 offset:16
	ds_read_b128 v[6:9], v33 offset:32
	ds_read_b128 v[10:13], v33 offset:48
	ds_read2_b32 v[142:143], v37 offset0:2 offset1:3
	v_mov_b32_e32 v25, 0
	s_waitcnt lgkmcnt(4)
	v_dot4c_i32_i8_e32 v25, v138, v14
	s_waitcnt lgkmcnt(3)
	v_dot4c_i32_i8_e32 v25, v139, v18
	ds_read2_b32 v[138:139], v37 offset0:4 offset1:5
	ds_read2_b32 v[144:145], v37 offset0:6 offset1:7
	;; [unrolled: 1-line block ×3, first 2 shown]
	s_waitcnt lgkmcnt(3)
	v_dot4c_i32_i8_e32 v25, v142, v15
	v_dot4c_i32_i8_e32 v25, v143, v19
	s_waitcnt lgkmcnt(2)
	v_dot4c_i32_i8_e32 v25, v138, v16
	v_add_u32_e32 v138, 0x2080, v37
	ds_read2_b32 v[142:143], v138 offset1:1
	v_mov_b32_e32 v156, 0
	v_dot4c_i32_i8_e32 v25, v139, v20
	ds_read2_b32 v[138:139], v45 offset0:2 offset1:3
	s_waitcnt lgkmcnt(3)
	v_dot4c_i32_i8_e32 v25, v144, v17
	s_waitcnt lgkmcnt(1)
	v_dot4c_i32_i8_e32 v156, v142, v14
	v_add_u32_e32 v142, 0x2088, v37
	v_dot4c_i32_i8_e32 v156, v143, v18
	ds_read2_b32 v[142:143], v142 offset1:1
	v_add_u32_e32 v144, 0x2090, v37
	v_add_u32_e32 v148, 0x2098, v37
	;; [unrolled: 1-line block ×3, first 2 shown]
	v_dot4c_i32_i8_e32 v25, v145, v21
	ds_read2_b32 v[144:145], v144 offset1:1
	ds_read2_b32 v[148:149], v148 offset1:1
	;; [unrolled: 1-line block ×3, first 2 shown]
	s_waitcnt lgkmcnt(3)
	v_dot4c_i32_i8_e32 v156, v142, v15
	v_dot4c_i32_i8_e32 v156, v143, v19
	s_waitcnt lgkmcnt(2)
	v_dot4c_i32_i8_e32 v156, v144, v16
	v_dot4c_i32_i8_e32 v156, v145, v20
	v_mov_b32_e32 v157, 0
	s_waitcnt lgkmcnt(1)
	v_dot4c_i32_i8_e32 v156, v148, v17
	s_waitcnt lgkmcnt(0)
	v_dot4c_i32_i8_e32 v157, v150, v14
	v_add_u32_e32 v142, 0x4108, v37
	v_add_u32_e32 v144, 0x4110, v37
	;; [unrolled: 1-line block ×4, first 2 shown]
	v_dot4c_i32_i8_e32 v156, v149, v21
	v_dot4c_i32_i8_e32 v157, v151, v18
	ds_read2_b32 v[142:143], v142 offset1:1
	ds_read2_b32 v[144:145], v144 offset1:1
	;; [unrolled: 1-line block ×4, first 2 shown]
	v_mov_b32_e32 v158, 0
	v_mov_b32_e32 v159, 0
	v_dot4c_i32_i8_e32 v159, v146, v6
	s_waitcnt lgkmcnt(3)
	v_dot4c_i32_i8_e32 v157, v142, v15
	s_waitcnt lgkmcnt(0)
	v_dot4c_i32_i8_e32 v158, v150, v14
	v_add_u32_e32 v14, 0x6188, v37
	v_dot4c_i32_i8_e32 v157, v143, v19
	ds_read2_b32 v[142:143], v14 offset1:1
	v_dot4c_i32_i8_e32 v157, v144, v16
	v_dot4c_i32_i8_e32 v157, v145, v20
	;; [unrolled: 1-line block ×4, first 2 shown]
	v_add_u32_e32 v18, 0x6190, v37
	v_add_u32_e32 v148, 0x6198, v37
	v_dot4c_i32_i8_e32 v157, v149, v21
	v_add_u32_e32 v14, 0x20a0, v37
	ds_read2_b32 v[144:145], v18 offset1:1
	ds_read2_b32 v[148:149], v148 offset1:1
	;; [unrolled: 1-line block ×3, first 2 shown]
	s_waitcnt lgkmcnt(3)
	v_dot4c_i32_i8_e32 v158, v142, v15
	v_dot4c_i32_i8_e32 v158, v143, v19
	ds_read2_b32 v[14:15], v37 offset0:10 offset1:11
	s_waitcnt lgkmcnt(3)
	v_dot4c_i32_i8_e32 v158, v144, v16
	v_dot4c_i32_i8_e32 v158, v145, v20
	s_waitcnt lgkmcnt(2)
	v_dot4c_i32_i8_e32 v158, v148, v17
	v_dot4c_i32_i8_e32 v158, v149, v21
	;; [unrolled: 1-line block ×3, first 2 shown]
	ds_read2_b32 v[16:17], v37 offset0:12 offset1:13
	ds_read2_b32 v[18:19], v37 offset0:14 offset1:15
	;; [unrolled: 1-line block ×3, first 2 shown]
	s_waitcnt lgkmcnt(3)
	v_dot4c_i32_i8_e32 v159, v14, v7
	v_add_u32_e32 v14, 0x20a8, v37
	v_dot4c_i32_i8_e32 v159, v15, v11
	ds_read2_b32 v[14:15], v14 offset1:1
	s_waitcnt lgkmcnt(3)
	v_dot4c_i32_i8_e32 v159, v16, v8
	v_dot4c_i32_i8_e32 v159, v17, v12
	v_mov_b32_e32 v160, 0
	s_waitcnt lgkmcnt(2)
	v_dot4c_i32_i8_e32 v159, v18, v9
	v_dot4c_i32_i8_e32 v160, v150, v6
	v_add_u32_e32 v16, 0x20b0, v37
	v_add_u32_e32 v18, 0x20b8, v37
	v_add_u32_e32 v142, 0x4120, v37
	v_dot4c_i32_i8_e32 v159, v19, v13
	v_dot4c_i32_i8_e32 v160, v151, v10
	ds_read2_b32 v[16:17], v16 offset1:1
	ds_read2_b32 v[18:19], v18 offset1:1
	;; [unrolled: 1-line block ×3, first 2 shown]
	s_waitcnt lgkmcnt(3)
	v_dot4c_i32_i8_e32 v160, v14, v7
	v_dot4c_i32_i8_e32 v160, v15, v11
	s_waitcnt lgkmcnt(2)
	v_dot4c_i32_i8_e32 v160, v16, v8
	v_dot4c_i32_i8_e32 v160, v17, v12
	v_mov_b32_e32 v161, 0
	s_waitcnt lgkmcnt(1)
	v_dot4c_i32_i8_e32 v160, v18, v9
	s_waitcnt lgkmcnt(0)
	v_dot4c_i32_i8_e32 v161, v142, v6
	v_add_u32_e32 v14, 0x4128, v37
	v_add_u32_e32 v16, 0x4130, v37
	;; [unrolled: 1-line block ×4, first 2 shown]
	v_dot4c_i32_i8_e32 v160, v19, v13
	v_dot4c_i32_i8_e32 v161, v143, v10
	ds_read2_b32 v[14:15], v14 offset1:1
	ds_read2_b32 v[16:17], v16 offset1:1
	;; [unrolled: 1-line block ×4, first 2 shown]
	v_mov_b32_e32 v162, 0
	v_mov_b32_e32 v163, 0
	;; [unrolled: 1-line block ×3, first 2 shown]
	s_waitcnt lgkmcnt(3)
	v_dot4c_i32_i8_e32 v161, v14, v7
	s_waitcnt lgkmcnt(0)
	v_dot4c_i32_i8_e32 v162, v142, v6
	v_add_u32_e32 v6, 0x61a8, v37
	v_dot4c_i32_i8_e32 v161, v15, v11
	ds_read2_b32 v[14:15], v6 offset1:1
	v_dot4c_i32_i8_e32 v161, v16, v8
	v_dot4c_i32_i8_e32 v161, v17, v12
	;; [unrolled: 1-line block ×4, first 2 shown]
	v_add_u32_e32 v10, 0x61b0, v37
	v_add_u32_e32 v18, 0x61b8, v37
	v_dot4c_i32_i8_e32 v161, v19, v13
	v_add_u32_e32 v6, 0x20c0, v37
	ds_read2_b32 v[16:17], v10 offset1:1
	ds_read2_b32 v[18:19], v18 offset1:1
	;; [unrolled: 1-line block ×3, first 2 shown]
	s_waitcnt lgkmcnt(3)
	v_dot4c_i32_i8_e32 v162, v14, v7
	v_dot4c_i32_i8_e32 v162, v15, v11
	s_waitcnt lgkmcnt(2)
	v_dot4c_i32_i8_e32 v162, v16, v8
	v_dot4c_i32_i8_e32 v162, v17, v12
	s_waitcnt lgkmcnt(1)
	v_dot4c_i32_i8_e32 v162, v18, v9
	v_dot4c_i32_i8_e32 v162, v19, v13
	ds_read_b128 v[8:11], v33 offset:64
	ds_read_b128 v[12:15], v33 offset:80
	ds_read2_b32 v[6:7], v43 offset1:1
	ds_read2_b32 v[144:145], v41 offset0:2 offset1:3
	ds_read2_b32 v[146:147], v41 offset1:1
	ds_read2_b32 v[148:149], v39 offset0:2 offset1:3
	ds_read2_b32 v[16:17], v37 offset0:18 offset1:19
	s_waitcnt lgkmcnt(6)
	v_dot4c_i32_i8_e32 v163, v20, v8
	s_waitcnt lgkmcnt(5)
	v_dot4c_i32_i8_e32 v163, v21, v12
	ds_read2_b32 v[18:19], v37 offset0:20 offset1:21
	ds_read2_b32 v[20:21], v37 offset0:22 offset1:23
	;; [unrolled: 1-line block ×3, first 2 shown]
	v_dot4c_i32_i8_e32 v164, v142, v8
	s_waitcnt lgkmcnt(3)
	v_dot4c_i32_i8_e32 v163, v16, v9
	v_add_u32_e32 v16, 0x20c8, v37
	v_dot4c_i32_i8_e32 v163, v17, v13
	ds_read2_b32 v[16:17], v16 offset1:1
	s_waitcnt lgkmcnt(3)
	v_dot4c_i32_i8_e32 v163, v18, v10
	v_dot4c_i32_i8_e32 v163, v19, v14
	s_waitcnt lgkmcnt(2)
	v_dot4c_i32_i8_e32 v163, v20, v11
	v_add_u32_e32 v18, 0x20d0, v37
	v_add_u32_e32 v20, 0x20d8, v37
	;; [unrolled: 1-line block ×3, first 2 shown]
	v_dot4c_i32_i8_e32 v163, v21, v15
	v_dot4c_i32_i8_e32 v164, v143, v12
	ds_read2_b32 v[18:19], v18 offset1:1
	ds_read2_b32 v[20:21], v20 offset1:1
	;; [unrolled: 1-line block ×3, first 2 shown]
	s_waitcnt lgkmcnt(3)
	v_dot4c_i32_i8_e32 v164, v16, v9
	v_dot4c_i32_i8_e32 v164, v17, v13
	s_waitcnt lgkmcnt(2)
	v_dot4c_i32_i8_e32 v164, v18, v10
	v_dot4c_i32_i8_e32 v164, v19, v14
	v_mov_b32_e32 v165, 0
	s_waitcnt lgkmcnt(1)
	v_dot4c_i32_i8_e32 v164, v20, v11
	s_waitcnt lgkmcnt(0)
	v_dot4c_i32_i8_e32 v165, v142, v8
	v_add_u32_e32 v16, 0x4148, v37
	v_add_u32_e32 v18, 0x4150, v37
	;; [unrolled: 1-line block ×4, first 2 shown]
	v_dot4c_i32_i8_e32 v164, v21, v15
	ds_read2_b32 v[20:21], v45 offset1:1
	ds_read2_b32 v[152:153], v43 offset0:2 offset1:3
	v_dot4c_i32_i8_e32 v165, v143, v12
	ds_read2_b32 v[16:17], v16 offset1:1
	ds_read2_b32 v[18:19], v18 offset1:1
	;; [unrolled: 1-line block ×4, first 2 shown]
	v_mov_b32_e32 v166, 0
	v_mov_b32_e32 v167, 0
	v_mov_b32_e32 v168, 0
	s_waitcnt lgkmcnt(3)
	v_dot4c_i32_i8_e32 v165, v16, v9
	s_waitcnt lgkmcnt(0)
	v_dot4c_i32_i8_e32 v166, v154, v8
	v_add_u32_e32 v8, 0x61c8, v37
	v_dot4c_i32_i8_e32 v165, v17, v13
	ds_read2_b32 v[16:17], v8 offset1:1
	v_dot4c_i32_i8_e32 v165, v18, v10
	v_dot4c_i32_i8_e32 v165, v19, v14
	v_dot4c_i32_i8_e32 v165, v142, v11
	v_dot4c_i32_i8_e32 v166, v155, v12
	v_add_u32_e32 v12, 0x61d0, v37
	v_add_u32_e32 v142, 0x61d8, v37
	v_dot4c_i32_i8_e32 v165, v143, v15
	v_add_u32_e32 v8, 0x20e0, v37
	ds_read2_b32 v[18:19], v12 offset1:1
	ds_read2_b32 v[142:143], v142 offset1:1
	;; [unrolled: 1-line block ×3, first 2 shown]
	s_waitcnt lgkmcnt(3)
	v_dot4c_i32_i8_e32 v166, v16, v9
	v_dot4c_i32_i8_e32 v166, v17, v13
	s_waitcnt lgkmcnt(2)
	v_dot4c_i32_i8_e32 v166, v18, v10
	v_dot4c_i32_i8_e32 v166, v19, v14
	ds_read_b128 v[16:19], v33 offset:96
	s_waitcnt lgkmcnt(2)
	v_dot4c_i32_i8_e32 v166, v142, v11
	ds_read_b128 v[8:11], v33 offset:112
	ds_read2_b32 v[12:13], v37 offset0:26 offset1:27
	v_dot4c_i32_i8_e32 v166, v143, v15
	s_waitcnt lgkmcnt(2)
	v_dot4c_i32_i8_e32 v167, v150, v16
	v_dot4c_i32_i8_e32 v168, v154, v16
	s_waitcnt lgkmcnt(1)
	v_dot4c_i32_i8_e32 v167, v151, v8
	ds_read2_b32 v[14:15], v37 offset0:28 offset1:29
	ds_read2_b32 v[142:143], v39 offset1:1
	ds_read2_b32 v[150:151], v37 offset0:30 offset1:31
	s_waitcnt lgkmcnt(3)
	v_dot4c_i32_i8_e32 v167, v12, v17
	v_add_u32_e32 v12, 0x20e8, v37
	v_dot4c_i32_i8_e32 v167, v13, v9
	ds_read2_b32 v[12:13], v12 offset1:1
	s_waitcnt lgkmcnt(3)
	v_dot4c_i32_i8_e32 v167, v14, v18
	v_dot4c_i32_i8_e32 v167, v15, v10
	s_waitcnt lgkmcnt(1)
	v_dot4c_i32_i8_e32 v167, v150, v19
	v_add_u32_e32 v14, 0x20f0, v37
	v_add_u32_e32 v150, 0x20f8, v37
	;; [unrolled: 1-line block ×3, first 2 shown]
	v_dot4c_i32_i8_e32 v167, v151, v11
	v_dot4c_i32_i8_e32 v168, v155, v8
	ds_read2_b32 v[14:15], v14 offset1:1
	ds_read2_b32 v[150:151], v150 offset1:1
	ds_read2_b32 v[154:155], v154 offset1:1
	s_waitcnt lgkmcnt(3)
	v_dot4c_i32_i8_e32 v168, v12, v17
	v_dot4c_i32_i8_e32 v168, v13, v9
	s_waitcnt lgkmcnt(2)
	v_dot4c_i32_i8_e32 v168, v14, v18
	v_dot4c_i32_i8_e32 v168, v15, v10
	s_waitcnt lgkmcnt(1)
	v_dot4c_i32_i8_e32 v168, v150, v19
	v_cvt_f32_i32_e32 v15, v156
	v_cvt_f32_i32_e32 v14, v25
	v_dot4c_i32_i8_e32 v168, v151, v11
	v_cvt_f32_i32_e32 v151, v160
	v_cvt_f32_i32_e32 v150, v159
	v_mov_b32_e32 v12, v142
	v_mov_b32_e32 v13, v146
	v_pk_mul_f32 v[12:13], v[2:3], v[12:13] op_sel_hi:[0,1]
	v_mov_b32_e32 v146, v143
	v_pk_fma_f32 v[12:13], v[12:13], v[14:15], v[136:137]
	v_pk_mul_f32 v[14:15], v[2:3], v[146:147] op_sel:[1,0]
	v_mov_b32_e32 v136, v148
	v_pk_fma_f32 v[12:13], v[14:15], v[150:151], v[12:13]
	v_cvt_f32_i32_e32 v15, v164
	v_cvt_f32_i32_e32 v14, v163
	v_mov_b32_e32 v137, v144
	v_pk_mul_f32 v[136:137], v[4:5], v[136:137] op_sel_hi:[0,1]
	v_mov_b32_e32 v142, v5
	v_pk_fma_f32 v[12:13], v[136:137], v[14:15], v[12:13]
	v_cvt_f32_i32_e32 v15, v168
	v_cvt_f32_i32_e32 v14, v167
	v_mov_b32_e32 v144, v149
	v_pk_mul_f32 v[136:137], v[142:143], v[144:145] op_sel_hi:[0,1]
	v_add_u32_e32 v5, 0x4168, v37
	v_pk_fma_f32 v[136:137], v[136:137], v[14:15], v[12:13]
	ds_read2_b32 v[12:13], v5 offset1:1
	v_mov_b32_e32 v25, 0
	s_waitcnt lgkmcnt(1)
	v_dot4c_i32_i8_e32 v25, v154, v16
	v_add_u32_e32 v14, 0x4170, v37
	v_dot4c_i32_i8_e32 v25, v155, v8
	v_add_u32_e32 v143, 0x4178, v37
	v_add_u32_e32 v5, 0x61e0, v37
	ds_read2_b32 v[14:15], v14 offset1:1
	ds_read2_b32 v[144:145], v143 offset1:1
	;; [unrolled: 1-line block ×3, first 2 shown]
	s_waitcnt lgkmcnt(3)
	v_dot4c_i32_i8_e32 v25, v12, v17
	v_add_u32_e32 v5, 0x61e8, v37
	v_dot4c_i32_i8_e32 v25, v13, v9
	ds_read2_b32 v[12:13], v5 offset1:1
	s_waitcnt lgkmcnt(3)
	v_dot4c_i32_i8_e32 v25, v14, v18
	v_add_u32_e32 v5, 0x61f0, v37
	v_dot4c_i32_i8_e32 v25, v15, v10
	v_mov_b32_e32 v143, 0
	ds_read2_b32 v[14:15], v5 offset1:1
	s_waitcnt lgkmcnt(3)
	v_dot4c_i32_i8_e32 v25, v144, v19
	s_waitcnt lgkmcnt(2)
	v_dot4c_i32_i8_e32 v143, v146, v16
	v_add_u32_e32 v5, 0x61f8, v37
	v_dot4c_i32_i8_e32 v25, v145, v11
	v_dot4c_i32_i8_e32 v143, v147, v8
	ds_read2_b32 v[144:145], v5 offset1:1
	s_waitcnt lgkmcnt(2)
	v_dot4c_i32_i8_e32 v143, v12, v17
	v_dot4c_i32_i8_e32 v143, v13, v9
	s_waitcnt lgkmcnt(1)
	v_dot4c_i32_i8_e32 v143, v14, v18
	v_dot4c_i32_i8_e32 v143, v15, v10
	;; [unrolled: 3-line block ×3, first 2 shown]
	v_cvt_f32_i32_e32 v11, v158
	v_cvt_f32_i32_e32 v10, v157
	;; [unrolled: 1-line block ×4, first 2 shown]
	v_mov_b32_e32 v8, v6
	v_mov_b32_e32 v9, v20
	v_pk_mul_f32 v[8:9], v[2:3], v[8:9] op_sel_hi:[0,1]
	v_mov_b32_e32 v20, v7
	v_pk_fma_f32 v[8:9], v[8:9], v[10:11], v[132:133]
	v_pk_mul_f32 v[2:3], v[2:3], v[20:21] op_sel:[1,0]
	v_mov_b32_e32 v6, v152
	v_pk_fma_f32 v[2:3], v[2:3], v[12:13], v[8:9]
	v_mov_b32_e32 v7, v138
	v_cvt_f32_i32_e32 v9, v166
	v_cvt_f32_i32_e32 v8, v165
	v_pk_mul_f32 v[4:5], v[4:5], v[6:7] op_sel_hi:[0,1]
	v_cvt_f32_i32_e32 v7, v143
	v_cvt_f32_i32_e32 v6, v25
	v_mov_b32_e32 v138, v153
	v_pk_fma_f32 v[2:3], v[4:5], v[8:9], v[2:3]
	v_pk_mul_f32 v[4:5], v[142:143], v[138:139] op_sel_hi:[0,1]
	v_pk_fma_f32 v[132:133], v[4:5], v[6:7], v[2:3]
	s_cmp_ge_i32 s6, s5
	s_barrier
	s_cbranch_scc1 .LBB182_5
; %bb.13:                               ;   in Loop: Header=BB182_6 Depth=1
	v_add_u32_e32 v2, s4, v47
	v_cmp_gt_i32_e64 s[2:3], s8, v2
	s_and_b64 s[22:23], s[0:1], s[2:3]
	s_and_saveexec_b64 s[2:3], s[22:23]
	s_cbranch_execz .LBB182_15
; %bb.14:                               ;   in Loop: Header=BB182_6 Depth=1
	v_add_u32_e32 v2, s4, v49
	v_mad_i64_i32 v[2:3], s[22:23], v2, 36, v[58:59]
	global_load_dword v2, v[2:3], off offset:4
	s_waitcnt vmcnt(0)
	ds_write_b32 v29, v2
.LBB182_15:                             ;   in Loop: Header=BB182_6 Depth=1
	s_or_b64 exec, exec, s[2:3]
	s_and_saveexec_b64 s[22:23], vcc
	s_cbranch_execz .LBB182_4
; %bb.16:                               ;   in Loop: Header=BB182_6 Depth=1
	v_add3_u32 v2, v22, s4, 4
	v_cmp_gt_i32_e64 s[2:3], s8, v2
	s_and_b64 s[2:3], s[0:1], s[2:3]
	s_and_b64 exec, exec, s[2:3]
	s_cbranch_execz .LBB182_4
; %bb.17:                               ;   in Loop: Header=BB182_6 Depth=1
	global_load_dword v2, v[60:61], off
	s_waitcnt vmcnt(0)
	v_cvt_f32_f16_e32 v2, v2
	ds_write_b32 v31, v2
	s_branch .LBB182_4
.LBB182_18:
	v_mov_b32_e32 v132, v133
	v_mov_b32_e32 v137, v133
	;; [unrolled: 1-line block ×3, first 2 shown]
.LBB182_19:
	s_mul_i32 s0, s10, s7
	s_waitcnt vmcnt(0)
	v_cmp_gt_i32_e32 vcc, s0, v1
	s_and_saveexec_b64 s[0:1], vcc
	s_cbranch_execz .LBB182_28
; %bb.20:
	v_and_b32_e32 v0, 0x3ff, v0
	v_add_u32_e32 v2, s11, v0
	v_mul_lo_u32 v0, v1, s9
	v_cmp_gt_u32_e32 vcc, s9, v2
	s_and_saveexec_b64 s[0:1], vcc
	s_cbranch_execz .LBB182_22
; %bb.21:
	v_add_u32_e32 v4, v0, v2
	v_mov_b32_e32 v5, 0
	v_lshl_add_u64 v[4:5], v[4:5], 2, s[16:17]
	global_store_dword v[4:5], v136, off
.LBB182_22:
	s_or_b64 exec, exec, s[0:1]
	v_add_u32_e32 v1, 32, v2
	v_cmp_gt_u32_e32 vcc, s9, v1
	s_and_saveexec_b64 s[0:1], vcc
	s_cbranch_execz .LBB182_24
; %bb.23:
	v_add_u32_e32 v4, v0, v1
	v_mov_b32_e32 v5, 0
	v_lshl_add_u64 v[4:5], v[4:5], 2, s[16:17]
	global_store_dword v[4:5], v137, off
.LBB182_24:
	s_or_b64 exec, exec, s[0:1]
	v_add_u32_e32 v1, 64, v2
	;; [unrolled: 11-line block ×3, first 2 shown]
	v_cmp_gt_u32_e32 vcc, s9, v1
	s_and_b64 exec, exec, vcc
	s_cbranch_execz .LBB182_28
; %bb.27:
	v_add_u32_e32 v0, v0, v1
	v_mov_b32_e32 v1, 0
	v_lshl_add_u64 v[0:1], v[0:1], 2, s[16:17]
	global_store_dword v[0:1], v133, off
.LBB182_28:
	s_endpgm
	.section	.rodata,"a",@progbits
	.p2align	6, 0x0
	.amdhsa_kernel _ZL8moe_q5_0IfLb1EEvPKvS1_PT_PKiS5_S5_iiiiiii
		.amdhsa_group_segment_fixed_size 38656
		.amdhsa_private_segment_fixed_size 0
		.amdhsa_kernarg_size 76
		.amdhsa_user_sgpr_count 2
		.amdhsa_user_sgpr_dispatch_ptr 0
		.amdhsa_user_sgpr_queue_ptr 0
		.amdhsa_user_sgpr_kernarg_segment_ptr 1
		.amdhsa_user_sgpr_dispatch_id 0
		.amdhsa_user_sgpr_kernarg_preload_length 0
		.amdhsa_user_sgpr_kernarg_preload_offset 0
		.amdhsa_user_sgpr_private_segment_size 0
		.amdhsa_uses_dynamic_stack 0
		.amdhsa_enable_private_segment 0
		.amdhsa_system_sgpr_workgroup_id_x 1
		.amdhsa_system_sgpr_workgroup_id_y 1
		.amdhsa_system_sgpr_workgroup_id_z 0
		.amdhsa_system_sgpr_workgroup_info 0
		.amdhsa_system_vgpr_workitem_id 1
		.amdhsa_next_free_vgpr 169
		.amdhsa_next_free_sgpr 28
		.amdhsa_accum_offset 172
		.amdhsa_reserve_vcc 1
		.amdhsa_float_round_mode_32 0
		.amdhsa_float_round_mode_16_64 0
		.amdhsa_float_denorm_mode_32 3
		.amdhsa_float_denorm_mode_16_64 3
		.amdhsa_dx10_clamp 1
		.amdhsa_ieee_mode 1
		.amdhsa_fp16_overflow 0
		.amdhsa_tg_split 0
		.amdhsa_exception_fp_ieee_invalid_op 0
		.amdhsa_exception_fp_denorm_src 0
		.amdhsa_exception_fp_ieee_div_zero 0
		.amdhsa_exception_fp_ieee_overflow 0
		.amdhsa_exception_fp_ieee_underflow 0
		.amdhsa_exception_fp_ieee_inexact 0
		.amdhsa_exception_int_div_zero 0
	.end_amdhsa_kernel
	.section	.text._ZL8moe_q5_0IfLb1EEvPKvS1_PT_PKiS5_S5_iiiiiii,"axG",@progbits,_ZL8moe_q5_0IfLb1EEvPKvS1_PT_PKiS5_S5_iiiiiii,comdat
.Lfunc_end182:
	.size	_ZL8moe_q5_0IfLb1EEvPKvS1_PT_PKiS5_S5_iiiiiii, .Lfunc_end182-_ZL8moe_q5_0IfLb1EEvPKvS1_PT_PKiS5_S5_iiiiiii
                                        ; -- End function
	.section	.AMDGPU.csdata,"",@progbits
; Kernel info:
; codeLenInByte = 12904
; NumSgprs: 34
; NumVgprs: 169
; NumAgprs: 0
; TotalNumVgprs: 169
; ScratchSize: 0
; MemoryBound: 0
; FloatMode: 240
; IeeeMode: 1
; LDSByteSize: 38656 bytes/workgroup (compile time only)
; SGPRBlocks: 4
; VGPRBlocks: 21
; NumSGPRsForWavesPerEU: 34
; NumVGPRsForWavesPerEU: 169
; AccumOffset: 172
; Occupancy: 1
; WaveLimiterHint : 1
; COMPUTE_PGM_RSRC2:SCRATCH_EN: 0
; COMPUTE_PGM_RSRC2:USER_SGPR: 2
; COMPUTE_PGM_RSRC2:TRAP_HANDLER: 0
; COMPUTE_PGM_RSRC2:TGID_X_EN: 1
; COMPUTE_PGM_RSRC2:TGID_Y_EN: 1
; COMPUTE_PGM_RSRC2:TGID_Z_EN: 0
; COMPUTE_PGM_RSRC2:TIDIG_COMP_CNT: 1
; COMPUTE_PGM_RSRC3_GFX90A:ACCUM_OFFSET: 42
; COMPUTE_PGM_RSRC3_GFX90A:TG_SPLIT: 0
	.section	.text._ZL8moe_q5_1IfLb0EEvPKvS1_PT_PKiS5_S5_iiiiiii,"axG",@progbits,_ZL8moe_q5_1IfLb0EEvPKvS1_PT_PKiS5_S5_iiiiiii,comdat
	.globl	_ZL8moe_q5_1IfLb0EEvPKvS1_PT_PKiS5_S5_iiiiiii ; -- Begin function _ZL8moe_q5_1IfLb0EEvPKvS1_PT_PKiS5_S5_iiiiiii
	.p2align	8
	.type	_ZL8moe_q5_1IfLb0EEvPKvS1_PT_PKiS5_S5_iiiiiii,@function
_ZL8moe_q5_1IfLb0EEvPKvS1_PT_PKiS5_S5_iiiiiii: ; @_ZL8moe_q5_1IfLb0EEvPKvS1_PT_PKiS5_S5_iiiiiii
; %bb.0:
	s_load_dwordx4 s[4:7], s[0:1], 0x18
	s_mov_b32 s8, s3
	s_mov_b32 s9, 0
	s_lshl_b64 s[10:11], s[8:9], 2
	s_waitcnt lgkmcnt(0)
	s_add_u32 s6, s6, s10
	s_addc_u32 s7, s7, s11
	s_load_dword s3, s[6:7], 0x0
	s_waitcnt lgkmcnt(0)
	s_cmpk_gt_u32 s3, 0xff
	s_cbranch_scc1 .LBB183_28
; %bb.1:
	s_load_dwordx2 s[6:7], s[0:1], 0x28
	s_waitcnt lgkmcnt(0)
	s_load_dword s7, s[6:7], 0x0
	s_lshl_b32 s6, s8, 3
	s_waitcnt lgkmcnt(0)
	s_cmp_gt_u32 s6, s7
	s_cbranch_scc1 .LBB183_28
; %bb.2:
	v_bfe_u32 v2, v0, 10, 10
	v_mov_b32_e32 v4, s4
	v_mov_b32_e32 v5, s5
	v_add_u32_e32 v102, s6, v2
	v_mov_b32_e32 v103, 0
	v_lshl_add_u64 v[4:5], v[102:103], 2, v[4:5]
	global_load_dword v1, v[4:5], off
	s_load_dwordx2 s[14:15], s[0:1], 0x30
	s_load_dwordx2 s[12:13], s[0:1], 0x10
	s_load_dwordx4 s[4:7], s[0:1], 0x3c
	s_lshl_b32 s22, s2, 7
	s_waitcnt lgkmcnt(0)
	s_cmp_lt_i32 s15, 32
	s_cbranch_scc1 .LBB183_18
; %bb.3:
	s_load_dwordx4 s[8:11], s[0:1], 0x0
	s_ashr_i32 s0, s15, 31
	s_ashr_i32 s1, s5, 31
	s_lshr_b32 s0, s0, 27
	s_lshr_b32 s1, s1, 27
	s_add_i32 s0, s15, s0
	s_add_i32 s1, s5, s1
	v_and_b32_e32 v22, 0x3ff, v0
	s_ashr_i32 s23, s0, 5
	s_ashr_i32 s5, s1, 5
	v_lshlrev_b32_e32 v4, 3, v22
	s_movk_i32 s1, 0x104
	v_mul_lo_u32 v9, s23, v2
	v_mad_u32_u24 v120, v2, s1, v4
	s_lshl_b32 s1, s23, 3
	v_add_u32_e32 v10, s1, v9
	v_add_u32_e32 v11, s1, v10
	;; [unrolled: 1-line block ×13, first 2 shown]
	v_lshlrev_b32_e32 v6, 2, v2
	v_lshrrev_b32_e32 v136, 3, v22
	v_add_u32_e32 v86, s1, v82
	v_and_b32_e32 v100, 7, v22
	v_add_u32_e32 v4, v136, v6
	v_add_u32_e32 v90, s1, v86
	v_and_b32_e32 v5, 0x1ffc, v4
	v_lshlrev_b32_e32 v7, 2, v100
	s_mov_b32 s1, 0x8200
	v_add3_u32 v102, v5, v7, s1
	v_add_u32_e32 v5, 32, v4
	v_mul_lo_u32 v94, s23, v4
	v_lshlrev_b32_e32 v103, 5, v4
	v_and_b32_e32 v23, 0x3ffc, v5
	v_lshlrev_b32_e32 v105, 5, v5
	v_add_u32_e32 v5, 64, v4
	v_add_u32_e32 v4, 0x60, v4
	v_lshlrev_b32_e32 v3, 2, v22
	v_mov_b32_e32 v25, 0
	v_add3_u32 v104, v23, v7, s1
	v_and_b32_e32 v23, 0x3ffc, v5
	v_lshlrev_b32_e32 v107, 5, v5
	v_and_b32_e32 v5, 0x3ffc, v4
	v_add3_u32 v108, v5, v7, s1
	v_lshlrev_b32_e32 v109, 5, v4
	v_and_b32_e32 v4, 28, v3
	v_mov_b32_e32 v5, v25
	v_and_b32_e32 v24, 12, v3
	v_add3_u32 v106, v23, v7, s1
	v_and_b32_e32 v7, 31, v22
	s_waitcnt lgkmcnt(0)
	v_lshl_add_u64 v[26:27], s[10:11], 0, v[4:5]
	v_lshlrev_b32_e32 v3, 7, v2
	v_mov_b32_e32 v5, 0x9680
	v_lshl_or_b32 v4, v7, 2, v3
	v_add_u32_e32 v139, 0x9280, v3
	v_lshl_add_u32 v140, v2, 4, v5
	v_and_b32_e32 v2, 0xfc, v22
	v_lshlrev_b32_e32 v3, 5, v22
	v_add_u32_e32 v137, 0x9280, v4
	v_or_b32_e32 v4, v6, v22
	v_add3_u32 v142, v3, v2, s1
	v_add_u32_e32 v2, 32, v22
	v_lshl_add_u32 v138, v4, 2, v5
	v_and_b32_e32 v3, 0x1fc, v2
	v_lshlrev_b32_e32 v4, 5, v2
	v_add3_u32 v143, v4, v3, s1
	v_add_u32_e32 v3, 64, v22
	s_mul_i32 s16, s3, s14
	v_and_b32_e32 v4, 0x1fc, v3
	v_lshlrev_b32_e32 v3, 5, v3
	s_abs_i32 s3, s7
	v_add3_u32 v144, v3, v4, s1
	v_cvt_f32_u32_e32 v4, s3
	v_add_u32_e32 v3, 0x60, v22
	v_and_b32_e32 v5, 0x1fc, v3
	v_lshlrev_b32_e32 v3, 5, v3
	v_add3_u32 v145, v3, v5, s1
	v_rcp_iflag_f32_e32 v3, v4
	s_andn2_b32 s0, s0, 31
	v_add_u32_e32 v96, s0, v94
	v_add_u32_e32 v98, s0, v96
	v_mul_f32_e32 v3, 0x4f7ffffe, v3
	v_cvt_u32_f32_e32 v3, v3
	v_add_u32_e32 v101, s0, v98
	s_sub_i32 s0, 0, s3
	s_waitcnt vmcnt(0)
	v_sub_u32_e32 v4, 0, v1
	v_mul_lo_u32 v5, s0, v3
	v_mul_hi_u32 v5, v3, v5
	v_max_i32_e32 v4, v1, v4
	v_add_u32_e32 v3, v3, v5
	v_mul_hi_u32 v3, v4, v3
	v_mul_lo_u32 v5, v3, s3
	v_sub_u32_e32 v4, v4, v5
	v_add_u32_e32 v5, 1, v3
	v_cmp_le_u32_e64 s[0:1], s3, v4
	v_lshrrev_b32_e32 v146, 3, v2
	v_xor_b32_e32 v2, s7, v1
	v_cndmask_b32_e64 v3, v3, v5, s[0:1]
	v_subrev_u32_e32 v5, s3, v4
	v_cndmask_b32_e64 v4, v4, v5, s[0:1]
	v_add_u32_e32 v5, 1, v3
	v_cmp_le_u32_e64 s[0:1], s3, v4
	v_ashrrev_i32_e32 v2, 31, v2
	v_mov_b32_e32 v23, v25
	v_cndmask_b32_e64 v3, v3, v5, s[0:1]
	v_xor_b32_e32 v3, v3, v2
	v_sub_u32_e32 v2, v3, v2
	v_cmp_gt_i32_e64 s[0:1], s4, v2
	v_mul_lo_u32 v2, v2, s5
	v_ashrrev_i32_e32 v3, 31, v2
	v_lshl_add_u64 v[4:5], v[2:3], 0, v[22:23]
	v_mad_u64_u32 v[6:7], s[18:19], v4, 36, s[10:11]
	s_mul_i32 s2, s23, s22
	v_mad_i32_i24 v7, v5, 36, v7
	s_mov_b64 s[18:19], 0x90
	v_lshl_add_u64 v[28:29], v[6:7], 0, s[18:19]
	s_mul_hi_i32 s3, s2, 24
	s_mul_i32 s18, s2, 24
	v_lshrrev_b32_e32 v8, 2, v22
	v_add_u32_e32 v23, v22, v2
	v_add_u32_e32 v147, v146, v2
	v_add_u32_e32 v148, v136, v2
	v_mov_b32_e32 v2, s18
	v_mov_b32_e32 v3, s3
	v_mad_u64_u32 v[2:3], s[18:19], v8, 24, v[2:3]
	v_mad_u64_u32 v[4:5], s[18:19], v9, 24, v[2:3]
	v_lshl_add_u64 v[6:7], v[4:5], 0, v[24:25]
	v_lshl_add_u64 v[32:33], s[8:9], 0, v[4:5]
	v_mad_u64_u32 v[4:5], s[18:19], v10, 24, v[2:3]
	v_lshl_add_u64 v[6:7], v[6:7], 0, s[8:9]
	v_lshl_add_u64 v[4:5], v[4:5], 0, s[8:9]
	;; [unrolled: 1-line block ×5, first 2 shown]
	v_mad_u64_u32 v[4:5], s[18:19], v11, 24, v[2:3]
	v_lshl_add_u64 v[4:5], v[4:5], 0, s[8:9]
	v_lshl_add_u64 v[34:35], v[6:7], 0, 8
	v_lshl_add_u64 v[6:7], v[4:5], 0, v[24:25]
	v_lshl_add_u64 v[40:41], v[4:5], 0, 4
	v_mad_u64_u32 v[4:5], s[18:19], v12, 24, v[2:3]
	v_lshl_add_u64 v[4:5], v[4:5], 0, s[8:9]
	v_lshl_add_u64 v[38:39], v[6:7], 0, 8
	v_lshl_add_u64 v[6:7], v[4:5], 0, v[24:25]
	v_lshl_add_u64 v[44:45], v[4:5], 0, 4
	;; [unrolled: 5-line block ×12, first 2 shown]
	v_mad_u64_u32 v[4:5], s[18:19], v86, 24, v[2:3]
	v_mad_u64_u32 v[2:3], s[18:19], v90, 24, v[2:3]
	v_lshl_add_u64 v[4:5], v[4:5], 0, s[8:9]
	v_lshl_add_u64 v[2:3], v[2:3], 0, s[8:9]
	;; [unrolled: 1-line block ×7, first 2 shown]
	v_mad_u64_u32 v[2:3], s[18:19], v94, 24, 0
	v_mad_i64_i32 v[2:3], s[18:19], s2, 24, v[2:3]
	v_mad_u64_u32 v[2:3], s[18:19], v100, 24, v[2:3]
	v_lshl_add_u64 v[94:95], s[8:9], 0, v[2:3]
	v_mad_u64_u32 v[2:3], s[18:19], v96, 24, 0
	v_mad_i64_i32 v[2:3], s[18:19], s2, 24, v[2:3]
	v_mad_u64_u32 v[2:3], s[18:19], v100, 24, v[2:3]
	v_lshl_add_u64 v[96:97], s[8:9], 0, v[2:3]
	;; [unrolled: 4-line block ×3, first 2 shown]
	v_mad_u64_u32 v[2:3], s[18:19], v101, 24, 0
	v_mad_i64_i32 v[2:3], s[2:3], s2, 24, v[2:3]
	v_mad_u64_u32 v[2:3], s[2:3], v100, 24, v[2:3]
	s_ashr_i32 s17, s16, 31
	s_mov_b32 s14, 0
	v_add_u32_e32 v121, 0x820, v120
	v_add_u32_e32 v122, 0x1040, v120
	;; [unrolled: 1-line block ×15, first 2 shown]
	v_cmp_gt_u32_e32 vcc, 4, v22
	v_mul_u32_u24_e32 v141, 0x104, v22
	v_lshl_add_u64 v[86:87], v[6:7], 0, 8
	v_lshl_add_u64 v[90:91], v[4:5], 0, 8
	;; [unrolled: 1-line block ×3, first 2 shown]
	s_movk_i32 s24, 0x80
	v_add_u32_e32 v149, v102, v103
	v_add_u32_e32 v150, v104, v105
	;; [unrolled: 1-line block ×4, first 2 shown]
	s_mov_b64 s[8:9], 0x120
	s_mov_b64 s[18:19], 0xc0
	v_mov_b32_e32 v104, v25
	v_mov_b32_e32 v105, v25
	;; [unrolled: 1-line block ×4, first 2 shown]
	s_branch .LBB183_6
.LBB183_4:                              ;   in Loop: Header=BB183_6 Depth=1
	s_or_b64 exec, exec, s[20:21]
	s_waitcnt lgkmcnt(0)
	s_barrier
	ds_read_b128 v[14:17], v139
	ds_read_b128 v[18:21], v139 offset:16
	ds_read_b128 v[2:5], v140
	ds_read2_b32 v[106:107], v141 offset0:32 offset1:33
	ds_read_b128 v[10:13], v139 offset:32
	ds_read_b128 v[6:9], v139 offset:48
	ds_read2_b32 v[108:109], v142 offset0:4 offset1:5
	ds_read2_b32 v[110:111], v141 offset0:34 offset1:35
	v_mov_b32_e32 v25, 0
	s_waitcnt lgkmcnt(4)
	v_dot4c_i32_i8_e32 v25, v106, v14
	v_dot4c_i32_i8_e32 v25, v107, v18
	ds_read2_b32 v[106:107], v141 offset0:36 offset1:37
	ds_read2_b32 v[114:115], v141 offset0:38 offset1:39
	;; [unrolled: 1-line block ×3, first 2 shown]
	s_waitcnt lgkmcnt(3)
	v_dot4c_i32_i8_e32 v25, v110, v15
	v_dot4c_i32_i8_e32 v25, v111, v19
	s_waitcnt lgkmcnt(2)
	v_dot4c_i32_i8_e32 v25, v106, v16
	v_dot4c_i32_i8_e32 v25, v107, v20
	;; [unrolled: 3-line block ×3, first 2 shown]
	v_add_u32_e32 v106, 0x2100, v141
	ds_read2_b32 v[114:115], v141 offset0:58 offset1:59
	ds_read2_b32 v[116:117], v141 offset0:60 offset1:61
	ds_read2_b32 v[118:119], v141 offset0:62 offset1:63
	ds_read2_b32 v[110:111], v106 offset1:1
	v_mov_b32_e32 v168, 0
	v_pk_mul_f16 v153, v2, v108
	v_add_u32_e32 v108, 0x2108, v141
	ds_read2_b32 v[154:155], v143 offset0:4 offset1:5
	ds_read2_b32 v[106:107], v145 offset0:6 offset1:7
	s_waitcnt lgkmcnt(2)
	v_dot4c_i32_i8_e32 v168, v110, v14
	v_dot4c_i32_i8_e32 v168, v111, v18
	ds_read2_b32 v[110:111], v108 offset1:1
	v_add_u32_e32 v156, 0x2110, v141
	v_add_u32_e32 v158, 0x2118, v141
	;; [unrolled: 1-line block ×3, first 2 shown]
	ds_read2_b32 v[156:157], v156 offset1:1
	ds_read2_b32 v[158:159], v158 offset1:1
	;; [unrolled: 1-line block ×3, first 2 shown]
	s_waitcnt lgkmcnt(3)
	v_dot4c_i32_i8_e32 v168, v110, v15
	v_dot4c_i32_i8_e32 v168, v111, v19
	s_waitcnt lgkmcnt(2)
	v_dot4c_i32_i8_e32 v168, v156, v16
	v_dot4c_i32_i8_e32 v168, v157, v20
	v_mov_b32_e32 v169, 0
	s_waitcnt lgkmcnt(1)
	v_dot4c_i32_i8_e32 v168, v158, v17
	s_waitcnt lgkmcnt(0)
	v_dot4c_i32_i8_e32 v169, v160, v14
	v_add_u32_e32 v108, 0x4188, v141
	v_add_u32_e32 v162, 0x4190, v141
	;; [unrolled: 1-line block ×3, first 2 shown]
	v_dot4c_i32_i8_e32 v168, v159, v21
	ds_read2_b32 v[156:157], v144 offset0:4 offset1:5
	ds_read2_b32 v[110:111], v143 offset0:6 offset1:7
	;; [unrolled: 1-line block ×3, first 2 shown]
	v_dot4c_i32_i8_e32 v169, v161, v18
	ds_read2_b32 v[160:161], v108 offset1:1
	v_add_u32_e32 v108, 0x6200, v141
	ds_read2_b32 v[162:163], v162 offset1:1
	ds_read2_b32 v[164:165], v164 offset1:1
	;; [unrolled: 1-line block ×3, first 2 shown]
	v_mov_b32_e32 v170, 0
	v_add_u32_e32 v108, 0x6218, v141
	s_waitcnt lgkmcnt(3)
	v_dot4c_i32_i8_e32 v169, v160, v15
	v_dot4c_i32_i8_e32 v169, v161, v19
	s_waitcnt lgkmcnt(0)
	v_dot4c_i32_i8_e32 v170, v166, v14
	v_add_u32_e32 v14, 0x6208, v141
	ds_read2_b32 v[160:161], v14 offset1:1
	v_dot4c_i32_i8_e32 v169, v162, v16
	v_dot4c_i32_i8_e32 v169, v163, v20
	;; [unrolled: 1-line block ×4, first 2 shown]
	v_add_u32_e32 v18, 0x6210, v141
	v_dot4c_i32_i8_e32 v169, v165, v21
	v_add_u32_e32 v14, 0x2120, v141
	ds_read2_b32 v[162:163], v18 offset1:1
	ds_read2_b32 v[164:165], v108 offset1:1
	;; [unrolled: 1-line block ×3, first 2 shown]
	s_waitcnt lgkmcnt(3)
	v_dot4c_i32_i8_e32 v170, v160, v15
	v_dot4c_i32_i8_e32 v170, v161, v19
	s_waitcnt lgkmcnt(2)
	v_dot4c_i32_i8_e32 v170, v162, v16
	v_dot4c_i32_i8_e32 v170, v163, v20
	ds_read2_b32 v[18:19], v145 offset0:4 offset1:5
	ds_read2_b32 v[14:15], v144 offset0:6 offset1:7
	s_waitcnt lgkmcnt(3)
	v_dot4c_i32_i8_e32 v170, v164, v17
	ds_read2_b32 v[16:17], v141 offset0:42 offset1:43
	v_mov_b32_e32 v163, 0
	v_dot4c_i32_i8_e32 v163, v112, v10
	v_dot4c_i32_i8_e32 v170, v165, v21
	;; [unrolled: 1-line block ×3, first 2 shown]
	ds_read2_b32 v[20:21], v141 offset0:44 offset1:45
	ds_read2_b32 v[112:113], v141 offset0:46 offset1:47
	;; [unrolled: 1-line block ×3, first 2 shown]
	v_pk_mul_f16 v154, v2, v154
	v_pk_mul_f16 v156, v2, v156
	s_waitcnt lgkmcnt(5)
	v_pk_mul_f16 v162, v2, v18
	s_waitcnt lgkmcnt(3)
	v_dot4c_i32_i8_e32 v163, v16, v11
	v_add_u32_e32 v2, 0x2128, v141
	v_dot4c_i32_i8_e32 v163, v17, v7
	ds_read2_b32 v[16:17], v2 offset1:1
	s_waitcnt lgkmcnt(3)
	v_dot4c_i32_i8_e32 v163, v20, v12
	v_dot4c_i32_i8_e32 v163, v21, v8
	v_mov_b32_e32 v165, 0
	s_waitcnt lgkmcnt(2)
	v_dot4c_i32_i8_e32 v163, v112, v13
	v_dot4c_i32_i8_e32 v165, v166, v10
	v_add_u32_e32 v18, 0x2130, v141
	v_add_u32_e32 v108, 0x2138, v141
	v_dot4c_i32_i8_e32 v163, v113, v9
	v_pk_mul_f16 v164, v3, v109
	v_dot4c_i32_i8_e32 v165, v167, v6
	v_add_u32_e32 v2, 0x41a0, v141
	ds_read2_b32 v[20:21], v18 offset1:1
	ds_read2_b32 v[108:109], v108 offset1:1
	;; [unrolled: 1-line block ×3, first 2 shown]
	s_waitcnt lgkmcnt(3)
	v_dot4c_i32_i8_e32 v165, v16, v11
	v_dot4c_i32_i8_e32 v165, v17, v7
	v_add_u32_e32 v2, 0x41a8, v141
	s_waitcnt lgkmcnt(2)
	v_dot4c_i32_i8_e32 v165, v20, v12
	ds_read2_b32 v[16:17], v2 offset1:1
	v_dot4c_i32_i8_e32 v165, v21, v8
	v_mov_b32_e32 v166, 0
	s_waitcnt lgkmcnt(2)
	v_dot4c_i32_i8_e32 v165, v108, v13
	s_waitcnt lgkmcnt(1)
	v_dot4c_i32_i8_e32 v166, v112, v10
	v_add_u32_e32 v18, 0x41b0, v141
	v_add_u32_e32 v108, 0x41b8, v141
	v_dot4c_i32_i8_e32 v165, v109, v9
	v_dot4c_i32_i8_e32 v166, v113, v6
	v_add_u32_e32 v2, 0x6220, v141
	ds_read2_b32 v[20:21], v18 offset1:1
	ds_read2_b32 v[108:109], v108 offset1:1
	;; [unrolled: 1-line block ×3, first 2 shown]
	s_waitcnt lgkmcnt(3)
	v_dot4c_i32_i8_e32 v166, v16, v11
	v_add_u32_e32 v2, 0x6228, v141
	v_dot4c_i32_i8_e32 v166, v17, v7
	ds_read2_b32 v[16:17], v2 offset1:1
	s_waitcnt lgkmcnt(3)
	v_dot4c_i32_i8_e32 v166, v20, v12
	v_mov_b32_e32 v167, 0
	v_dot4c_i32_i8_e32 v166, v21, v8
	s_waitcnt lgkmcnt(1)
	v_dot4c_i32_i8_e32 v167, v112, v10
	v_dot4c_i32_i8_e32 v166, v108, v13
	;; [unrolled: 1-line block ×3, first 2 shown]
	v_add_u32_e32 v6, 0x6230, v141
	v_dot4c_i32_i8_e32 v166, v109, v9
	v_add_u32_e32 v10, 0x6238, v141
	v_add_u32_e32 v2, 0x2140, v141
	ds_read2_b32 v[20:21], v6 offset1:1
	ds_read2_b32 v[108:109], v10 offset1:1
	;; [unrolled: 1-line block ×3, first 2 shown]
	s_waitcnt lgkmcnt(3)
	v_dot4c_i32_i8_e32 v167, v16, v11
	v_dot4c_i32_i8_e32 v167, v17, v7
	s_waitcnt lgkmcnt(2)
	v_dot4c_i32_i8_e32 v167, v20, v12
	v_dot4c_i32_i8_e32 v167, v21, v8
	s_waitcnt lgkmcnt(1)
	v_dot4c_i32_i8_e32 v167, v108, v13
	ds_read_b128 v[10:13], v139 offset:64
	v_dot4c_i32_i8_e32 v167, v109, v9
	ds_read_b128 v[6:9], v139 offset:80
	v_pk_mul_f16 v155, v3, v155
	v_pk_mul_f16 v157, v3, v157
	;; [unrolled: 1-line block ×3, first 2 shown]
	ds_read2_b32 v[2:3], v141 offset0:50 offset1:51
	v_mov_b32_e32 v172, 0
	s_waitcnt lgkmcnt(2)
	v_dot4c_i32_i8_e32 v172, v160, v10
	s_waitcnt lgkmcnt(1)
	v_dot4c_i32_i8_e32 v172, v161, v6
	ds_read2_b32 v[16:17], v141 offset0:52 offset1:53
	ds_read2_b32 v[18:19], v141 offset0:54 offset1:55
	;; [unrolled: 1-line block ×3, first 2 shown]
	s_waitcnt lgkmcnt(3)
	v_dot4c_i32_i8_e32 v172, v2, v11
	v_add_u32_e32 v2, 0x2148, v141
	v_dot4c_i32_i8_e32 v172, v3, v7
	ds_read2_b32 v[2:3], v2 offset1:1
	s_waitcnt lgkmcnt(3)
	v_dot4c_i32_i8_e32 v172, v16, v12
	v_dot4c_i32_i8_e32 v172, v17, v8
	v_mov_b32_e32 v160, 0
	s_waitcnt lgkmcnt(2)
	v_dot4c_i32_i8_e32 v172, v18, v13
	v_dot4c_i32_i8_e32 v160, v112, v10
	v_add_u32_e32 v16, 0x2150, v141
	v_add_u32_e32 v18, 0x2158, v141
	;; [unrolled: 1-line block ×3, first 2 shown]
	v_dot4c_i32_i8_e32 v172, v19, v9
	v_dot4c_i32_i8_e32 v160, v113, v6
	ds_read2_b32 v[16:17], v16 offset1:1
	ds_read2_b32 v[18:19], v18 offset1:1
	;; [unrolled: 1-line block ×3, first 2 shown]
	s_waitcnt lgkmcnt(3)
	v_dot4c_i32_i8_e32 v160, v2, v11
	v_dot4c_i32_i8_e32 v160, v3, v7
	v_add_u32_e32 v2, 0x41c8, v141
	s_waitcnt lgkmcnt(2)
	v_dot4c_i32_i8_e32 v160, v16, v12
	ds_read2_b32 v[2:3], v2 offset1:1
	v_dot4c_i32_i8_e32 v160, v17, v8
	v_mov_b32_e32 v161, 0
	s_waitcnt lgkmcnt(2)
	v_dot4c_i32_i8_e32 v160, v18, v13
	s_waitcnt lgkmcnt(1)
	v_dot4c_i32_i8_e32 v161, v108, v10
	v_add_u32_e32 v16, 0x41d0, v141
	v_add_u32_e32 v18, 0x41d8, v141
	;; [unrolled: 1-line block ×3, first 2 shown]
	v_dot4c_i32_i8_e32 v160, v19, v9
	v_dot4c_i32_i8_e32 v161, v109, v6
	ds_read2_b32 v[16:17], v16 offset1:1
	ds_read2_b32 v[18:19], v18 offset1:1
	;; [unrolled: 1-line block ×3, first 2 shown]
	s_waitcnt lgkmcnt(3)
	v_dot4c_i32_i8_e32 v161, v2, v11
	v_add_u32_e32 v2, 0x6248, v141
	v_dot4c_i32_i8_e32 v161, v3, v7
	ds_read2_b32 v[2:3], v2 offset1:1
	v_mov_b32_e32 v174, 0
	s_waitcnt lgkmcnt(1)
	v_dot4c_i32_i8_e32 v174, v108, v10
	v_dot4c_i32_i8_e32 v161, v16, v12
	;; [unrolled: 1-line block ×3, first 2 shown]
	v_add_u32_e32 v6, 0x6250, v141
	v_dot4c_i32_i8_e32 v161, v17, v8
	v_pk_mul_f16 v173, v4, v14
	v_add_u32_e32 v10, 0x6258, v141
	v_add_u32_e32 v14, 0x2160, v141
	ds_read2_b32 v[16:17], v6 offset1:1
	ds_read2_b32 v[108:109], v10 offset1:1
	;; [unrolled: 1-line block ×3, first 2 shown]
	s_waitcnt lgkmcnt(3)
	v_dot4c_i32_i8_e32 v174, v2, v11
	v_dot4c_i32_i8_e32 v174, v3, v7
	s_waitcnt lgkmcnt(2)
	v_dot4c_i32_i8_e32 v174, v16, v12
	v_dot4c_i32_i8_e32 v161, v18, v13
	;; [unrolled: 1-line block ×4, first 2 shown]
	s_waitcnt lgkmcnt(1)
	v_dot4c_i32_i8_e32 v174, v108, v13
	ds_read_b128 v[10:13], v139 offset:96
	ds_read_b128 v[16:19], v139 offset:112
	v_pk_mul_f16 v158, v4, v158
	v_pk_mul_f16 v110, v4, v110
	;; [unrolled: 1-line block ×3, first 2 shown]
	v_mov_b32_e32 v4, 0
	s_waitcnt lgkmcnt(1)
	v_dot4c_i32_i8_e32 v4, v20, v10
	s_waitcnt lgkmcnt(0)
	v_dot4c_i32_i8_e32 v4, v21, v16
	v_add_u32_e32 v2, 0x2168, v141
	v_dot4c_i32_i8_e32 v4, v114, v11
	ds_read2_b32 v[2:3], v2 offset1:1
	v_dot4c_i32_i8_e32 v4, v115, v17
	v_dot4c_i32_i8_e32 v4, v116, v12
	v_mov_b32_e32 v116, 0
	v_dot4c_i32_i8_e32 v116, v112, v10
	v_add_u32_e32 v6, 0x2170, v141
	v_add_u32_e32 v8, 0x2178, v141
	;; [unrolled: 1-line block ×3, first 2 shown]
	v_dot4c_i32_i8_e32 v174, v109, v9
	v_dot4c_i32_i8_e32 v116, v113, v16
	ds_read2_b32 v[6:7], v6 offset1:1
	ds_read2_b32 v[8:9], v8 offset1:1
	;; [unrolled: 1-line block ×3, first 2 shown]
	s_waitcnt lgkmcnt(3)
	v_dot4c_i32_i8_e32 v116, v2, v11
	v_dot4c_i32_i8_e32 v116, v3, v17
	s_waitcnt lgkmcnt(2)
	v_dot4c_i32_i8_e32 v116, v6, v12
	v_dot4c_i32_i8_e32 v116, v7, v18
	;; [unrolled: 3-line block ×3, first 2 shown]
	v_cvt_f32_f16_e32 v3, v154
	v_cvt_f32_f16_e32 v2, v153
	v_cvt_f32_f16_sdwa v7, v154 dst_sel:DWORD dst_unused:UNUSED_PAD src0_sel:WORD_1
	v_cvt_f32_f16_sdwa v6, v153 dst_sel:DWORD dst_unused:UNUSED_PAD src0_sel:WORD_1
	v_cvt_f32_i32_e32 v9, v168
	v_cvt_f32_i32_e32 v8, v25
	v_cvt_f32_f16_e32 v109, v155
	v_cvt_f32_f16_e32 v108, v164
	v_cvt_f32_f16_sdwa v113, v155 dst_sel:DWORD dst_unused:UNUSED_PAD src0_sel:WORD_1
	v_cvt_f32_f16_sdwa v112, v164 dst_sel:DWORD dst_unused:UNUSED_PAD src0_sel:WORD_1
	v_cvt_f32_i32_e32 v115, v165
	v_cvt_f32_i32_e32 v114, v163
	v_dot4c_i32_i8_e32 v4, v117, v18
	v_dot4c_i32_i8_e32 v4, v118, v13
	v_pk_fma_f32 v[2:3], v[2:3], v[8:9], v[6:7]
	v_dot4c_i32_i8_e32 v4, v119, v19
	v_pk_mul_f16 v14, v5, v159
	v_pk_mul_f16 v25, v5, v111
	v_pk_add_f32 v[2:3], v[104:105], v[2:3]
	v_pk_fma_f32 v[6:7], v[108:109], v[114:115], v[112:113]
	v_cvt_f32_f16_e32 v9, v110
	v_cvt_f32_f16_e32 v8, v158
	v_cvt_f32_f16_sdwa v105, v110 dst_sel:DWORD dst_unused:UNUSED_PAD src0_sel:WORD_1
	v_cvt_f32_f16_sdwa v104, v158 dst_sel:DWORD dst_unused:UNUSED_PAD src0_sel:WORD_1
	v_cvt_f32_i32_e32 v109, v160
	v_cvt_f32_i32_e32 v108, v172
	v_cvt_f32_f16_e32 v111, v25
	v_cvt_f32_f16_e32 v110, v14
	v_cvt_f32_f16_sdwa v113, v25 dst_sel:DWORD dst_unused:UNUSED_PAD src0_sel:WORD_1
	v_cvt_f32_f16_sdwa v112, v14 dst_sel:DWORD dst_unused:UNUSED_PAD src0_sel:WORD_1
	v_cvt_f32_i32_e32 v115, v116
	v_cvt_f32_i32_e32 v114, v4
	v_pk_add_f32 v[2:3], v[2:3], v[6:7]
	v_pk_fma_f32 v[6:7], v[8:9], v[108:109], v[104:105]
	v_mov_b32_e32 v25, 0
	v_pk_add_f32 v[2:3], v[2:3], v[6:7]
	v_pk_fma_f32 v[6:7], v[110:111], v[114:115], v[112:113]
	s_waitcnt lgkmcnt(0)
	v_dot4c_i32_i8_e32 v25, v20, v10
	v_pk_add_f32 v[104:105], v[2:3], v[6:7]
	v_add_u32_e32 v2, 0x41e8, v141
	ds_read2_b32 v[2:3], v2 offset1:1
	v_add_u32_e32 v4, 0x41f0, v141
	v_add_u32_e32 v8, 0x41f8, v141
	v_dot4c_i32_i8_e32 v25, v21, v16
	v_add_u32_e32 v14, 0x6260, v141
	ds_read2_b32 v[6:7], v4 offset1:1
	ds_read2_b32 v[8:9], v8 offset1:1
	ds_read2_b32 v[20:21], v14 offset1:1
	s_waitcnt lgkmcnt(3)
	v_dot4c_i32_i8_e32 v25, v2, v11
	v_add_u32_e32 v2, 0x6268, v141
	v_dot4c_i32_i8_e32 v25, v3, v17
	ds_read2_b32 v[2:3], v2 offset1:1
	s_waitcnt lgkmcnt(3)
	v_dot4c_i32_i8_e32 v25, v6, v12
	v_add_u32_e32 v4, 0x6270, v141
	v_dot4c_i32_i8_e32 v25, v7, v18
	ds_read2_b32 v[6:7], v4 offset1:1
	v_mov_b32_e32 v109, 0
	s_waitcnt lgkmcnt(3)
	v_dot4c_i32_i8_e32 v25, v8, v13
	s_waitcnt lgkmcnt(2)
	v_dot4c_i32_i8_e32 v109, v20, v10
	v_add_u32_e32 v4, 0x6278, v141
	v_dot4c_i32_i8_e32 v25, v9, v19
	v_dot4c_i32_i8_e32 v109, v21, v16
	ds_read2_b32 v[8:9], v4 offset1:1
	s_waitcnt lgkmcnt(2)
	v_dot4c_i32_i8_e32 v109, v2, v11
	v_dot4c_i32_i8_e32 v109, v3, v17
	s_waitcnt lgkmcnt(1)
	v_dot4c_i32_i8_e32 v109, v6, v12
	v_dot4c_i32_i8_e32 v109, v7, v18
	s_waitcnt lgkmcnt(0)
	v_dot4c_i32_i8_e32 v109, v8, v13
	v_pk_mul_f16 v108, v5, v15
	v_dot4c_i32_i8_e32 v109, v9, v19
	v_cvt_f32_f16_e32 v3, v162
	v_cvt_f32_f16_e32 v2, v156
	v_cvt_f32_f16_sdwa v7, v162 dst_sel:DWORD dst_unused:UNUSED_PAD src0_sel:WORD_1
	v_cvt_f32_f16_sdwa v6, v156 dst_sel:DWORD dst_unused:UNUSED_PAD src0_sel:WORD_1
	v_cvt_f32_i32_e32 v9, v170
	v_cvt_f32_i32_e32 v8, v169
	v_cvt_f32_f16_e32 v11, v171
	v_cvt_f32_f16_e32 v10, v157
	v_cvt_f32_f16_sdwa v13, v171 dst_sel:DWORD dst_unused:UNUSED_PAD src0_sel:WORD_1
	v_cvt_f32_f16_sdwa v12, v157 dst_sel:DWORD dst_unused:UNUSED_PAD src0_sel:WORD_1
	v_cvt_f32_i32_e32 v15, v167
	v_cvt_f32_i32_e32 v14, v166
	v_pk_mul_f16 v16, v5, v107
	v_pk_fma_f32 v[2:3], v[2:3], v[8:9], v[6:7]
	v_cvt_f32_f16_e32 v7, v106
	v_pk_fma_f32 v[4:5], v[10:11], v[14:15], v[12:13]
	v_cvt_f32_f16_e32 v6, v173
	v_cvt_f32_f16_sdwa v9, v106 dst_sel:DWORD dst_unused:UNUSED_PAD src0_sel:WORD_1
	v_cvt_f32_f16_sdwa v8, v173 dst_sel:DWORD dst_unused:UNUSED_PAD src0_sel:WORD_1
	v_cvt_f32_i32_e32 v11, v174
	v_cvt_f32_i32_e32 v10, v161
	v_cvt_f32_f16_e32 v13, v16
	v_cvt_f32_f16_e32 v12, v108
	v_cvt_f32_f16_sdwa v15, v16 dst_sel:DWORD dst_unused:UNUSED_PAD src0_sel:WORD_1
	v_cvt_f32_f16_sdwa v14, v108 dst_sel:DWORD dst_unused:UNUSED_PAD src0_sel:WORD_1
	v_cvt_f32_i32_e32 v17, v109
	v_cvt_f32_i32_e32 v16, v25
	v_pk_add_f32 v[2:3], v[102:103], v[2:3]
	s_nop 0
	v_pk_add_f32 v[2:3], v[2:3], v[4:5]
	v_pk_fma_f32 v[4:5], v[6:7], v[10:11], v[8:9]
	s_barrier
	v_pk_add_f32 v[2:3], v[2:3], v[4:5]
	v_pk_fma_f32 v[4:5], v[12:13], v[16:17], v[14:15]
	s_nop 0
	v_pk_add_f32 v[102:103], v[2:3], v[4:5]
.LBB183_5:                              ;   in Loop: Header=BB183_6 Depth=1
	s_add_i32 s14, s14, 8
	s_addk_i32 s24, 0x100
	v_lshl_add_u64 v[28:29], v[28:29], 0, s[8:9]
	v_lshl_add_u64 v[30:31], v[30:31], 0, s[18:19]
	;; [unrolled: 1-line block ×36, first 2 shown]
	s_cmp_ge_i32 s14, s23
	v_lshl_add_u64 v[100:101], v[100:101], 0, s[18:19]
	s_cbranch_scc1 .LBB183_19
.LBB183_6:                              ; =>This Inner Loop Header: Depth=1
	v_lshl_add_u64 v[2:3], v[30:31], 0, s[16:17]
	global_load_dword v14, v[2:3], off
	v_lshl_add_u64 v[2:3], v[32:33], 0, s[16:17]
	global_load_dword v15, v[2:3], off offset:4
	v_lshl_add_u64 v[2:3], v[34:35], 0, s[16:17]
	global_load_dword v16, v[2:3], off
	v_lshl_add_u64 v[2:3], v[36:37], 0, s[16:17]
	global_load_dword v17, v[2:3], off
	v_lshl_add_u64 v[4:5], v[40:41], 0, s[16:17]
	v_lshl_add_u64 v[2:3], v[38:39], 0, s[16:17]
	global_load_dword v18, v[4:5], off
	global_load_dword v19, v[2:3], off
	v_lshl_add_u64 v[2:3], v[42:43], 0, s[16:17]
	v_lshl_add_u64 v[4:5], v[44:45], 0, s[16:17]
	;; [unrolled: 1-line block ×6, first 2 shown]
	global_load_dword v20, v[2:3], off
	s_nop 0
	global_load_dword v2, v[4:5], off
	s_nop 0
	global_load_dword v4, v[6:7], off
	global_load_dword v5, v[8:9], off
	s_nop 0
	global_load_dword v6, v[10:11], off
	global_load_dword v7, v[12:13], off
	s_add_i32 s2, s24, 0xffffff80
	s_cmp_lt_i32 s2, s15
	s_waitcnt vmcnt(11)
	v_lshrrev_b32_e32 v8, 4, v14
	v_and_b32_e32 v9, 0xf0f0f0f, v14
	s_waitcnt vmcnt(10)
	v_ashrrev_i32_e32 v3, v24, v15
	v_and_b32_e32 v8, 0xf0f0f0f, v8
	s_waitcnt vmcnt(9)
	v_lshrrev_b32_e32 v11, 4, v16
	v_and_b32_e32 v12, 0xf0f0f0f, v16
	s_waitcnt vmcnt(8)
	v_ashrrev_i32_e32 v10, v24, v17
	v_lshlrev_b32_e32 v16, 4, v3
	s_waitcnt vmcnt(7)
	v_ashrrev_i32_e32 v13, v24, v18
	s_waitcnt vmcnt(6)
	v_lshrrev_b32_e32 v14, 4, v19
	v_and_b32_e32 v15, 0xf0f0f0f, v19
	v_lshlrev_b32_e32 v17, 11, v3
	v_lshrrev_b32_e32 v18, 12, v3
	v_lshrrev_b32_e32 v19, 5, v3
	v_lshlrev_b32_e32 v107, 4, v10
	v_lshlrev_b32_e32 v108, 11, v10
	v_lshrrev_b32_e32 v109, 12, v10
	v_lshrrev_b32_e32 v110, 5, v10
	v_lshlrev_b32_e32 v21, 2, v3
	v_lshlrev_b32_e32 v25, 18, v3
	;; [unrolled: 1-line block ×4, first 2 shown]
	v_and_b32_e32 v11, 0xf0f0f0f, v11
	v_lshlrev_b32_e32 v111, 2, v10
	v_lshlrev_b32_e32 v112, 18, v10
	v_lshlrev_b32_e32 v113, 9, v10
	v_lshlrev_b32_e32 v10, 25, v10
	v_and_b32_e32 v18, 16, v18
	v_and_b32_e32 v16, 16, v16
	;; [unrolled: 1-line block ×16, first 2 shown]
	v_or3_b32 v9, v16, v9, v17
	v_or3_b32 v8, v18, v8, v19
	;; [unrolled: 1-line block ×4, first 2 shown]
	v_lshlrev_b32_e32 v114, 4, v13
	v_lshlrev_b32_e32 v115, 11, v13
	v_lshrrev_b32_e32 v116, 12, v13
	v_lshrrev_b32_e32 v117, 5, v13
	v_or3_b32 v8, v8, v21, v106
	v_or3_b32 v3, v9, v25, v3
	;; [unrolled: 1-line block ×4, first 2 shown]
	v_and_b32_e32 v14, 0xf0f0f0f, v14
	v_and_b32_e32 v116, 16, v116
	;; [unrolled: 1-line block ×5, first 2 shown]
	ds_write2_b32 v120, v3, v8 offset1:1
	ds_write2_b32 v121, v10, v9 offset1:1
	v_lshlrev_b32_e32 v8, 2, v13
	v_lshlrev_b32_e32 v9, 18, v13
	;; [unrolled: 1-line block ×4, first 2 shown]
	v_or3_b32 v15, v114, v15, v115
	v_or3_b32 v3, v116, v14, v117
	v_and_b32_e32 v9, 0x100000, v9
	v_and_b32_e32 v8, 0x100000, v8
	;; [unrolled: 1-line block ×4, first 2 shown]
	v_or3_b32 v3, v3, v8, v10
	v_or3_b32 v8, v15, v9, v11
	ds_write2_b32 v122, v8, v3 offset1:1
	s_waitcnt vmcnt(4)
	v_ashrrev_i32_e32 v8, v24, v2
	v_lshl_add_u64 v[2:3], v[56:57], 0, s[16:17]
	v_lshlrev_b32_e32 v9, 4, v8
	v_lshlrev_b32_e32 v10, 11, v8
	v_lshrrev_b32_e32 v11, 4, v20
	v_lshrrev_b32_e32 v12, 12, v8
	;; [unrolled: 1-line block ×3, first 2 shown]
	global_load_dword v14, v[2:3], off
	v_lshl_add_u64 v[2:3], v[54:55], 0, s[16:17]
	v_and_b32_e32 v11, 0xf0f0f0f, v11
	global_load_dword v15, v[2:3], off
	v_and_b32_e32 v2, 0xf0f0f0f, v20
	v_and_b32_e32 v3, 16, v12
	;; [unrolled: 1-line block ×5, first 2 shown]
	v_or3_b32 v2, v9, v2, v10
	v_or3_b32 v3, v3, v11, v12
	v_lshlrev_b32_e32 v9, 2, v8
	v_lshlrev_b32_e32 v10, 18, v8
	;; [unrolled: 1-line block ×4, first 2 shown]
	v_and_b32_e32 v10, 0x100000, v10
	v_and_b32_e32 v9, 0x100000, v9
	;; [unrolled: 1-line block ×4, first 2 shown]
	v_or3_b32 v3, v3, v9, v11
	v_or3_b32 v2, v2, v10, v8
	ds_write2_b32 v123, v2, v3 offset1:1
	v_lshl_add_u64 v[2:3], v[60:61], 0, s[16:17]
	s_waitcnt vmcnt(4)
	v_ashrrev_i32_e32 v5, v24, v5
	global_load_dword v13, v[2:3], off
	v_lshl_add_u64 v[2:3], v[58:59], 0, s[16:17]
	v_lshlrev_b32_e32 v8, 4, v5
	v_lshlrev_b32_e32 v9, 11, v5
	v_lshrrev_b32_e32 v10, 4, v4
	v_lshrrev_b32_e32 v11, 12, v5
	;; [unrolled: 1-line block ×3, first 2 shown]
	global_load_dword v16, v[2:3], off
	v_and_b32_e32 v10, 0xf0f0f0f, v10
	v_and_b32_e32 v2, 0xf0f0f0f, v4
	;; [unrolled: 1-line block ×6, first 2 shown]
	v_or3_b32 v2, v4, v2, v9
	v_or3_b32 v3, v3, v10, v8
	v_lshlrev_b32_e32 v4, 2, v5
	v_lshlrev_b32_e32 v8, 18, v5
	;; [unrolled: 1-line block ×4, first 2 shown]
	v_and_b32_e32 v8, 0x100000, v8
	v_and_b32_e32 v4, 0x100000, v4
	;; [unrolled: 1-line block ×4, first 2 shown]
	v_or3_b32 v3, v3, v4, v9
	v_or3_b32 v2, v2, v8, v5
	ds_write2_b32 v124, v2, v3 offset1:1
	v_lshl_add_u64 v[2:3], v[64:65], 0, s[16:17]
	s_waitcnt vmcnt(4)
	v_ashrrev_i32_e32 v4, v24, v7
	global_load_dword v11, v[2:3], off
	v_lshl_add_u64 v[2:3], v[62:63], 0, s[16:17]
	v_lshlrev_b32_e32 v5, 4, v4
	v_lshlrev_b32_e32 v7, 11, v4
	v_lshrrev_b32_e32 v8, 4, v6
	v_lshrrev_b32_e32 v9, 12, v4
	;; [unrolled: 1-line block ×3, first 2 shown]
	global_load_dword v12, v[2:3], off
	v_and_b32_e32 v8, 0xf0f0f0f, v8
	v_and_b32_e32 v2, 0xf0f0f0f, v6
	;; [unrolled: 1-line block ×6, first 2 shown]
	v_or3_b32 v2, v5, v2, v7
	v_or3_b32 v3, v3, v8, v6
	v_lshlrev_b32_e32 v5, 2, v4
	v_lshlrev_b32_e32 v6, 18, v4
	v_lshlrev_b32_e32 v7, 9, v4
	v_lshlrev_b32_e32 v4, 25, v4
	v_and_b32_e32 v6, 0x100000, v6
	v_and_b32_e32 v5, 0x100000, v5
	;; [unrolled: 1-line block ×4, first 2 shown]
	v_or3_b32 v3, v3, v5, v7
	v_or3_b32 v2, v2, v6, v4
	ds_write2_b32 v125, v2, v3 offset1:1
	v_lshl_add_u64 v[2:3], v[68:69], 0, s[16:17]
	global_load_dword v10, v[2:3], off
	s_waitcnt vmcnt(6)
	v_ashrrev_i32_e32 v4, v24, v14
	v_lshlrev_b32_e32 v5, 4, v4
	v_lshlrev_b32_e32 v6, 11, v4
	s_waitcnt vmcnt(5)
	v_lshrrev_b32_e32 v7, 4, v15
	v_lshrrev_b32_e32 v8, 12, v4
	;; [unrolled: 1-line block ×3, first 2 shown]
	v_lshl_add_u64 v[2:3], v[66:67], 0, s[16:17]
	v_and_b32_e32 v7, 0xf0f0f0f, v7
	global_load_dword v14, v[2:3], off
	v_and_b32_e32 v2, 0xf0f0f0f, v15
	v_and_b32_e32 v3, 16, v8
	;; [unrolled: 1-line block ×5, first 2 shown]
	v_or3_b32 v2, v5, v2, v6
	v_or3_b32 v3, v3, v7, v8
	v_lshlrev_b32_e32 v5, 2, v4
	v_lshlrev_b32_e32 v6, 18, v4
	;; [unrolled: 1-line block ×4, first 2 shown]
	v_and_b32_e32 v6, 0x100000, v6
	v_and_b32_e32 v5, 0x100000, v5
	;; [unrolled: 1-line block ×4, first 2 shown]
	v_or3_b32 v3, v3, v5, v7
	v_or3_b32 v2, v2, v6, v4
	ds_write2_b32 v126, v2, v3 offset1:1
	s_waitcnt vmcnt(5)
	v_ashrrev_i32_e32 v4, v24, v13
	v_lshl_add_u64 v[2:3], v[72:73], 0, s[16:17]
	v_lshlrev_b32_e32 v5, 4, v4
	v_lshlrev_b32_e32 v6, 11, v4
	s_waitcnt vmcnt(4)
	v_lshrrev_b32_e32 v7, 4, v16
	v_lshrrev_b32_e32 v8, 12, v4
	;; [unrolled: 1-line block ×3, first 2 shown]
	global_load_dword v13, v[2:3], off
	v_lshl_add_u64 v[2:3], v[70:71], 0, s[16:17]
	v_and_b32_e32 v7, 0xf0f0f0f, v7
	global_load_dword v15, v[2:3], off
	v_and_b32_e32 v2, 0xf0f0f0f, v16
	v_and_b32_e32 v3, 16, v8
	;; [unrolled: 1-line block ×5, first 2 shown]
	v_or3_b32 v2, v5, v2, v6
	v_or3_b32 v3, v3, v7, v8
	v_lshlrev_b32_e32 v5, 2, v4
	v_lshlrev_b32_e32 v6, 18, v4
	;; [unrolled: 1-line block ×4, first 2 shown]
	v_and_b32_e32 v6, 0x100000, v6
	v_and_b32_e32 v5, 0x100000, v5
	;; [unrolled: 1-line block ×4, first 2 shown]
	v_or3_b32 v3, v3, v5, v7
	v_or3_b32 v2, v2, v6, v4
	ds_write2_b32 v127, v2, v3 offset1:1
	v_lshl_add_u64 v[2:3], v[76:77], 0, s[16:17]
	s_waitcnt vmcnt(5)
	v_ashrrev_i32_e32 v4, v24, v11
	global_load_dword v11, v[2:3], off
	v_lshl_add_u64 v[2:3], v[74:75], 0, s[16:17]
	v_lshlrev_b32_e32 v5, 4, v4
	v_lshlrev_b32_e32 v6, 11, v4
	s_waitcnt vmcnt(5)
	v_lshrrev_b32_e32 v7, 4, v12
	v_lshrrev_b32_e32 v8, 12, v4
	;; [unrolled: 1-line block ×3, first 2 shown]
	global_load_dword v16, v[2:3], off
	v_and_b32_e32 v7, 0xf0f0f0f, v7
	v_and_b32_e32 v2, 0xf0f0f0f, v12
	;; [unrolled: 1-line block ×6, first 2 shown]
	v_or3_b32 v2, v5, v2, v6
	v_or3_b32 v3, v3, v7, v8
	v_lshlrev_b32_e32 v5, 2, v4
	v_lshlrev_b32_e32 v6, 18, v4
	;; [unrolled: 1-line block ×4, first 2 shown]
	v_and_b32_e32 v6, 0x100000, v6
	v_and_b32_e32 v5, 0x100000, v5
	;; [unrolled: 1-line block ×4, first 2 shown]
	v_or3_b32 v3, v3, v5, v7
	v_or3_b32 v2, v2, v6, v4
	ds_write2_b32 v128, v2, v3 offset1:1
	v_lshl_add_u64 v[2:3], v[80:81], 0, s[16:17]
	s_waitcnt vmcnt(5)
	v_ashrrev_i32_e32 v4, v24, v10
	global_load_dword v10, v[2:3], off
	v_lshl_add_u64 v[2:3], v[78:79], 0, s[16:17]
	global_load_dword v12, v[2:3], off
	v_lshlrev_b32_e32 v5, 4, v4
	v_lshlrev_b32_e32 v6, 11, v4
	s_waitcnt vmcnt(6)
	v_lshrrev_b32_e32 v7, 4, v14
	v_lshrrev_b32_e32 v8, 12, v4
	;; [unrolled: 1-line block ×3, first 2 shown]
	v_and_b32_e32 v7, 0xf0f0f0f, v7
	v_and_b32_e32 v2, 0xf0f0f0f, v14
	;; [unrolled: 1-line block ×6, first 2 shown]
	v_or3_b32 v2, v5, v2, v6
	v_or3_b32 v3, v3, v7, v8
	v_lshlrev_b32_e32 v5, 2, v4
	v_lshlrev_b32_e32 v6, 18, v4
	;; [unrolled: 1-line block ×4, first 2 shown]
	v_and_b32_e32 v6, 0x100000, v6
	v_and_b32_e32 v5, 0x100000, v5
	;; [unrolled: 1-line block ×4, first 2 shown]
	v_or3_b32 v3, v3, v5, v7
	v_or3_b32 v2, v2, v6, v4
	ds_write2_b32 v129, v2, v3 offset1:1
	s_waitcnt vmcnt(5)
	v_ashrrev_i32_e32 v4, v24, v13
	v_lshlrev_b32_e32 v2, 4, v4
	v_lshlrev_b32_e32 v3, 11, v4
	s_waitcnt vmcnt(4)
	v_lshrrev_b32_e32 v5, 4, v15
	v_lshrrev_b32_e32 v6, 12, v4
	;; [unrolled: 1-line block ×3, first 2 shown]
	v_and_b32_e32 v5, 0xf0f0f0f, v5
	v_and_b32_e32 v6, 16, v6
	;; [unrolled: 1-line block ×5, first 2 shown]
	v_lshl_add_u64 v[2:3], v[84:85], 0, s[16:17]
	global_load_dword v14, v[2:3], off
	v_or3_b32 v5, v6, v5, v7
	v_lshlrev_b32_e32 v6, 2, v4
	v_lshl_add_u64 v[2:3], v[82:83], 0, s[16:17]
	v_and_b32_e32 v8, 0xf0f0f0f, v15
	global_load_dword v7, v[2:3], off
	v_lshlrev_b32_e32 v2, 18, v4
	v_and_b32_e32 v3, 0x100000, v6
	v_lshlrev_b32_e32 v6, 9, v4
	v_lshlrev_b32_e32 v4, 25, v4
	v_or3_b32 v8, v9, v8, v13
	v_and_b32_e32 v2, 0x100000, v2
	v_and_b32_e32 v4, 0x10000000, v4
	;; [unrolled: 1-line block ×3, first 2 shown]
	v_or3_b32 v3, v5, v3, v6
	v_or3_b32 v2, v8, v2, v4
	s_waitcnt vmcnt(5)
	v_ashrrev_i32_e32 v4, v24, v11
	ds_write2_b32 v130, v2, v3 offset1:1
	v_lshlrev_b32_e32 v2, 4, v4
	s_waitcnt vmcnt(4)
	v_lshrrev_b32_e32 v3, 4, v16
	v_lshrrev_b32_e32 v6, 12, v4
	v_lshrrev_b32_e32 v8, 5, v4
	v_and_b32_e32 v9, 0xf0f0f0f, v3
	v_and_b32_e32 v13, 16, v2
	v_lshl_add_u64 v[2:3], v[88:89], 0, s[16:17]
	v_lshlrev_b32_e32 v5, 11, v4
	v_and_b32_e32 v6, 16, v6
	global_load_dword v15, v[2:3], off
	v_and_b32_e32 v8, 0x1000, v8
	v_lshl_add_u64 v[2:3], v[86:87], 0, s[16:17]
	v_and_b32_e32 v11, 0xf0f0f0f, v16
	global_load_dword v16, v[2:3], off
	v_and_b32_e32 v2, 0x1000, v5
	v_or3_b32 v3, v6, v9, v8
	v_lshlrev_b32_e32 v5, 2, v4
	v_lshlrev_b32_e32 v6, 18, v4
	v_lshlrev_b32_e32 v8, 9, v4
	v_lshlrev_b32_e32 v4, 25, v4
	v_or3_b32 v2, v13, v11, v2
	v_and_b32_e32 v6, 0x100000, v6
	v_and_b32_e32 v5, 0x100000, v5
	;; [unrolled: 1-line block ×4, first 2 shown]
	v_or3_b32 v3, v3, v5, v8
	v_or3_b32 v2, v2, v6, v4
	ds_write2_b32 v131, v2, v3 offset1:1
	s_waitcnt vmcnt(5)
	v_ashrrev_i32_e32 v4, v24, v10
	v_lshl_add_u64 v[2:3], v[92:93], 0, s[16:17]
	v_lshlrev_b32_e32 v5, 4, v4
	v_lshlrev_b32_e32 v6, 11, v4
	s_waitcnt vmcnt(4)
	v_lshrrev_b32_e32 v8, 4, v12
	v_lshrrev_b32_e32 v9, 12, v4
	;; [unrolled: 1-line block ×3, first 2 shown]
	global_load_dword v11, v[2:3], off
	v_lshl_add_u64 v[2:3], v[90:91], 0, s[16:17]
	v_and_b32_e32 v8, 0xf0f0f0f, v8
	global_load_dword v13, v[2:3], off
	v_and_b32_e32 v2, 0xf0f0f0f, v12
	v_and_b32_e32 v3, 16, v9
	;; [unrolled: 1-line block ×5, first 2 shown]
	v_or3_b32 v2, v5, v2, v6
	v_or3_b32 v3, v3, v8, v9
	v_lshlrev_b32_e32 v5, 2, v4
	v_lshlrev_b32_e32 v6, 18, v4
	;; [unrolled: 1-line block ×4, first 2 shown]
	v_and_b32_e32 v6, 0x100000, v6
	v_and_b32_e32 v5, 0x100000, v5
	;; [unrolled: 1-line block ×4, first 2 shown]
	v_or3_b32 v3, v3, v5, v8
	v_or3_b32 v2, v2, v6, v4
	ds_write2_b32 v132, v2, v3 offset1:1
	v_lshl_add_u64 v[2:3], v[94:95], 0, s[16:17]
	global_load_dword v4, v[2:3], off
	v_lshl_add_u64 v[2:3], v[96:97], 0, s[16:17]
	global_load_dword v5, v[2:3], off
	v_lshl_add_u64 v[2:3], v[98:99], 0, s[16:17]
	global_load_dword v6, v[2:3], off
	v_lshl_add_u64 v[2:3], v[100:101], 0, s[16:17]
	global_load_dword v2, v[2:3], off
	s_waitcnt vmcnt(9)
	v_ashrrev_i32_e32 v8, v24, v14
	v_lshlrev_b32_e32 v3, 4, v8
	v_lshlrev_b32_e32 v9, 11, v8
	s_waitcnt vmcnt(8)
	v_lshrrev_b32_e32 v10, 4, v7
	v_lshrrev_b32_e32 v12, 12, v8
	v_lshrrev_b32_e32 v14, 5, v8
	v_and_b32_e32 v10, 0xf0f0f0f, v10
	v_and_b32_e32 v7, 0xf0f0f0f, v7
	v_and_b32_e32 v12, 16, v12
	v_and_b32_e32 v3, 16, v3
	v_and_b32_e32 v14, 0x1000, v14
	v_and_b32_e32 v9, 0x1000, v9
	v_or3_b32 v3, v3, v7, v9
	v_or3_b32 v7, v12, v10, v14
	v_lshlrev_b32_e32 v9, 2, v8
	v_lshlrev_b32_e32 v10, 18, v8
	v_lshlrev_b32_e32 v12, 9, v8
	v_lshlrev_b32_e32 v8, 25, v8
	v_and_b32_e32 v10, 0x100000, v10
	v_and_b32_e32 v9, 0x100000, v9
	v_and_b32_e32 v8, 0x10000000, v8
	v_and_b32_e32 v12, 0x10000000, v12
	v_or3_b32 v7, v7, v9, v12
	v_or3_b32 v3, v3, v10, v8
	ds_write2_b32 v133, v3, v7 offset1:1
	s_waitcnt vmcnt(7)
	v_ashrrev_i32_e32 v3, v24, v15
	v_lshlrev_b32_e32 v7, 4, v3
	v_lshlrev_b32_e32 v8, 11, v3
	s_waitcnt vmcnt(6)
	v_lshrrev_b32_e32 v9, 4, v16
	v_lshrrev_b32_e32 v10, 12, v3
	v_lshrrev_b32_e32 v12, 5, v3
	v_and_b32_e32 v9, 0xf0f0f0f, v9
	v_and_b32_e32 v14, 0xf0f0f0f, v16
	v_and_b32_e32 v10, 16, v10
	v_and_b32_e32 v7, 16, v7
	v_and_b32_e32 v12, 0x1000, v12
	v_and_b32_e32 v8, 0x1000, v8
	v_or3_b32 v7, v7, v14, v8
	v_or3_b32 v8, v10, v9, v12
	v_lshlrev_b32_e32 v9, 2, v3
	v_lshlrev_b32_e32 v10, 18, v3
	v_lshlrev_b32_e32 v12, 9, v3
	v_lshlrev_b32_e32 v3, 25, v3
	v_and_b32_e32 v10, 0x100000, v10
	v_and_b32_e32 v9, 0x100000, v9
	v_and_b32_e32 v3, 0x10000000, v3
	v_and_b32_e32 v12, 0x10000000, v12
	v_or3_b32 v8, v8, v9, v12
	v_or3_b32 v3, v7, v10, v3
	ds_write2_b32 v134, v3, v8 offset1:1
	;; [unrolled: 27-line block ×3, first 2 shown]
	s_waitcnt vmcnt(3)
	ds_write_b32 v149, v4
	s_waitcnt vmcnt(2)
	ds_write_b32 v150, v5
	;; [unrolled: 2-line block ×4, first 2 shown]
	s_cbranch_scc0 .LBB183_5
; %bb.7:                                ;   in Loop: Header=BB183_6 Depth=1
	v_add_u32_e32 v2, s14, v136
	v_cmp_gt_i32_e64 s[2:3], s5, v2
	s_and_b64 s[20:21], s[0:1], s[2:3]
	s_and_saveexec_b64 s[2:3], s[20:21]
	s_cbranch_execz .LBB183_9
; %bb.8:                                ;   in Loop: Header=BB183_6 Depth=1
	v_add_u32_e32 v2, s14, v148
	v_mad_i64_i32 v[2:3], s[20:21], v2, 36, v[26:27]
	global_load_dword v2, v[2:3], off offset:4
	s_waitcnt vmcnt(0)
	ds_write_b32 v137, v2
.LBB183_9:                              ;   in Loop: Header=BB183_6 Depth=1
	s_or_b64 exec, exec, s[2:3]
	s_and_saveexec_b64 s[20:21], vcc
	s_cbranch_execz .LBB183_12
; %bb.10:                               ;   in Loop: Header=BB183_6 Depth=1
	v_add_u32_e32 v2, s14, v22
	v_cmp_gt_i32_e64 s[2:3], s5, v2
	s_and_b64 s[2:3], s[0:1], s[2:3]
	s_and_b64 exec, exec, s[2:3]
	s_cbranch_execz .LBB183_12
; %bb.11:                               ;   in Loop: Header=BB183_6 Depth=1
	v_add_u32_e32 v2, s14, v23
	v_mad_i64_i32 v[2:3], s[2:3], v2, 36, s[10:11]
	global_load_dword v2, v[2:3], off
	s_waitcnt vmcnt(0)
	ds_write_b32 v138, v2
.LBB183_12:                             ;   in Loop: Header=BB183_6 Depth=1
	s_or_b64 exec, exec, s[20:21]
	s_waitcnt lgkmcnt(0)
	s_barrier
	ds_read_b128 v[14:17], v139
	ds_read_b128 v[18:21], v139 offset:16
	ds_read_b128 v[2:5], v140
	ds_read2_b32 v[108:109], v141 offset1:1
	ds_read_b128 v[10:13], v139 offset:32
	ds_read_b128 v[6:9], v139 offset:48
	ds_read2_b32 v[106:107], v142 offset1:1
	ds_read2_b32 v[110:111], v141 offset0:2 offset1:3
	v_mov_b32_e32 v25, 0
	s_waitcnt lgkmcnt(4)
	v_dot4c_i32_i8_e32 v25, v108, v14
	v_dot4c_i32_i8_e32 v25, v109, v18
	s_waitcnt lgkmcnt(1)
	v_pk_mul_f16 v153, v2, v106
	s_waitcnt lgkmcnt(0)
	v_dot4c_i32_i8_e32 v25, v110, v15
	v_add_u32_e32 v106, 0x2080, v141
	ds_read2_b32 v[108:109], v141 offset0:4 offset1:5
	ds_read2_b32 v[112:113], v141 offset0:6 offset1:7
	;; [unrolled: 1-line block ×3, first 2 shown]
	v_dot4c_i32_i8_e32 v25, v111, v19
	ds_read2_b32 v[154:155], v141 offset0:26 offset1:27
	ds_read2_b32 v[156:157], v141 offset0:28 offset1:29
	;; [unrolled: 1-line block ×3, first 2 shown]
	ds_read2_b32 v[110:111], v106 offset1:1
	ds_read2_b32 v[160:161], v143 offset1:1
	v_mov_b32_e32 v106, 0
	s_waitcnt lgkmcnt(7)
	v_dot4c_i32_i8_e32 v25, v108, v16
	v_dot4c_i32_i8_e32 v25, v109, v20
	s_waitcnt lgkmcnt(1)
	v_dot4c_i32_i8_e32 v106, v110, v14
	v_add_u32_e32 v110, 0x2088, v141
	ds_read2_b32 v[108:109], v145 offset0:2 offset1:3
	v_dot4c_i32_i8_e32 v106, v111, v18
	ds_read2_b32 v[110:111], v110 offset1:1
	v_dot4c_i32_i8_e32 v25, v112, v17
	v_dot4c_i32_i8_e32 v25, v113, v21
	v_add_u32_e32 v113, 0x2090, v141
	v_add_u32_e32 v118, 0x2098, v141
	;; [unrolled: 1-line block ×3, first 2 shown]
	ds_read2_b32 v[116:117], v113 offset1:1
	ds_read2_b32 v[118:119], v118 offset1:1
	;; [unrolled: 1-line block ×3, first 2 shown]
	s_waitcnt lgkmcnt(3)
	v_dot4c_i32_i8_e32 v106, v110, v15
	v_dot4c_i32_i8_e32 v106, v111, v19
	s_waitcnt lgkmcnt(2)
	v_dot4c_i32_i8_e32 v106, v116, v16
	v_dot4c_i32_i8_e32 v106, v117, v20
	;; [unrolled: 3-line block ×3, first 2 shown]
	ds_read2_b32 v[164:165], v144 offset1:1
	ds_read2_b32 v[116:117], v143 offset0:2 offset1:3
	ds_read2_b32 v[166:167], v142 offset0:2 offset1:3
	v_cvt_f32_i32_e32 v119, v106
	v_add_u32_e32 v106, 0x4108, v141
	v_cvt_f32_i32_e32 v118, v25
	v_mov_b32_e32 v25, 0
	ds_read2_b32 v[110:111], v106 offset1:1
	v_pk_mul_f16 v174, v2, v160
	s_waitcnt lgkmcnt(4)
	v_dot4c_i32_i8_e32 v25, v162, v14
	v_add_u32_e32 v160, 0x4110, v141
	v_add_u32_e32 v168, 0x4118, v141
	v_dot4c_i32_i8_e32 v25, v163, v18
	v_add_u32_e32 v106, 0x6180, v141
	ds_read2_b32 v[162:163], v160 offset1:1
	ds_read2_b32 v[168:169], v168 offset1:1
	;; [unrolled: 1-line block ×3, first 2 shown]
	s_waitcnt lgkmcnt(3)
	v_dot4c_i32_i8_e32 v25, v110, v15
	v_dot4c_i32_i8_e32 v25, v111, v19
	v_mov_b32_e32 v106, 0
	s_waitcnt lgkmcnt(2)
	v_dot4c_i32_i8_e32 v25, v162, v16
	s_waitcnt lgkmcnt(0)
	v_dot4c_i32_i8_e32 v106, v170, v14
	v_add_u32_e32 v14, 0x6188, v141
	v_dot4c_i32_i8_e32 v25, v163, v20
	ds_read2_b32 v[162:163], v14 offset1:1
	v_dot4c_i32_i8_e32 v25, v168, v17
	v_dot4c_i32_i8_e32 v106, v171, v18
	v_add_u32_e32 v18, 0x6190, v141
	v_dot4c_i32_i8_e32 v25, v169, v21
	v_add_u32_e32 v111, 0x6198, v141
	v_add_u32_e32 v14, 0x20a0, v141
	ds_read2_b32 v[168:169], v18 offset1:1
	ds_read2_b32 v[170:171], v111 offset1:1
	;; [unrolled: 1-line block ×3, first 2 shown]
	s_waitcnt lgkmcnt(3)
	v_dot4c_i32_i8_e32 v106, v162, v15
	v_dot4c_i32_i8_e32 v106, v163, v19
	s_waitcnt lgkmcnt(2)
	v_dot4c_i32_i8_e32 v106, v168, v16
	v_dot4c_i32_i8_e32 v106, v169, v20
	s_waitcnt lgkmcnt(1)
	v_dot4c_i32_i8_e32 v106, v170, v17
	ds_read2_b32 v[18:19], v145 offset1:1
	ds_read2_b32 v[16:17], v144 offset0:2 offset1:3
	v_dot4c_i32_i8_e32 v106, v171, v21
	ds_read2_b32 v[20:21], v141 offset0:10 offset1:11
	v_cvt_f32_i32_e32 v14, v25
	v_mov_b32_e32 v25, 0
	v_dot4c_i32_i8_e32 v25, v114, v10
	v_dot4c_i32_i8_e32 v25, v115, v6
	ds_read2_b32 v[114:115], v141 offset0:12 offset1:13
	ds_read2_b32 v[162:163], v141 offset0:14 offset1:15
	;; [unrolled: 1-line block ×3, first 2 shown]
	v_pk_mul_f16 v164, v2, v164
	s_waitcnt lgkmcnt(5)
	v_pk_mul_f16 v170, v2, v18
	s_waitcnt lgkmcnt(3)
	v_dot4c_i32_i8_e32 v25, v20, v11
	v_add_u32_e32 v2, 0x20a8, v141
	v_dot4c_i32_i8_e32 v25, v21, v7
	ds_read2_b32 v[20:21], v2 offset1:1
	s_waitcnt lgkmcnt(3)
	v_dot4c_i32_i8_e32 v25, v114, v12
	v_dot4c_i32_i8_e32 v25, v115, v8
	v_mov_b32_e32 v175, 0
	s_waitcnt lgkmcnt(2)
	v_dot4c_i32_i8_e32 v25, v162, v13
	v_dot4c_i32_i8_e32 v175, v172, v10
	v_add_u32_e32 v18, 0x20b0, v141
	v_add_u32_e32 v114, 0x20b8, v141
	v_cvt_f32_i32_e32 v15, v106
	v_dot4c_i32_i8_e32 v25, v163, v9
	v_pk_mul_f16 v171, v3, v107
	v_dot4c_i32_i8_e32 v175, v173, v6
	v_add_u32_e32 v2, 0x4120, v141
	ds_read2_b32 v[106:107], v18 offset1:1
	ds_read2_b32 v[114:115], v114 offset1:1
	;; [unrolled: 1-line block ×3, first 2 shown]
	s_waitcnt lgkmcnt(3)
	v_dot4c_i32_i8_e32 v175, v20, v11
	v_dot4c_i32_i8_e32 v175, v21, v7
	v_add_u32_e32 v2, 0x4128, v141
	s_waitcnt lgkmcnt(2)
	v_dot4c_i32_i8_e32 v175, v106, v12
	ds_read2_b32 v[20:21], v2 offset1:1
	v_dot4c_i32_i8_e32 v175, v107, v8
	s_waitcnt lgkmcnt(2)
	v_dot4c_i32_i8_e32 v175, v114, v13
	v_mov_b32_e32 v173, 0
	v_add_u32_e32 v18, 0x4130, v141
	v_add_u32_e32 v114, 0x4138, v141
	v_dot4c_i32_i8_e32 v175, v115, v9
	v_pk_mul_f16 v172, v3, v161
	s_waitcnt lgkmcnt(1)
	v_dot4c_i32_i8_e32 v173, v162, v10
	v_add_u32_e32 v2, 0x61a0, v141
	ds_read2_b32 v[106:107], v18 offset1:1
	ds_read2_b32 v[114:115], v114 offset1:1
	;; [unrolled: 1-line block ×3, first 2 shown]
	v_dot4c_i32_i8_e32 v173, v163, v6
	s_waitcnt lgkmcnt(3)
	v_dot4c_i32_i8_e32 v173, v20, v11
	v_add_u32_e32 v2, 0x61a8, v141
	v_dot4c_i32_i8_e32 v173, v21, v7
	ds_read2_b32 v[20:21], v2 offset1:1
	s_waitcnt lgkmcnt(3)
	v_dot4c_i32_i8_e32 v173, v106, v12
	v_mov_b32_e32 v163, 0
	v_dot4c_i32_i8_e32 v173, v107, v8
	s_waitcnt lgkmcnt(1)
	v_dot4c_i32_i8_e32 v163, v160, v10
	v_dot4c_i32_i8_e32 v173, v114, v13
	;; [unrolled: 1-line block ×3, first 2 shown]
	v_add_u32_e32 v6, 0x61b0, v141
	v_dot4c_i32_i8_e32 v173, v115, v9
	v_add_u32_e32 v10, 0x61b8, v141
	v_add_u32_e32 v2, 0x20c0, v141
	ds_read2_b32 v[106:107], v6 offset1:1
	ds_read2_b32 v[114:115], v10 offset1:1
	;; [unrolled: 1-line block ×3, first 2 shown]
	s_waitcnt lgkmcnt(3)
	v_dot4c_i32_i8_e32 v163, v20, v11
	v_dot4c_i32_i8_e32 v163, v21, v7
	s_waitcnt lgkmcnt(2)
	v_dot4c_i32_i8_e32 v163, v106, v12
	v_dot4c_i32_i8_e32 v163, v107, v8
	s_waitcnt lgkmcnt(1)
	v_dot4c_i32_i8_e32 v163, v114, v13
	ds_read_b128 v[10:13], v139 offset:64
	v_dot4c_i32_i8_e32 v163, v115, v9
	ds_read_b128 v[6:9], v139 offset:80
	v_pk_mul_f16 v162, v3, v165
	v_pk_mul_f16 v165, v3, v19
	ds_read2_b32 v[2:3], v141 offset0:18 offset1:19
	v_mov_b32_e32 v176, 0
	s_waitcnt lgkmcnt(2)
	v_dot4c_i32_i8_e32 v176, v168, v10
	s_waitcnt lgkmcnt(1)
	v_dot4c_i32_i8_e32 v176, v169, v6
	ds_read2_b32 v[18:19], v141 offset0:20 offset1:21
	ds_read2_b32 v[20:21], v141 offset0:22 offset1:23
	;; [unrolled: 1-line block ×3, first 2 shown]
	s_waitcnt lgkmcnt(3)
	v_dot4c_i32_i8_e32 v176, v2, v11
	v_add_u32_e32 v2, 0x20c8, v141
	v_dot4c_i32_i8_e32 v176, v3, v7
	ds_read2_b32 v[2:3], v2 offset1:1
	s_waitcnt lgkmcnt(3)
	v_dot4c_i32_i8_e32 v176, v18, v12
	v_dot4c_i32_i8_e32 v176, v19, v8
	v_mov_b32_e32 v168, 0
	s_waitcnt lgkmcnt(2)
	v_dot4c_i32_i8_e32 v176, v20, v13
	v_dot4c_i32_i8_e32 v168, v160, v10
	v_add_u32_e32 v18, 0x20d0, v141
	v_add_u32_e32 v20, 0x20d8, v141
	;; [unrolled: 1-line block ×3, first 2 shown]
	v_dot4c_i32_i8_e32 v176, v21, v9
	v_dot4c_i32_i8_e32 v168, v161, v6
	ds_read2_b32 v[18:19], v18 offset1:1
	ds_read2_b32 v[20:21], v20 offset1:1
	;; [unrolled: 1-line block ×3, first 2 shown]
	s_waitcnt lgkmcnt(3)
	v_dot4c_i32_i8_e32 v168, v2, v11
	v_dot4c_i32_i8_e32 v168, v3, v7
	v_add_u32_e32 v2, 0x4148, v141
	s_waitcnt lgkmcnt(2)
	v_dot4c_i32_i8_e32 v168, v18, v12
	ds_read2_b32 v[2:3], v2 offset1:1
	v_dot4c_i32_i8_e32 v168, v19, v8
	v_mov_b32_e32 v169, 0
	s_waitcnt lgkmcnt(2)
	v_dot4c_i32_i8_e32 v168, v20, v13
	s_waitcnt lgkmcnt(1)
	v_dot4c_i32_i8_e32 v169, v114, v10
	v_add_u32_e32 v18, 0x4150, v141
	v_add_u32_e32 v20, 0x4158, v141
	;; [unrolled: 1-line block ×3, first 2 shown]
	v_dot4c_i32_i8_e32 v168, v21, v9
	v_dot4c_i32_i8_e32 v169, v115, v6
	ds_read2_b32 v[18:19], v18 offset1:1
	ds_read2_b32 v[20:21], v20 offset1:1
	ds_read2_b32 v[114:115], v114 offset1:1
	s_waitcnt lgkmcnt(3)
	v_dot4c_i32_i8_e32 v169, v2, v11
	v_add_u32_e32 v2, 0x61c8, v141
	v_dot4c_i32_i8_e32 v169, v3, v7
	ds_read2_b32 v[2:3], v2 offset1:1
	v_mov_b32_e32 v177, 0
	s_waitcnt lgkmcnt(3)
	v_dot4c_i32_i8_e32 v169, v18, v12
	s_waitcnt lgkmcnt(1)
	v_dot4c_i32_i8_e32 v177, v114, v10
	v_dot4c_i32_i8_e32 v169, v19, v8
	v_dot4c_i32_i8_e32 v177, v115, v6
	v_add_u32_e32 v6, 0x61d0, v141
	v_dot4c_i32_i8_e32 v169, v20, v13
	v_add_u32_e32 v10, 0x61d8, v141
	v_add_u32_e32 v20, 0x20e0, v141
	ds_read2_b32 v[18:19], v6 offset1:1
	ds_read2_b32 v[114:115], v10 offset1:1
	ds_read2_b32 v[160:161], v20 offset1:1
	s_waitcnt lgkmcnt(3)
	v_dot4c_i32_i8_e32 v177, v2, v11
	v_dot4c_i32_i8_e32 v177, v3, v7
	s_waitcnt lgkmcnt(2)
	v_dot4c_i32_i8_e32 v177, v18, v12
	v_dot4c_i32_i8_e32 v177, v19, v8
	v_dot4c_i32_i8_e32 v169, v21, v9
	s_waitcnt lgkmcnt(1)
	v_dot4c_i32_i8_e32 v177, v114, v13
	ds_read_b128 v[10:13], v139 offset:96
	ds_read_b128 v[18:21], v139 offset:112
	v_pk_mul_f16 v166, v4, v166
	v_pk_mul_f16 v116, v4, v116
	;; [unrolled: 1-line block ×4, first 2 shown]
	v_mov_b32_e32 v4, 0
	s_waitcnt lgkmcnt(1)
	v_dot4c_i32_i8_e32 v4, v106, v10
	v_add_u32_e32 v2, 0x20e8, v141
	s_waitcnt lgkmcnt(0)
	v_dot4c_i32_i8_e32 v4, v107, v18
	ds_read2_b32 v[2:3], v2 offset1:1
	v_dot4c_i32_i8_e32 v4, v154, v11
	v_dot4c_i32_i8_e32 v4, v155, v19
	v_mov_b32_e32 v155, 0
	v_dot4c_i32_i8_e32 v155, v160, v10
	v_add_u32_e32 v6, 0x20f0, v141
	v_add_u32_e32 v8, 0x20f8, v141
	;; [unrolled: 1-line block ×3, first 2 shown]
	v_dot4c_i32_i8_e32 v177, v115, v9
	v_dot4c_i32_i8_e32 v155, v161, v18
	ds_read2_b32 v[6:7], v6 offset1:1
	ds_read2_b32 v[8:9], v8 offset1:1
	;; [unrolled: 1-line block ×3, first 2 shown]
	s_waitcnt lgkmcnt(3)
	v_dot4c_i32_i8_e32 v155, v2, v11
	v_dot4c_i32_i8_e32 v155, v3, v19
	s_waitcnt lgkmcnt(2)
	v_dot4c_i32_i8_e32 v155, v6, v12
	v_dot4c_i32_i8_e32 v155, v7, v20
	v_cvt_f32_f16_e32 v112, v153
	v_cvt_f32_f16_e32 v113, v174
	s_waitcnt lgkmcnt(1)
	v_dot4c_i32_i8_e32 v155, v8, v13
	v_cvt_f32_f16_sdwa v3, v174 dst_sel:DWORD dst_unused:UNUSED_PAD src0_sel:WORD_1
	v_cvt_f32_f16_sdwa v2, v153 dst_sel:DWORD dst_unused:UNUSED_PAD src0_sel:WORD_1
	v_dot4c_i32_i8_e32 v155, v9, v21
	v_cvt_f32_f16_e32 v7, v172
	v_cvt_f32_f16_e32 v6, v171
	v_cvt_f32_f16_sdwa v9, v172 dst_sel:DWORD dst_unused:UNUSED_PAD src0_sel:WORD_1
	v_cvt_f32_f16_sdwa v8, v171 dst_sel:DWORD dst_unused:UNUSED_PAD src0_sel:WORD_1
	v_cvt_f32_i32_e32 v115, v175
	v_cvt_f32_i32_e32 v114, v25
	v_dot4c_i32_i8_e32 v4, v156, v12
	v_dot4c_i32_i8_e32 v4, v157, v20
	;; [unrolled: 1-line block ×3, first 2 shown]
	v_pk_fma_f32 v[2:3], v[112:113], v[118:119], v[2:3]
	v_dot4c_i32_i8_e32 v4, v159, v21
	v_pk_mul_f16 v154, v5, v167
	v_pk_mul_f16 v25, v5, v117
	v_pk_add_f32 v[2:3], v[104:105], v[2:3]
	v_pk_fma_f32 v[6:7], v[6:7], v[114:115], v[8:9]
	v_cvt_f32_f16_e32 v9, v116
	v_cvt_f32_f16_e32 v8, v166
	v_cvt_f32_f16_sdwa v105, v116 dst_sel:DWORD dst_unused:UNUSED_PAD src0_sel:WORD_1
	v_cvt_f32_f16_sdwa v104, v166 dst_sel:DWORD dst_unused:UNUSED_PAD src0_sel:WORD_1
	v_cvt_f32_i32_e32 v113, v168
	v_cvt_f32_i32_e32 v112, v176
	v_cvt_f32_f16_e32 v115, v25
	v_cvt_f32_f16_e32 v114, v154
	v_cvt_f32_f16_sdwa v117, v25 dst_sel:DWORD dst_unused:UNUSED_PAD src0_sel:WORD_1
	v_cvt_f32_f16_sdwa v116, v154 dst_sel:DWORD dst_unused:UNUSED_PAD src0_sel:WORD_1
	v_cvt_f32_i32_e32 v119, v155
	v_cvt_f32_i32_e32 v118, v4
	v_pk_add_f32 v[2:3], v[2:3], v[6:7]
	v_pk_fma_f32 v[6:7], v[8:9], v[112:113], v[104:105]
	v_mov_b32_e32 v25, 0
	v_pk_add_f32 v[2:3], v[2:3], v[6:7]
	v_pk_fma_f32 v[6:7], v[114:115], v[118:119], v[116:117]
	s_waitcnt lgkmcnt(0)
	v_dot4c_i32_i8_e32 v25, v106, v10
	v_pk_add_f32 v[104:105], v[2:3], v[6:7]
	v_add_u32_e32 v2, 0x4168, v141
	ds_read2_b32 v[2:3], v2 offset1:1
	v_add_u32_e32 v4, 0x4170, v141
	v_add_u32_e32 v8, 0x4178, v141
	;; [unrolled: 1-line block ×3, first 2 shown]
	v_dot4c_i32_i8_e32 v25, v107, v18
	ds_read2_b32 v[6:7], v4 offset1:1
	ds_read2_b32 v[8:9], v8 offset1:1
	;; [unrolled: 1-line block ×3, first 2 shown]
	s_waitcnt lgkmcnt(3)
	v_dot4c_i32_i8_e32 v25, v2, v11
	v_add_u32_e32 v2, 0x61e8, v141
	v_dot4c_i32_i8_e32 v25, v3, v19
	ds_read2_b32 v[2:3], v2 offset1:1
	s_waitcnt lgkmcnt(3)
	v_dot4c_i32_i8_e32 v25, v6, v12
	v_add_u32_e32 v4, 0x61f0, v141
	v_dot4c_i32_i8_e32 v25, v7, v20
	ds_read2_b32 v[6:7], v4 offset1:1
	v_mov_b32_e32 v112, 0
	s_waitcnt lgkmcnt(3)
	v_dot4c_i32_i8_e32 v25, v8, v13
	s_waitcnt lgkmcnt(2)
	v_dot4c_i32_i8_e32 v112, v106, v10
	v_add_u32_e32 v4, 0x61f8, v141
	v_dot4c_i32_i8_e32 v25, v9, v21
	v_dot4c_i32_i8_e32 v112, v107, v18
	ds_read2_b32 v[8:9], v4 offset1:1
	s_waitcnt lgkmcnt(2)
	v_dot4c_i32_i8_e32 v112, v2, v11
	v_dot4c_i32_i8_e32 v112, v3, v19
	s_waitcnt lgkmcnt(1)
	v_dot4c_i32_i8_e32 v112, v6, v12
	v_dot4c_i32_i8_e32 v112, v7, v20
	;; [unrolled: 3-line block ×3, first 2 shown]
	v_cvt_f32_f16_e32 v7, v165
	v_cvt_f32_f16_e32 v6, v162
	v_cvt_f32_f16_sdwa v9, v165 dst_sel:DWORD dst_unused:UNUSED_PAD src0_sel:WORD_1
	v_cvt_f32_f16_sdwa v8, v162 dst_sel:DWORD dst_unused:UNUSED_PAD src0_sel:WORD_1
	v_cvt_f32_i32_e32 v11, v163
	v_cvt_f32_i32_e32 v10, v173
	v_cvt_f32_f16_e32 v110, v164
	v_cvt_f32_f16_e32 v111, v170
	v_cvt_f32_f16_sdwa v3, v170 dst_sel:DWORD dst_unused:UNUSED_PAD src0_sel:WORD_1
	v_cvt_f32_f16_sdwa v2, v164 dst_sel:DWORD dst_unused:UNUSED_PAD src0_sel:WORD_1
	v_pk_mul_f16 v17, v5, v17
	v_pk_mul_f16 v18, v5, v109
	v_pk_fma_f32 v[4:5], v[6:7], v[10:11], v[8:9]
	v_cvt_f32_f16_e32 v7, v108
	v_cvt_f32_f16_e32 v6, v16
	v_cvt_f32_f16_sdwa v9, v108 dst_sel:DWORD dst_unused:UNUSED_PAD src0_sel:WORD_1
	v_cvt_f32_f16_sdwa v8, v16 dst_sel:DWORD dst_unused:UNUSED_PAD src0_sel:WORD_1
	v_cvt_f32_i32_e32 v11, v177
	v_cvt_f32_i32_e32 v10, v169
	v_pk_fma_f32 v[2:3], v[110:111], v[14:15], v[2:3]
	v_cvt_f32_f16_e32 v13, v18
	v_cvt_f32_f16_e32 v12, v17
	v_cvt_f32_f16_sdwa v15, v18 dst_sel:DWORD dst_unused:UNUSED_PAD src0_sel:WORD_1
	v_cvt_f32_f16_sdwa v14, v17 dst_sel:DWORD dst_unused:UNUSED_PAD src0_sel:WORD_1
	v_cvt_f32_i32_e32 v17, v112
	v_cvt_f32_i32_e32 v16, v25
	v_pk_add_f32 v[2:3], v[102:103], v[2:3]
	s_cmp_ge_i32 s24, s15
	v_pk_add_f32 v[2:3], v[2:3], v[4:5]
	v_pk_fma_f32 v[4:5], v[6:7], v[10:11], v[8:9]
	s_nop 0
	v_pk_add_f32 v[2:3], v[2:3], v[4:5]
	v_pk_fma_f32 v[4:5], v[12:13], v[16:17], v[14:15]
	s_barrier
	v_pk_add_f32 v[102:103], v[2:3], v[4:5]
	s_cbranch_scc1 .LBB183_5
; %bb.13:                               ;   in Loop: Header=BB183_6 Depth=1
	v_add_u32_e32 v2, s14, v146
	v_cmp_gt_i32_e64 s[2:3], s5, v2
	s_and_b64 s[20:21], s[0:1], s[2:3]
	s_and_saveexec_b64 s[2:3], s[20:21]
	s_cbranch_execz .LBB183_15
; %bb.14:                               ;   in Loop: Header=BB183_6 Depth=1
	v_add_u32_e32 v2, s14, v147
	v_mad_i64_i32 v[2:3], s[20:21], v2, 36, v[26:27]
	global_load_dword v2, v[2:3], off offset:4
	s_waitcnt vmcnt(0)
	ds_write_b32 v137, v2
.LBB183_15:                             ;   in Loop: Header=BB183_6 Depth=1
	s_or_b64 exec, exec, s[2:3]
	s_and_saveexec_b64 s[20:21], vcc
	s_cbranch_execz .LBB183_4
; %bb.16:                               ;   in Loop: Header=BB183_6 Depth=1
	v_add3_u32 v2, v22, s14, 4
	v_cmp_gt_i32_e64 s[2:3], s5, v2
	s_and_b64 s[2:3], s[0:1], s[2:3]
	s_and_b64 exec, exec, s[2:3]
	s_cbranch_execz .LBB183_4
; %bb.17:                               ;   in Loop: Header=BB183_6 Depth=1
	global_load_dword v2, v[28:29], off
	s_waitcnt vmcnt(0)
	ds_write_b32 v138, v2
	s_branch .LBB183_4
.LBB183_18:
	v_mov_b32_e32 v102, v103
	v_mov_b32_e32 v105, v103
	;; [unrolled: 1-line block ×3, first 2 shown]
.LBB183_19:
	s_mul_i32 s0, s7, s4
	s_waitcnt vmcnt(0)
	v_cmp_gt_i32_e32 vcc, s0, v1
	s_and_saveexec_b64 s[0:1], vcc
	s_cbranch_execz .LBB183_28
; %bb.20:
	v_and_b32_e32 v0, 0x3ff, v0
	v_add_u32_e32 v2, s22, v0
	v_mul_lo_u32 v0, v1, s6
	v_cmp_gt_u32_e32 vcc, s6, v2
	s_and_saveexec_b64 s[0:1], vcc
	s_cbranch_execz .LBB183_22
; %bb.21:
	v_add_u32_e32 v4, v0, v2
	v_mov_b32_e32 v5, 0
	v_lshl_add_u64 v[4:5], v[4:5], 2, s[12:13]
	global_store_dword v[4:5], v104, off
.LBB183_22:
	s_or_b64 exec, exec, s[0:1]
	v_add_u32_e32 v1, 32, v2
	v_cmp_gt_u32_e32 vcc, s6, v1
	s_and_saveexec_b64 s[0:1], vcc
	s_cbranch_execz .LBB183_24
; %bb.23:
	v_add_u32_e32 v4, v0, v1
	v_mov_b32_e32 v5, 0
	v_lshl_add_u64 v[4:5], v[4:5], 2, s[12:13]
	global_store_dword v[4:5], v105, off
.LBB183_24:
	s_or_b64 exec, exec, s[0:1]
	v_add_u32_e32 v1, 64, v2
	;; [unrolled: 11-line block ×3, first 2 shown]
	v_cmp_gt_u32_e32 vcc, s6, v1
	s_and_b64 exec, exec, vcc
	s_cbranch_execz .LBB183_28
; %bb.27:
	v_add_u32_e32 v0, v0, v1
	v_mov_b32_e32 v1, 0
	v_lshl_add_u64 v[0:1], v[0:1], 2, s[12:13]
	global_store_dword v[0:1], v103, off
.LBB183_28:
	s_endpgm
	.section	.rodata,"a",@progbits
	.p2align	6, 0x0
	.amdhsa_kernel _ZL8moe_q5_1IfLb0EEvPKvS1_PT_PKiS5_S5_iiiiiii
		.amdhsa_group_segment_fixed_size 38656
		.amdhsa_private_segment_fixed_size 0
		.amdhsa_kernarg_size 76
		.amdhsa_user_sgpr_count 2
		.amdhsa_user_sgpr_dispatch_ptr 0
		.amdhsa_user_sgpr_queue_ptr 0
		.amdhsa_user_sgpr_kernarg_segment_ptr 1
		.amdhsa_user_sgpr_dispatch_id 0
		.amdhsa_user_sgpr_kernarg_preload_length 0
		.amdhsa_user_sgpr_kernarg_preload_offset 0
		.amdhsa_user_sgpr_private_segment_size 0
		.amdhsa_uses_dynamic_stack 0
		.amdhsa_enable_private_segment 0
		.amdhsa_system_sgpr_workgroup_id_x 1
		.amdhsa_system_sgpr_workgroup_id_y 1
		.amdhsa_system_sgpr_workgroup_id_z 0
		.amdhsa_system_sgpr_workgroup_info 0
		.amdhsa_system_vgpr_workitem_id 1
		.amdhsa_next_free_vgpr 178
		.amdhsa_next_free_sgpr 25
		.amdhsa_accum_offset 180
		.amdhsa_reserve_vcc 1
		.amdhsa_float_round_mode_32 0
		.amdhsa_float_round_mode_16_64 0
		.amdhsa_float_denorm_mode_32 3
		.amdhsa_float_denorm_mode_16_64 3
		.amdhsa_dx10_clamp 1
		.amdhsa_ieee_mode 1
		.amdhsa_fp16_overflow 0
		.amdhsa_tg_split 0
		.amdhsa_exception_fp_ieee_invalid_op 0
		.amdhsa_exception_fp_denorm_src 0
		.amdhsa_exception_fp_ieee_div_zero 0
		.amdhsa_exception_fp_ieee_overflow 0
		.amdhsa_exception_fp_ieee_underflow 0
		.amdhsa_exception_fp_ieee_inexact 0
		.amdhsa_exception_int_div_zero 0
	.end_amdhsa_kernel
	.section	.text._ZL8moe_q5_1IfLb0EEvPKvS1_PT_PKiS5_S5_iiiiiii,"axG",@progbits,_ZL8moe_q5_1IfLb0EEvPKvS1_PT_PKiS5_S5_iiiiiii,comdat
.Lfunc_end183:
	.size	_ZL8moe_q5_1IfLb0EEvPKvS1_PT_PKiS5_S5_iiiiiii, .Lfunc_end183-_ZL8moe_q5_1IfLb0EEvPKvS1_PT_PKiS5_S5_iiiiiii
                                        ; -- End function
	.section	.AMDGPU.csdata,"",@progbits
; Kernel info:
; codeLenInByte = 10592
; NumSgprs: 31
; NumVgprs: 178
; NumAgprs: 0
; TotalNumVgprs: 178
; ScratchSize: 0
; MemoryBound: 0
; FloatMode: 240
; IeeeMode: 1
; LDSByteSize: 38656 bytes/workgroup (compile time only)
; SGPRBlocks: 3
; VGPRBlocks: 22
; NumSGPRsForWavesPerEU: 31
; NumVGPRsForWavesPerEU: 178
; AccumOffset: 180
; Occupancy: 1
; WaveLimiterHint : 1
; COMPUTE_PGM_RSRC2:SCRATCH_EN: 0
; COMPUTE_PGM_RSRC2:USER_SGPR: 2
; COMPUTE_PGM_RSRC2:TRAP_HANDLER: 0
; COMPUTE_PGM_RSRC2:TGID_X_EN: 1
; COMPUTE_PGM_RSRC2:TGID_Y_EN: 1
; COMPUTE_PGM_RSRC2:TGID_Z_EN: 0
; COMPUTE_PGM_RSRC2:TIDIG_COMP_CNT: 1
; COMPUTE_PGM_RSRC3_GFX90A:ACCUM_OFFSET: 44
; COMPUTE_PGM_RSRC3_GFX90A:TG_SPLIT: 0
	.section	.text._ZL8moe_q5_1IfLb1EEvPKvS1_PT_PKiS5_S5_iiiiiii,"axG",@progbits,_ZL8moe_q5_1IfLb1EEvPKvS1_PT_PKiS5_S5_iiiiiii,comdat
	.globl	_ZL8moe_q5_1IfLb1EEvPKvS1_PT_PKiS5_S5_iiiiiii ; -- Begin function _ZL8moe_q5_1IfLb1EEvPKvS1_PT_PKiS5_S5_iiiiiii
	.p2align	8
	.type	_ZL8moe_q5_1IfLb1EEvPKvS1_PT_PKiS5_S5_iiiiiii,@function
_ZL8moe_q5_1IfLb1EEvPKvS1_PT_PKiS5_S5_iiiiiii: ; @_ZL8moe_q5_1IfLb1EEvPKvS1_PT_PKiS5_S5_iiiiiii
; %bb.0:
	s_load_dwordx4 s[4:7], s[0:1], 0x18
	s_mov_b32 s8, s3
	s_mov_b32 s9, 0
	s_lshl_b64 s[10:11], s[8:9], 2
	s_waitcnt lgkmcnt(0)
	s_add_u32 s6, s6, s10
	s_addc_u32 s7, s7, s11
	s_load_dword s3, s[6:7], 0x0
	s_waitcnt lgkmcnt(0)
	s_cmpk_gt_u32 s3, 0xff
	s_cbranch_scc1 .LBB184_28
; %bb.1:
	s_load_dwordx2 s[6:7], s[0:1], 0x28
	s_waitcnt lgkmcnt(0)
	s_load_dword s7, s[6:7], 0x0
	s_lshl_b32 s6, s8, 3
	s_waitcnt lgkmcnt(0)
	s_cmp_gt_u32 s6, s7
	s_cbranch_scc1 .LBB184_28
; %bb.2:
	v_bfe_u32 v2, v0, 10, 10
	v_mov_b32_e32 v4, s4
	v_mov_b32_e32 v5, s5
	v_add_u32_e32 v134, s6, v2
	v_mov_b32_e32 v135, 0
	v_lshl_add_u64 v[4:5], v[134:135], 2, v[4:5]
	global_load_dword v1, v[4:5], off
	s_load_dwordx8 s[4:11], s[0:1], 0x30
	s_load_dwordx2 s[16:17], s[0:1], 0x10
	s_waitcnt lgkmcnt(0)
	s_lshl_b32 s11, s2, 7
	s_cmp_lt_i32 s5, 32
	s_cbranch_scc1 .LBB184_18
; %bb.3:
	s_load_dwordx4 s[12:15], s[0:1], 0x0
	s_ashr_i32 s0, s5, 31
	s_lshr_b32 s0, s0, 27
	s_add_i32 s0, s5, s0
	s_ashr_i32 s24, s0, 5
	s_ashr_i32 s0, s8, 31
	s_lshr_b32 s0, s0, 27
	s_add_i32 s0, s8, s0
	s_ashr_i32 s8, s0, 5
	s_not_b32 s0, s11
	s_mul_i32 s18, s3, s4
	s_add_i32 s3, s0, s6
	v_and_b32_e32 v22, 0x3ff, v0
	v_min_i32_e32 v5, s3, v2
	v_lshlrev_b32_e32 v4, 3, v22
	s_movk_i32 s6, 0x104
	v_mul_lo_u32 v9, v5, s24
	v_mad_u64_u32 v[26:27], s[0:1], v5, s6, v[4:5]
	v_add_u32_e32 v5, 8, v2
	v_min_i32_e32 v5, s3, v5
	v_mul_lo_u32 v10, v5, s24
	v_mad_u64_u32 v[28:29], s[0:1], v5, s6, v[4:5]
	v_add_u32_e32 v5, 16, v2
	v_min_i32_e32 v5, s3, v5
	;; [unrolled: 4-line block ×15, first 2 shown]
	v_lshlrev_b32_e32 v6, 2, v2
	v_lshrrev_b32_e32 v27, 3, v22
	v_mad_u64_u32 v[56:57], s[0:1], v5, s6, v[4:5]
	v_add_u32_e32 v4, v27, v6
	v_mul_lo_u32 v55, v5, s24
	v_min_i32_e32 v5, s3, v4
	v_ashrrev_i32_e32 v7, 31, v5
	v_lshrrev_b32_e32 v7, 30, v7
	v_and_b32_e32 v57, 7, v22
	v_mul_lo_u32 v126, v5, s24
	v_add_u32_e32 v7, v5, v7
	v_lshlrev_b32_e32 v135, 5, v5
	v_add_u32_e32 v5, 32, v4
	v_and_b32_e32 v7, -4, v7
	v_lshlrev_b32_e32 v23, 2, v57
	s_mov_b32 s0, 0x8200
	v_min_i32_e32 v5, s3, v5
	v_add3_u32 v134, v7, v23, s0
	v_ashrrev_i32_e32 v7, 31, v5
	v_lshrrev_b32_e32 v7, 30, v7
	v_mul_lo_u32 v128, v5, s24
	v_add_u32_e32 v7, v5, v7
	v_lshlrev_b32_e32 v137, 5, v5
	v_add_u32_e32 v5, 64, v4
	v_and_b32_e32 v7, -4, v7
	v_min_i32_e32 v5, s3, v5
	v_add3_u32 v136, v7, v23, s0
	v_ashrrev_i32_e32 v7, 31, v5
	v_add_u32_e32 v4, 0x60, v4
	v_lshrrev_b32_e32 v7, 30, v7
	v_min_i32_e32 v4, s3, v4
	v_mul_lo_u32 v130, v5, s24
	v_add_u32_e32 v7, v5, v7
	v_lshlrev_b32_e32 v139, 5, v5
	v_ashrrev_i32_e32 v5, 31, v4
	v_lshrrev_b32_e32 v5, 30, v5
	v_add_u32_e32 v5, v4, v5
	v_lshlrev_b32_e32 v3, 2, v22
	v_mov_b32_e32 v25, 0
	v_and_b32_e32 v5, -4, v5
	v_and_b32_e32 v7, -4, v7
	v_mul_lo_u32 v132, v4, s24
	v_add3_u32 v140, v5, v23, s0
	v_lshlrev_b32_e32 v141, 5, v4
	v_and_b32_e32 v4, 28, v3
	v_mov_b32_e32 v5, v25
	v_and_b32_e32 v24, 12, v3
	v_add3_u32 v138, v7, v23, s0
	v_and_b32_e32 v7, 31, v22
	s_waitcnt lgkmcnt(0)
	v_lshl_add_u64 v[58:59], s[14:15], 0, v[4:5]
	v_lshlrev_b32_e32 v3, 7, v2
	v_mov_b32_e32 v5, 0x9680
	v_lshl_or_b32 v4, v7, 2, v3
	v_add_u32_e32 v33, 0x9280, v3
	v_lshl_add_u32 v35, v2, 4, v5
	v_and_b32_e32 v2, 0xfc, v22
	v_lshlrev_b32_e32 v3, 5, v22
	v_add_u32_e32 v29, 0x9280, v4
	v_or_b32_e32 v4, v6, v22
	v_add3_u32 v39, v3, v2, s0
	v_add_u32_e32 v2, 32, v22
	v_lshl_add_u32 v31, v4, 2, v5
	v_and_b32_e32 v3, 0x1fc, v2
	v_lshlrev_b32_e32 v4, 5, v2
	v_add3_u32 v41, v4, v3, s0
	v_add_u32_e32 v3, 64, v22
	v_and_b32_e32 v4, 0x1fc, v3
	v_lshlrev_b32_e32 v3, 5, v3
	s_abs_i32 s3, s10
	v_add3_u32 v43, v3, v4, s0
	v_cvt_f32_u32_e32 v4, s3
	v_add_u32_e32 v3, 0x60, v22
	v_and_b32_e32 v5, 0x1fc, v3
	v_lshlrev_b32_e32 v3, 5, v3
	v_add3_u32 v45, v3, v5, s0
	v_rcp_iflag_f32_e32 v3, v4
	s_sub_i32 s0, 0, s3
	s_waitcnt vmcnt(0)
	v_sub_u32_e32 v4, 0, v1
	v_max_i32_e32 v4, v1, v4
	v_mul_f32_e32 v3, 0x4f7ffffe, v3
	v_cvt_u32_f32_e32 v3, v3
	v_lshrrev_b32_e32 v47, 3, v2
	v_xor_b32_e32 v2, s10, v1
	v_ashrrev_i32_e32 v2, 31, v2
	v_mul_lo_u32 v5, s0, v3
	v_mul_hi_u32 v5, v3, v5
	v_add_u32_e32 v3, v3, v5
	v_mul_hi_u32 v3, v4, v3
	v_mul_lo_u32 v5, v3, s3
	v_sub_u32_e32 v4, v4, v5
	v_add_u32_e32 v5, 1, v3
	v_cmp_le_u32_e64 s[0:1], s3, v4
	v_mov_b32_e32 v23, v25
	s_mul_i32 s2, s24, s11
	v_cndmask_b32_e64 v3, v3, v5, s[0:1]
	v_subrev_u32_e32 v5, s3, v4
	v_cndmask_b32_e64 v4, v4, v5, s[0:1]
	v_add_u32_e32 v5, 1, v3
	v_cmp_le_u32_e64 s[0:1], s3, v4
	s_mul_hi_i32 s3, s2, 24
	s_mul_i32 s6, s2, 24
	v_cndmask_b32_e64 v3, v3, v5, s[0:1]
	v_xor_b32_e32 v3, v3, v2
	v_sub_u32_e32 v2, v3, v2
	v_cmp_gt_i32_e64 s[0:1], s7, v2
	v_mul_lo_u32 v2, v2, s8
	v_ashrrev_i32_e32 v3, 31, v2
	v_lshl_add_u64 v[4:5], v[2:3], 0, v[22:23]
	v_mad_u64_u32 v[6:7], s[20:21], v4, 36, s[14:15]
	v_lshrrev_b32_e32 v8, 2, v22
	v_mad_i32_i24 v7, v5, 36, v7
	s_mov_b64 s[20:21], 0x90
	v_add_u32_e32 v23, v22, v2
	v_add_u32_e32 v49, v47, v2
	;; [unrolled: 1-line block ×3, first 2 shown]
	v_mov_b32_e32 v2, s6
	v_mov_b32_e32 v3, s3
	v_lshl_add_u64 v[60:61], v[6:7], 0, s[20:21]
	v_mad_u64_u32 v[2:3], s[20:21], v8, 24, v[2:3]
	v_mad_i64_i32 v[4:5], s[20:21], v9, 24, v[2:3]
	v_lshl_add_u64 v[6:7], v[4:5], 0, v[24:25]
	v_lshl_add_u64 v[64:65], s[12:13], 0, v[4:5]
	v_mad_i64_i32 v[4:5], s[20:21], v10, 24, v[2:3]
	v_lshl_add_u64 v[6:7], v[6:7], 0, s[12:13]
	v_lshl_add_u64 v[4:5], v[4:5], 0, s[12:13]
	;; [unrolled: 1-line block ×5, first 2 shown]
	v_mad_i64_i32 v[4:5], s[20:21], v11, 24, v[2:3]
	v_lshl_add_u64 v[4:5], v[4:5], 0, s[12:13]
	v_lshl_add_u64 v[66:67], v[6:7], 0, 8
	v_lshl_add_u64 v[6:7], v[4:5], 0, v[24:25]
	v_lshl_add_u64 v[72:73], v[4:5], 0, 4
	v_mad_i64_i32 v[4:5], s[20:21], v12, 24, v[2:3]
	v_lshl_add_u64 v[4:5], v[4:5], 0, s[12:13]
	v_lshl_add_u64 v[70:71], v[6:7], 0, 8
	v_lshl_add_u64 v[6:7], v[4:5], 0, v[24:25]
	v_lshl_add_u64 v[76:77], v[4:5], 0, 4
	;; [unrolled: 5-line block ×12, first 2 shown]
	v_mad_i64_i32 v[4:5], s[20:21], v53, 24, v[2:3]
	v_mad_i64_i32 v[2:3], s[20:21], v55, 24, v[2:3]
	v_lshl_add_u64 v[4:5], v[4:5], 0, s[12:13]
	v_lshl_add_u64 v[2:3], v[2:3], 0, s[12:13]
	;; [unrolled: 1-line block ×7, first 2 shown]
	v_mad_i64_i32 v[2:3], s[20:21], v126, 24, 0
	v_mad_i64_i32 v[2:3], s[20:21], s2, 24, v[2:3]
	v_mad_u64_u32 v[2:3], s[20:21], v57, 24, v[2:3]
	v_lshl_add_u64 v[126:127], s[12:13], 0, v[2:3]
	v_mad_i64_i32 v[2:3], s[20:21], v128, 24, 0
	v_mad_i64_i32 v[2:3], s[20:21], s2, 24, v[2:3]
	v_mad_u64_u32 v[2:3], s[20:21], v57, 24, v[2:3]
	v_lshl_add_u64 v[128:129], s[12:13], 0, v[2:3]
	;; [unrolled: 4-line block ×3, first 2 shown]
	v_mad_i64_i32 v[2:3], s[20:21], v132, 24, 0
	v_mad_i64_i32 v[2:3], s[2:3], s2, 24, v[2:3]
	v_mad_u64_u32 v[2:3], s[2:3], v57, 24, v[2:3]
	s_ashr_i32 s19, s18, 31
	s_mov_b32 s4, 0
	v_cmp_gt_u32_e32 vcc, 4, v22
	v_mul_u32_u24_e32 v37, 0x104, v22
	v_lshl_add_u64 v[118:119], v[6:7], 0, 8
	v_lshl_add_u64 v[122:123], v[4:5], 0, 8
	;; [unrolled: 1-line block ×3, first 2 shown]
	s_movk_i32 s6, 0x80
	v_add_u32_e32 v53, v134, v135
	v_add_u32_e32 v55, v136, v137
	;; [unrolled: 1-line block ×4, first 2 shown]
	s_mov_b64 s[12:13], 0x120
	s_mov_b64 s[20:21], 0xc0
	v_mov_b32_e32 v136, v25
	v_mov_b32_e32 v137, v25
	;; [unrolled: 1-line block ×4, first 2 shown]
	s_branch .LBB184_6
.LBB184_4:                              ;   in Loop: Header=BB184_6 Depth=1
	s_or_b64 exec, exec, s[22:23]
	s_waitcnt lgkmcnt(0)
	s_barrier
	ds_read_b128 v[14:17], v33
	ds_read_b128 v[18:21], v33 offset:16
	ds_read_b128 v[2:5], v35
	ds_read2_b32 v[138:139], v37 offset0:32 offset1:33
	ds_read_b128 v[10:13], v33 offset:32
	ds_read_b128 v[6:9], v33 offset:48
	ds_read2_b32 v[140:141], v39 offset0:4 offset1:5
	ds_read2_b32 v[142:143], v37 offset0:34 offset1:35
	v_mov_b32_e32 v25, 0
	s_waitcnt lgkmcnt(4)
	v_dot4c_i32_i8_e32 v25, v138, v14
	v_dot4c_i32_i8_e32 v25, v139, v18
	ds_read2_b32 v[138:139], v37 offset0:36 offset1:37
	ds_read2_b32 v[146:147], v37 offset0:38 offset1:39
	;; [unrolled: 1-line block ×3, first 2 shown]
	s_waitcnt lgkmcnt(3)
	v_dot4c_i32_i8_e32 v25, v142, v15
	v_dot4c_i32_i8_e32 v25, v143, v19
	s_waitcnt lgkmcnt(2)
	v_dot4c_i32_i8_e32 v25, v138, v16
	v_dot4c_i32_i8_e32 v25, v139, v20
	;; [unrolled: 3-line block ×3, first 2 shown]
	v_add_u32_e32 v138, 0x2100, v37
	ds_read2_b32 v[146:147], v37 offset0:58 offset1:59
	ds_read2_b32 v[148:149], v37 offset0:60 offset1:61
	;; [unrolled: 1-line block ×3, first 2 shown]
	ds_read2_b32 v[142:143], v138 offset1:1
	v_mov_b32_e32 v168, 0
	v_pk_mul_f16 v153, v2, v140
	v_add_u32_e32 v140, 0x2108, v37
	ds_read2_b32 v[154:155], v41 offset0:4 offset1:5
	ds_read2_b32 v[138:139], v45 offset0:6 offset1:7
	s_waitcnt lgkmcnt(2)
	v_dot4c_i32_i8_e32 v168, v142, v14
	v_dot4c_i32_i8_e32 v168, v143, v18
	ds_read2_b32 v[142:143], v140 offset1:1
	v_add_u32_e32 v156, 0x2110, v37
	v_add_u32_e32 v158, 0x2118, v37
	v_add_u32_e32 v140, 0x4180, v37
	ds_read2_b32 v[156:157], v156 offset1:1
	ds_read2_b32 v[158:159], v158 offset1:1
	;; [unrolled: 1-line block ×3, first 2 shown]
	s_waitcnt lgkmcnt(3)
	v_dot4c_i32_i8_e32 v168, v142, v15
	v_dot4c_i32_i8_e32 v168, v143, v19
	s_waitcnt lgkmcnt(2)
	v_dot4c_i32_i8_e32 v168, v156, v16
	v_dot4c_i32_i8_e32 v168, v157, v20
	v_mov_b32_e32 v169, 0
	s_waitcnt lgkmcnt(1)
	v_dot4c_i32_i8_e32 v168, v158, v17
	s_waitcnt lgkmcnt(0)
	v_dot4c_i32_i8_e32 v169, v160, v14
	v_add_u32_e32 v140, 0x4188, v37
	v_add_u32_e32 v162, 0x4190, v37
	;; [unrolled: 1-line block ×3, first 2 shown]
	v_dot4c_i32_i8_e32 v168, v159, v21
	ds_read2_b32 v[156:157], v43 offset0:4 offset1:5
	ds_read2_b32 v[142:143], v41 offset0:6 offset1:7
	;; [unrolled: 1-line block ×3, first 2 shown]
	v_dot4c_i32_i8_e32 v169, v161, v18
	ds_read2_b32 v[160:161], v140 offset1:1
	v_add_u32_e32 v140, 0x6200, v37
	ds_read2_b32 v[162:163], v162 offset1:1
	ds_read2_b32 v[164:165], v164 offset1:1
	;; [unrolled: 1-line block ×3, first 2 shown]
	v_mov_b32_e32 v170, 0
	v_add_u32_e32 v140, 0x6218, v37
	s_waitcnt lgkmcnt(3)
	v_dot4c_i32_i8_e32 v169, v160, v15
	v_dot4c_i32_i8_e32 v169, v161, v19
	s_waitcnt lgkmcnt(0)
	v_dot4c_i32_i8_e32 v170, v166, v14
	v_add_u32_e32 v14, 0x6208, v37
	ds_read2_b32 v[160:161], v14 offset1:1
	v_dot4c_i32_i8_e32 v169, v162, v16
	v_dot4c_i32_i8_e32 v169, v163, v20
	;; [unrolled: 1-line block ×4, first 2 shown]
	v_add_u32_e32 v18, 0x6210, v37
	v_dot4c_i32_i8_e32 v169, v165, v21
	v_add_u32_e32 v14, 0x2120, v37
	ds_read2_b32 v[162:163], v18 offset1:1
	ds_read2_b32 v[164:165], v140 offset1:1
	;; [unrolled: 1-line block ×3, first 2 shown]
	s_waitcnt lgkmcnt(3)
	v_dot4c_i32_i8_e32 v170, v160, v15
	v_dot4c_i32_i8_e32 v170, v161, v19
	s_waitcnt lgkmcnt(2)
	v_dot4c_i32_i8_e32 v170, v162, v16
	v_dot4c_i32_i8_e32 v170, v163, v20
	ds_read2_b32 v[18:19], v45 offset0:4 offset1:5
	ds_read2_b32 v[14:15], v43 offset0:6 offset1:7
	s_waitcnt lgkmcnt(3)
	v_dot4c_i32_i8_e32 v170, v164, v17
	ds_read2_b32 v[16:17], v37 offset0:42 offset1:43
	v_mov_b32_e32 v163, 0
	v_dot4c_i32_i8_e32 v163, v144, v10
	v_dot4c_i32_i8_e32 v170, v165, v21
	;; [unrolled: 1-line block ×3, first 2 shown]
	ds_read2_b32 v[20:21], v37 offset0:44 offset1:45
	ds_read2_b32 v[144:145], v37 offset0:46 offset1:47
	;; [unrolled: 1-line block ×3, first 2 shown]
	v_pk_mul_f16 v154, v2, v154
	v_pk_mul_f16 v156, v2, v156
	s_waitcnt lgkmcnt(5)
	v_pk_mul_f16 v162, v2, v18
	s_waitcnt lgkmcnt(3)
	v_dot4c_i32_i8_e32 v163, v16, v11
	v_add_u32_e32 v2, 0x2128, v37
	v_dot4c_i32_i8_e32 v163, v17, v7
	ds_read2_b32 v[16:17], v2 offset1:1
	s_waitcnt lgkmcnt(3)
	v_dot4c_i32_i8_e32 v163, v20, v12
	v_dot4c_i32_i8_e32 v163, v21, v8
	v_mov_b32_e32 v165, 0
	s_waitcnt lgkmcnt(2)
	v_dot4c_i32_i8_e32 v163, v144, v13
	v_dot4c_i32_i8_e32 v165, v166, v10
	v_add_u32_e32 v18, 0x2130, v37
	v_add_u32_e32 v140, 0x2138, v37
	v_dot4c_i32_i8_e32 v163, v145, v9
	v_pk_mul_f16 v164, v3, v141
	v_dot4c_i32_i8_e32 v165, v167, v6
	v_add_u32_e32 v2, 0x41a0, v37
	ds_read2_b32 v[20:21], v18 offset1:1
	ds_read2_b32 v[140:141], v140 offset1:1
	ds_read2_b32 v[144:145], v2 offset1:1
	s_waitcnt lgkmcnt(3)
	v_dot4c_i32_i8_e32 v165, v16, v11
	v_dot4c_i32_i8_e32 v165, v17, v7
	v_add_u32_e32 v2, 0x41a8, v37
	s_waitcnt lgkmcnt(2)
	v_dot4c_i32_i8_e32 v165, v20, v12
	ds_read2_b32 v[16:17], v2 offset1:1
	v_dot4c_i32_i8_e32 v165, v21, v8
	v_mov_b32_e32 v166, 0
	s_waitcnt lgkmcnt(2)
	v_dot4c_i32_i8_e32 v165, v140, v13
	s_waitcnt lgkmcnt(1)
	v_dot4c_i32_i8_e32 v166, v144, v10
	v_add_u32_e32 v18, 0x41b0, v37
	v_add_u32_e32 v140, 0x41b8, v37
	v_dot4c_i32_i8_e32 v165, v141, v9
	v_dot4c_i32_i8_e32 v166, v145, v6
	v_add_u32_e32 v2, 0x6220, v37
	ds_read2_b32 v[20:21], v18 offset1:1
	ds_read2_b32 v[140:141], v140 offset1:1
	;; [unrolled: 1-line block ×3, first 2 shown]
	s_waitcnt lgkmcnt(3)
	v_dot4c_i32_i8_e32 v166, v16, v11
	v_add_u32_e32 v2, 0x6228, v37
	v_dot4c_i32_i8_e32 v166, v17, v7
	ds_read2_b32 v[16:17], v2 offset1:1
	s_waitcnt lgkmcnt(3)
	v_dot4c_i32_i8_e32 v166, v20, v12
	v_mov_b32_e32 v167, 0
	v_dot4c_i32_i8_e32 v166, v21, v8
	s_waitcnt lgkmcnt(1)
	v_dot4c_i32_i8_e32 v167, v144, v10
	v_dot4c_i32_i8_e32 v166, v140, v13
	;; [unrolled: 1-line block ×3, first 2 shown]
	v_add_u32_e32 v6, 0x6230, v37
	v_dot4c_i32_i8_e32 v166, v141, v9
	v_add_u32_e32 v10, 0x6238, v37
	v_add_u32_e32 v2, 0x2140, v37
	ds_read2_b32 v[20:21], v6 offset1:1
	ds_read2_b32 v[140:141], v10 offset1:1
	;; [unrolled: 1-line block ×3, first 2 shown]
	s_waitcnt lgkmcnt(3)
	v_dot4c_i32_i8_e32 v167, v16, v11
	v_dot4c_i32_i8_e32 v167, v17, v7
	s_waitcnt lgkmcnt(2)
	v_dot4c_i32_i8_e32 v167, v20, v12
	v_dot4c_i32_i8_e32 v167, v21, v8
	s_waitcnt lgkmcnt(1)
	v_dot4c_i32_i8_e32 v167, v140, v13
	ds_read_b128 v[10:13], v33 offset:64
	v_dot4c_i32_i8_e32 v167, v141, v9
	ds_read_b128 v[6:9], v33 offset:80
	v_pk_mul_f16 v155, v3, v155
	v_pk_mul_f16 v157, v3, v157
	;; [unrolled: 1-line block ×3, first 2 shown]
	ds_read2_b32 v[2:3], v37 offset0:50 offset1:51
	v_mov_b32_e32 v172, 0
	s_waitcnt lgkmcnt(2)
	v_dot4c_i32_i8_e32 v172, v160, v10
	s_waitcnt lgkmcnt(1)
	v_dot4c_i32_i8_e32 v172, v161, v6
	ds_read2_b32 v[16:17], v37 offset0:52 offset1:53
	ds_read2_b32 v[18:19], v37 offset0:54 offset1:55
	ds_read2_b32 v[20:21], v37 offset0:56 offset1:57
	s_waitcnt lgkmcnt(3)
	v_dot4c_i32_i8_e32 v172, v2, v11
	v_add_u32_e32 v2, 0x2148, v37
	v_dot4c_i32_i8_e32 v172, v3, v7
	ds_read2_b32 v[2:3], v2 offset1:1
	s_waitcnt lgkmcnt(3)
	v_dot4c_i32_i8_e32 v172, v16, v12
	v_dot4c_i32_i8_e32 v172, v17, v8
	v_mov_b32_e32 v160, 0
	s_waitcnt lgkmcnt(2)
	v_dot4c_i32_i8_e32 v172, v18, v13
	v_dot4c_i32_i8_e32 v160, v144, v10
	v_add_u32_e32 v16, 0x2150, v37
	v_add_u32_e32 v18, 0x2158, v37
	;; [unrolled: 1-line block ×3, first 2 shown]
	v_dot4c_i32_i8_e32 v172, v19, v9
	v_dot4c_i32_i8_e32 v160, v145, v6
	ds_read2_b32 v[16:17], v16 offset1:1
	ds_read2_b32 v[18:19], v18 offset1:1
	;; [unrolled: 1-line block ×3, first 2 shown]
	s_waitcnt lgkmcnt(3)
	v_dot4c_i32_i8_e32 v160, v2, v11
	v_dot4c_i32_i8_e32 v160, v3, v7
	v_add_u32_e32 v2, 0x41c8, v37
	s_waitcnt lgkmcnt(2)
	v_dot4c_i32_i8_e32 v160, v16, v12
	ds_read2_b32 v[2:3], v2 offset1:1
	v_dot4c_i32_i8_e32 v160, v17, v8
	v_mov_b32_e32 v161, 0
	s_waitcnt lgkmcnt(2)
	v_dot4c_i32_i8_e32 v160, v18, v13
	s_waitcnt lgkmcnt(1)
	v_dot4c_i32_i8_e32 v161, v140, v10
	v_add_u32_e32 v16, 0x41d0, v37
	v_add_u32_e32 v18, 0x41d8, v37
	;; [unrolled: 1-line block ×3, first 2 shown]
	v_dot4c_i32_i8_e32 v160, v19, v9
	v_dot4c_i32_i8_e32 v161, v141, v6
	ds_read2_b32 v[16:17], v16 offset1:1
	ds_read2_b32 v[18:19], v18 offset1:1
	;; [unrolled: 1-line block ×3, first 2 shown]
	s_waitcnt lgkmcnt(3)
	v_dot4c_i32_i8_e32 v161, v2, v11
	v_add_u32_e32 v2, 0x6248, v37
	v_dot4c_i32_i8_e32 v161, v3, v7
	ds_read2_b32 v[2:3], v2 offset1:1
	v_mov_b32_e32 v174, 0
	s_waitcnt lgkmcnt(1)
	v_dot4c_i32_i8_e32 v174, v140, v10
	v_dot4c_i32_i8_e32 v161, v16, v12
	;; [unrolled: 1-line block ×3, first 2 shown]
	v_add_u32_e32 v6, 0x6250, v37
	v_dot4c_i32_i8_e32 v161, v17, v8
	v_pk_mul_f16 v173, v4, v14
	v_add_u32_e32 v10, 0x6258, v37
	v_add_u32_e32 v14, 0x2160, v37
	ds_read2_b32 v[16:17], v6 offset1:1
	ds_read2_b32 v[140:141], v10 offset1:1
	;; [unrolled: 1-line block ×3, first 2 shown]
	s_waitcnt lgkmcnt(3)
	v_dot4c_i32_i8_e32 v174, v2, v11
	v_dot4c_i32_i8_e32 v174, v3, v7
	s_waitcnt lgkmcnt(2)
	v_dot4c_i32_i8_e32 v174, v16, v12
	v_dot4c_i32_i8_e32 v161, v18, v13
	;; [unrolled: 1-line block ×4, first 2 shown]
	s_waitcnt lgkmcnt(1)
	v_dot4c_i32_i8_e32 v174, v140, v13
	ds_read_b128 v[10:13], v33 offset:96
	ds_read_b128 v[16:19], v33 offset:112
	v_pk_mul_f16 v158, v4, v158
	v_pk_mul_f16 v142, v4, v142
	;; [unrolled: 1-line block ×3, first 2 shown]
	v_mov_b32_e32 v4, 0
	s_waitcnt lgkmcnt(1)
	v_dot4c_i32_i8_e32 v4, v20, v10
	s_waitcnt lgkmcnt(0)
	v_dot4c_i32_i8_e32 v4, v21, v16
	v_add_u32_e32 v2, 0x2168, v37
	v_dot4c_i32_i8_e32 v4, v146, v11
	ds_read2_b32 v[2:3], v2 offset1:1
	v_dot4c_i32_i8_e32 v4, v147, v17
	v_dot4c_i32_i8_e32 v4, v148, v12
	v_mov_b32_e32 v148, 0
	v_dot4c_i32_i8_e32 v148, v144, v10
	v_add_u32_e32 v6, 0x2170, v37
	v_add_u32_e32 v8, 0x2178, v37
	;; [unrolled: 1-line block ×3, first 2 shown]
	v_dot4c_i32_i8_e32 v174, v141, v9
	v_dot4c_i32_i8_e32 v148, v145, v16
	ds_read2_b32 v[6:7], v6 offset1:1
	ds_read2_b32 v[8:9], v8 offset1:1
	;; [unrolled: 1-line block ×3, first 2 shown]
	s_waitcnt lgkmcnt(3)
	v_dot4c_i32_i8_e32 v148, v2, v11
	v_dot4c_i32_i8_e32 v148, v3, v17
	s_waitcnt lgkmcnt(2)
	v_dot4c_i32_i8_e32 v148, v6, v12
	v_dot4c_i32_i8_e32 v148, v7, v18
	;; [unrolled: 3-line block ×3, first 2 shown]
	v_cvt_f32_f16_e32 v3, v154
	v_cvt_f32_f16_e32 v2, v153
	v_cvt_f32_f16_sdwa v7, v154 dst_sel:DWORD dst_unused:UNUSED_PAD src0_sel:WORD_1
	v_cvt_f32_f16_sdwa v6, v153 dst_sel:DWORD dst_unused:UNUSED_PAD src0_sel:WORD_1
	v_cvt_f32_i32_e32 v9, v168
	v_cvt_f32_i32_e32 v8, v25
	v_cvt_f32_f16_e32 v141, v155
	v_cvt_f32_f16_e32 v140, v164
	v_cvt_f32_f16_sdwa v145, v155 dst_sel:DWORD dst_unused:UNUSED_PAD src0_sel:WORD_1
	v_cvt_f32_f16_sdwa v144, v164 dst_sel:DWORD dst_unused:UNUSED_PAD src0_sel:WORD_1
	v_cvt_f32_i32_e32 v147, v165
	v_cvt_f32_i32_e32 v146, v163
	v_dot4c_i32_i8_e32 v4, v149, v18
	v_dot4c_i32_i8_e32 v4, v150, v13
	v_pk_fma_f32 v[2:3], v[2:3], v[8:9], v[6:7]
	v_dot4c_i32_i8_e32 v4, v151, v19
	v_pk_mul_f16 v14, v5, v159
	v_pk_mul_f16 v25, v5, v143
	v_pk_add_f32 v[2:3], v[136:137], v[2:3]
	v_pk_fma_f32 v[6:7], v[140:141], v[146:147], v[144:145]
	v_cvt_f32_f16_e32 v9, v142
	v_cvt_f32_f16_e32 v8, v158
	v_cvt_f32_f16_sdwa v137, v142 dst_sel:DWORD dst_unused:UNUSED_PAD src0_sel:WORD_1
	v_cvt_f32_f16_sdwa v136, v158 dst_sel:DWORD dst_unused:UNUSED_PAD src0_sel:WORD_1
	v_cvt_f32_i32_e32 v141, v160
	v_cvt_f32_i32_e32 v140, v172
	v_cvt_f32_f16_e32 v143, v25
	v_cvt_f32_f16_e32 v142, v14
	v_cvt_f32_f16_sdwa v145, v25 dst_sel:DWORD dst_unused:UNUSED_PAD src0_sel:WORD_1
	v_cvt_f32_f16_sdwa v144, v14 dst_sel:DWORD dst_unused:UNUSED_PAD src0_sel:WORD_1
	v_cvt_f32_i32_e32 v147, v148
	v_cvt_f32_i32_e32 v146, v4
	v_pk_add_f32 v[2:3], v[2:3], v[6:7]
	v_pk_fma_f32 v[6:7], v[8:9], v[140:141], v[136:137]
	v_mov_b32_e32 v25, 0
	v_pk_add_f32 v[2:3], v[2:3], v[6:7]
	v_pk_fma_f32 v[6:7], v[142:143], v[146:147], v[144:145]
	s_waitcnt lgkmcnt(0)
	v_dot4c_i32_i8_e32 v25, v20, v10
	v_pk_add_f32 v[136:137], v[2:3], v[6:7]
	v_add_u32_e32 v2, 0x41e8, v37
	ds_read2_b32 v[2:3], v2 offset1:1
	v_add_u32_e32 v4, 0x41f0, v37
	v_add_u32_e32 v8, 0x41f8, v37
	v_dot4c_i32_i8_e32 v25, v21, v16
	v_add_u32_e32 v14, 0x6260, v37
	ds_read2_b32 v[6:7], v4 offset1:1
	ds_read2_b32 v[8:9], v8 offset1:1
	;; [unrolled: 1-line block ×3, first 2 shown]
	s_waitcnt lgkmcnt(3)
	v_dot4c_i32_i8_e32 v25, v2, v11
	v_add_u32_e32 v2, 0x6268, v37
	v_dot4c_i32_i8_e32 v25, v3, v17
	ds_read2_b32 v[2:3], v2 offset1:1
	s_waitcnt lgkmcnt(3)
	v_dot4c_i32_i8_e32 v25, v6, v12
	v_add_u32_e32 v4, 0x6270, v37
	v_dot4c_i32_i8_e32 v25, v7, v18
	ds_read2_b32 v[6:7], v4 offset1:1
	v_mov_b32_e32 v141, 0
	s_waitcnt lgkmcnt(3)
	v_dot4c_i32_i8_e32 v25, v8, v13
	s_waitcnt lgkmcnt(2)
	v_dot4c_i32_i8_e32 v141, v20, v10
	v_add_u32_e32 v4, 0x6278, v37
	v_dot4c_i32_i8_e32 v25, v9, v19
	v_dot4c_i32_i8_e32 v141, v21, v16
	ds_read2_b32 v[8:9], v4 offset1:1
	s_waitcnt lgkmcnt(2)
	v_dot4c_i32_i8_e32 v141, v2, v11
	v_dot4c_i32_i8_e32 v141, v3, v17
	s_waitcnt lgkmcnt(1)
	v_dot4c_i32_i8_e32 v141, v6, v12
	v_dot4c_i32_i8_e32 v141, v7, v18
	s_waitcnt lgkmcnt(0)
	v_dot4c_i32_i8_e32 v141, v8, v13
	v_pk_mul_f16 v140, v5, v15
	v_dot4c_i32_i8_e32 v141, v9, v19
	v_cvt_f32_f16_e32 v3, v162
	v_cvt_f32_f16_e32 v2, v156
	v_cvt_f32_f16_sdwa v7, v162 dst_sel:DWORD dst_unused:UNUSED_PAD src0_sel:WORD_1
	v_cvt_f32_f16_sdwa v6, v156 dst_sel:DWORD dst_unused:UNUSED_PAD src0_sel:WORD_1
	v_cvt_f32_i32_e32 v9, v170
	v_cvt_f32_i32_e32 v8, v169
	v_cvt_f32_f16_e32 v11, v171
	v_cvt_f32_f16_e32 v10, v157
	v_cvt_f32_f16_sdwa v13, v171 dst_sel:DWORD dst_unused:UNUSED_PAD src0_sel:WORD_1
	v_cvt_f32_f16_sdwa v12, v157 dst_sel:DWORD dst_unused:UNUSED_PAD src0_sel:WORD_1
	v_cvt_f32_i32_e32 v15, v167
	v_cvt_f32_i32_e32 v14, v166
	v_pk_mul_f16 v16, v5, v139
	v_pk_fma_f32 v[2:3], v[2:3], v[8:9], v[6:7]
	v_cvt_f32_f16_e32 v7, v138
	v_pk_fma_f32 v[4:5], v[10:11], v[14:15], v[12:13]
	v_cvt_f32_f16_e32 v6, v173
	v_cvt_f32_f16_sdwa v9, v138 dst_sel:DWORD dst_unused:UNUSED_PAD src0_sel:WORD_1
	v_cvt_f32_f16_sdwa v8, v173 dst_sel:DWORD dst_unused:UNUSED_PAD src0_sel:WORD_1
	v_cvt_f32_i32_e32 v11, v174
	v_cvt_f32_i32_e32 v10, v161
	v_cvt_f32_f16_e32 v13, v16
	v_cvt_f32_f16_e32 v12, v140
	v_cvt_f32_f16_sdwa v15, v16 dst_sel:DWORD dst_unused:UNUSED_PAD src0_sel:WORD_1
	v_cvt_f32_f16_sdwa v14, v140 dst_sel:DWORD dst_unused:UNUSED_PAD src0_sel:WORD_1
	v_cvt_f32_i32_e32 v17, v141
	v_cvt_f32_i32_e32 v16, v25
	v_pk_add_f32 v[2:3], v[134:135], v[2:3]
	s_nop 0
	v_pk_add_f32 v[2:3], v[2:3], v[4:5]
	v_pk_fma_f32 v[4:5], v[6:7], v[10:11], v[8:9]
	s_barrier
	v_pk_add_f32 v[2:3], v[2:3], v[4:5]
	v_pk_fma_f32 v[4:5], v[12:13], v[16:17], v[14:15]
	s_nop 0
	v_pk_add_f32 v[134:135], v[2:3], v[4:5]
.LBB184_5:                              ;   in Loop: Header=BB184_6 Depth=1
	s_add_i32 s4, s4, 8
	s_addk_i32 s6, 0x100
	v_lshl_add_u64 v[60:61], v[60:61], 0, s[12:13]
	v_lshl_add_u64 v[62:63], v[62:63], 0, s[20:21]
	;; [unrolled: 1-line block ×36, first 2 shown]
	s_cmp_ge_i32 s4, s24
	v_lshl_add_u64 v[132:133], v[132:133], 0, s[20:21]
	s_cbranch_scc1 .LBB184_19
.LBB184_6:                              ; =>This Inner Loop Header: Depth=1
	v_lshl_add_u64 v[2:3], v[62:63], 0, s[18:19]
	global_load_dword v14, v[2:3], off
	v_lshl_add_u64 v[2:3], v[64:65], 0, s[18:19]
	global_load_dword v15, v[2:3], off offset:4
	v_lshl_add_u64 v[2:3], v[66:67], 0, s[18:19]
	global_load_dword v16, v[2:3], off
	v_lshl_add_u64 v[2:3], v[68:69], 0, s[18:19]
	global_load_dword v17, v[2:3], off
	v_lshl_add_u64 v[4:5], v[72:73], 0, s[18:19]
	v_lshl_add_u64 v[2:3], v[70:71], 0, s[18:19]
	global_load_dword v18, v[4:5], off
	global_load_dword v19, v[2:3], off
	v_lshl_add_u64 v[2:3], v[74:75], 0, s[18:19]
	v_lshl_add_u64 v[4:5], v[76:77], 0, s[18:19]
	;; [unrolled: 1-line block ×6, first 2 shown]
	global_load_dword v20, v[2:3], off
	s_nop 0
	global_load_dword v2, v[4:5], off
	s_nop 0
	global_load_dword v4, v[6:7], off
	global_load_dword v5, v[8:9], off
	s_nop 0
	global_load_dword v6, v[10:11], off
	global_load_dword v7, v[12:13], off
	s_add_i32 s2, s6, 0xffffff80
	s_cmp_lt_i32 s2, s5
	s_waitcnt vmcnt(11)
	v_lshrrev_b32_e32 v8, 4, v14
	v_and_b32_e32 v9, 0xf0f0f0f, v14
	s_waitcnt vmcnt(10)
	v_ashrrev_i32_e32 v3, v24, v15
	v_and_b32_e32 v8, 0xf0f0f0f, v8
	s_waitcnt vmcnt(9)
	v_lshrrev_b32_e32 v11, 4, v16
	v_and_b32_e32 v12, 0xf0f0f0f, v16
	s_waitcnt vmcnt(8)
	v_ashrrev_i32_e32 v10, v24, v17
	v_lshlrev_b32_e32 v16, 4, v3
	s_waitcnt vmcnt(7)
	v_ashrrev_i32_e32 v13, v24, v18
	s_waitcnt vmcnt(6)
	v_lshrrev_b32_e32 v14, 4, v19
	v_and_b32_e32 v15, 0xf0f0f0f, v19
	v_lshlrev_b32_e32 v17, 11, v3
	v_lshrrev_b32_e32 v18, 12, v3
	v_lshrrev_b32_e32 v19, 5, v3
	v_lshlrev_b32_e32 v139, 4, v10
	v_lshlrev_b32_e32 v140, 11, v10
	v_lshrrev_b32_e32 v141, 12, v10
	v_lshrrev_b32_e32 v142, 5, v10
	v_lshlrev_b32_e32 v21, 2, v3
	v_lshlrev_b32_e32 v25, 18, v3
	v_lshlrev_b32_e32 v138, 9, v3
	v_lshlrev_b32_e32 v3, 25, v3
	v_and_b32_e32 v11, 0xf0f0f0f, v11
	v_lshlrev_b32_e32 v143, 2, v10
	v_lshlrev_b32_e32 v144, 18, v10
	;; [unrolled: 1-line block ×4, first 2 shown]
	v_and_b32_e32 v18, 16, v18
	v_and_b32_e32 v16, 16, v16
	;; [unrolled: 1-line block ×16, first 2 shown]
	v_or3_b32 v9, v16, v9, v17
	v_or3_b32 v8, v18, v8, v19
	;; [unrolled: 1-line block ×4, first 2 shown]
	v_lshlrev_b32_e32 v146, 4, v13
	v_lshlrev_b32_e32 v147, 11, v13
	v_lshrrev_b32_e32 v148, 12, v13
	v_lshrrev_b32_e32 v149, 5, v13
	v_or3_b32 v8, v8, v21, v138
	v_or3_b32 v3, v9, v25, v3
	;; [unrolled: 1-line block ×4, first 2 shown]
	v_and_b32_e32 v14, 0xf0f0f0f, v14
	v_and_b32_e32 v148, 16, v148
	v_and_b32_e32 v146, 16, v146
	v_and_b32_e32 v149, 0x1000, v149
	v_and_b32_e32 v147, 0x1000, v147
	ds_write2_b32 v26, v3, v8 offset1:1
	ds_write2_b32 v28, v10, v9 offset1:1
	v_lshlrev_b32_e32 v8, 2, v13
	v_lshlrev_b32_e32 v9, 18, v13
	;; [unrolled: 1-line block ×4, first 2 shown]
	v_or3_b32 v15, v146, v15, v147
	v_or3_b32 v3, v148, v14, v149
	v_and_b32_e32 v9, 0x100000, v9
	v_and_b32_e32 v8, 0x100000, v8
	;; [unrolled: 1-line block ×4, first 2 shown]
	v_or3_b32 v3, v3, v8, v10
	v_or3_b32 v8, v15, v9, v11
	ds_write2_b32 v30, v8, v3 offset1:1
	s_waitcnt vmcnt(4)
	v_ashrrev_i32_e32 v8, v24, v2
	v_lshl_add_u64 v[2:3], v[88:89], 0, s[18:19]
	v_lshlrev_b32_e32 v9, 4, v8
	v_lshlrev_b32_e32 v10, 11, v8
	v_lshrrev_b32_e32 v11, 4, v20
	v_lshrrev_b32_e32 v12, 12, v8
	;; [unrolled: 1-line block ×3, first 2 shown]
	global_load_dword v14, v[2:3], off
	v_lshl_add_u64 v[2:3], v[86:87], 0, s[18:19]
	v_and_b32_e32 v11, 0xf0f0f0f, v11
	global_load_dword v15, v[2:3], off
	v_and_b32_e32 v2, 0xf0f0f0f, v20
	v_and_b32_e32 v3, 16, v12
	;; [unrolled: 1-line block ×5, first 2 shown]
	v_or3_b32 v2, v9, v2, v10
	v_or3_b32 v3, v3, v11, v12
	v_lshlrev_b32_e32 v9, 2, v8
	v_lshlrev_b32_e32 v10, 18, v8
	;; [unrolled: 1-line block ×4, first 2 shown]
	v_and_b32_e32 v10, 0x100000, v10
	v_and_b32_e32 v9, 0x100000, v9
	;; [unrolled: 1-line block ×4, first 2 shown]
	v_or3_b32 v3, v3, v9, v11
	v_or3_b32 v2, v2, v10, v8
	ds_write2_b32 v32, v2, v3 offset1:1
	v_lshl_add_u64 v[2:3], v[92:93], 0, s[18:19]
	s_waitcnt vmcnt(4)
	v_ashrrev_i32_e32 v5, v24, v5
	global_load_dword v13, v[2:3], off
	v_lshl_add_u64 v[2:3], v[90:91], 0, s[18:19]
	v_lshlrev_b32_e32 v8, 4, v5
	v_lshlrev_b32_e32 v9, 11, v5
	v_lshrrev_b32_e32 v10, 4, v4
	v_lshrrev_b32_e32 v11, 12, v5
	;; [unrolled: 1-line block ×3, first 2 shown]
	global_load_dword v16, v[2:3], off
	v_and_b32_e32 v10, 0xf0f0f0f, v10
	v_and_b32_e32 v2, 0xf0f0f0f, v4
	;; [unrolled: 1-line block ×6, first 2 shown]
	v_or3_b32 v2, v4, v2, v9
	v_or3_b32 v3, v3, v10, v8
	v_lshlrev_b32_e32 v4, 2, v5
	v_lshlrev_b32_e32 v8, 18, v5
	;; [unrolled: 1-line block ×4, first 2 shown]
	v_and_b32_e32 v8, 0x100000, v8
	v_and_b32_e32 v4, 0x100000, v4
	;; [unrolled: 1-line block ×4, first 2 shown]
	v_or3_b32 v3, v3, v4, v9
	v_or3_b32 v2, v2, v8, v5
	ds_write2_b32 v34, v2, v3 offset1:1
	v_lshl_add_u64 v[2:3], v[96:97], 0, s[18:19]
	s_waitcnt vmcnt(4)
	v_ashrrev_i32_e32 v4, v24, v7
	global_load_dword v11, v[2:3], off
	v_lshl_add_u64 v[2:3], v[94:95], 0, s[18:19]
	v_lshlrev_b32_e32 v5, 4, v4
	v_lshlrev_b32_e32 v7, 11, v4
	v_lshrrev_b32_e32 v8, 4, v6
	v_lshrrev_b32_e32 v9, 12, v4
	v_lshrrev_b32_e32 v10, 5, v4
	global_load_dword v12, v[2:3], off
	v_and_b32_e32 v8, 0xf0f0f0f, v8
	v_and_b32_e32 v2, 0xf0f0f0f, v6
	;; [unrolled: 1-line block ×6, first 2 shown]
	v_or3_b32 v2, v5, v2, v7
	v_or3_b32 v3, v3, v8, v6
	v_lshlrev_b32_e32 v5, 2, v4
	v_lshlrev_b32_e32 v6, 18, v4
	;; [unrolled: 1-line block ×4, first 2 shown]
	v_and_b32_e32 v6, 0x100000, v6
	v_and_b32_e32 v5, 0x100000, v5
	;; [unrolled: 1-line block ×4, first 2 shown]
	v_or3_b32 v3, v3, v5, v7
	v_or3_b32 v2, v2, v6, v4
	ds_write2_b32 v36, v2, v3 offset1:1
	v_lshl_add_u64 v[2:3], v[100:101], 0, s[18:19]
	global_load_dword v10, v[2:3], off
	s_waitcnt vmcnt(6)
	v_ashrrev_i32_e32 v4, v24, v14
	v_lshlrev_b32_e32 v5, 4, v4
	v_lshlrev_b32_e32 v6, 11, v4
	s_waitcnt vmcnt(5)
	v_lshrrev_b32_e32 v7, 4, v15
	v_lshrrev_b32_e32 v8, 12, v4
	;; [unrolled: 1-line block ×3, first 2 shown]
	v_lshl_add_u64 v[2:3], v[98:99], 0, s[18:19]
	v_and_b32_e32 v7, 0xf0f0f0f, v7
	global_load_dword v14, v[2:3], off
	v_and_b32_e32 v2, 0xf0f0f0f, v15
	v_and_b32_e32 v3, 16, v8
	;; [unrolled: 1-line block ×5, first 2 shown]
	v_or3_b32 v2, v5, v2, v6
	v_or3_b32 v3, v3, v7, v8
	v_lshlrev_b32_e32 v5, 2, v4
	v_lshlrev_b32_e32 v6, 18, v4
	;; [unrolled: 1-line block ×4, first 2 shown]
	v_and_b32_e32 v6, 0x100000, v6
	v_and_b32_e32 v5, 0x100000, v5
	;; [unrolled: 1-line block ×4, first 2 shown]
	v_or3_b32 v3, v3, v5, v7
	v_or3_b32 v2, v2, v6, v4
	ds_write2_b32 v38, v2, v3 offset1:1
	s_waitcnt vmcnt(5)
	v_ashrrev_i32_e32 v4, v24, v13
	v_lshl_add_u64 v[2:3], v[104:105], 0, s[18:19]
	v_lshlrev_b32_e32 v5, 4, v4
	v_lshlrev_b32_e32 v6, 11, v4
	s_waitcnt vmcnt(4)
	v_lshrrev_b32_e32 v7, 4, v16
	v_lshrrev_b32_e32 v8, 12, v4
	;; [unrolled: 1-line block ×3, first 2 shown]
	global_load_dword v13, v[2:3], off
	v_lshl_add_u64 v[2:3], v[102:103], 0, s[18:19]
	v_and_b32_e32 v7, 0xf0f0f0f, v7
	global_load_dword v15, v[2:3], off
	v_and_b32_e32 v2, 0xf0f0f0f, v16
	v_and_b32_e32 v3, 16, v8
	;; [unrolled: 1-line block ×5, first 2 shown]
	v_or3_b32 v2, v5, v2, v6
	v_or3_b32 v3, v3, v7, v8
	v_lshlrev_b32_e32 v5, 2, v4
	v_lshlrev_b32_e32 v6, 18, v4
	;; [unrolled: 1-line block ×4, first 2 shown]
	v_and_b32_e32 v6, 0x100000, v6
	v_and_b32_e32 v5, 0x100000, v5
	;; [unrolled: 1-line block ×4, first 2 shown]
	v_or3_b32 v3, v3, v5, v7
	v_or3_b32 v2, v2, v6, v4
	ds_write2_b32 v40, v2, v3 offset1:1
	v_lshl_add_u64 v[2:3], v[108:109], 0, s[18:19]
	s_waitcnt vmcnt(5)
	v_ashrrev_i32_e32 v4, v24, v11
	global_load_dword v11, v[2:3], off
	v_lshl_add_u64 v[2:3], v[106:107], 0, s[18:19]
	v_lshlrev_b32_e32 v5, 4, v4
	v_lshlrev_b32_e32 v6, 11, v4
	s_waitcnt vmcnt(5)
	v_lshrrev_b32_e32 v7, 4, v12
	v_lshrrev_b32_e32 v8, 12, v4
	;; [unrolled: 1-line block ×3, first 2 shown]
	global_load_dword v16, v[2:3], off
	v_and_b32_e32 v7, 0xf0f0f0f, v7
	v_and_b32_e32 v2, 0xf0f0f0f, v12
	;; [unrolled: 1-line block ×6, first 2 shown]
	v_or3_b32 v2, v5, v2, v6
	v_or3_b32 v3, v3, v7, v8
	v_lshlrev_b32_e32 v5, 2, v4
	v_lshlrev_b32_e32 v6, 18, v4
	v_lshlrev_b32_e32 v7, 9, v4
	v_lshlrev_b32_e32 v4, 25, v4
	v_and_b32_e32 v6, 0x100000, v6
	v_and_b32_e32 v5, 0x100000, v5
	;; [unrolled: 1-line block ×4, first 2 shown]
	v_or3_b32 v3, v3, v5, v7
	v_or3_b32 v2, v2, v6, v4
	ds_write2_b32 v42, v2, v3 offset1:1
	v_lshl_add_u64 v[2:3], v[112:113], 0, s[18:19]
	s_waitcnt vmcnt(5)
	v_ashrrev_i32_e32 v4, v24, v10
	global_load_dword v10, v[2:3], off
	v_lshl_add_u64 v[2:3], v[110:111], 0, s[18:19]
	global_load_dword v12, v[2:3], off
	v_lshlrev_b32_e32 v5, 4, v4
	v_lshlrev_b32_e32 v6, 11, v4
	s_waitcnt vmcnt(6)
	v_lshrrev_b32_e32 v7, 4, v14
	v_lshrrev_b32_e32 v8, 12, v4
	;; [unrolled: 1-line block ×3, first 2 shown]
	v_and_b32_e32 v7, 0xf0f0f0f, v7
	v_and_b32_e32 v2, 0xf0f0f0f, v14
	;; [unrolled: 1-line block ×6, first 2 shown]
	v_or3_b32 v2, v5, v2, v6
	v_or3_b32 v3, v3, v7, v8
	v_lshlrev_b32_e32 v5, 2, v4
	v_lshlrev_b32_e32 v6, 18, v4
	;; [unrolled: 1-line block ×4, first 2 shown]
	v_and_b32_e32 v6, 0x100000, v6
	v_and_b32_e32 v5, 0x100000, v5
	;; [unrolled: 1-line block ×4, first 2 shown]
	v_or3_b32 v3, v3, v5, v7
	v_or3_b32 v2, v2, v6, v4
	ds_write2_b32 v44, v2, v3 offset1:1
	s_waitcnt vmcnt(5)
	v_ashrrev_i32_e32 v4, v24, v13
	v_lshlrev_b32_e32 v2, 4, v4
	v_lshlrev_b32_e32 v3, 11, v4
	s_waitcnt vmcnt(4)
	v_lshrrev_b32_e32 v5, 4, v15
	v_lshrrev_b32_e32 v6, 12, v4
	;; [unrolled: 1-line block ×3, first 2 shown]
	v_and_b32_e32 v5, 0xf0f0f0f, v5
	v_and_b32_e32 v6, 16, v6
	;; [unrolled: 1-line block ×5, first 2 shown]
	v_lshl_add_u64 v[2:3], v[116:117], 0, s[18:19]
	global_load_dword v14, v[2:3], off
	v_or3_b32 v5, v6, v5, v7
	v_lshlrev_b32_e32 v6, 2, v4
	v_lshl_add_u64 v[2:3], v[114:115], 0, s[18:19]
	v_and_b32_e32 v8, 0xf0f0f0f, v15
	global_load_dword v7, v[2:3], off
	v_lshlrev_b32_e32 v2, 18, v4
	v_and_b32_e32 v3, 0x100000, v6
	v_lshlrev_b32_e32 v6, 9, v4
	v_lshlrev_b32_e32 v4, 25, v4
	v_or3_b32 v8, v9, v8, v13
	v_and_b32_e32 v2, 0x100000, v2
	v_and_b32_e32 v4, 0x10000000, v4
	;; [unrolled: 1-line block ×3, first 2 shown]
	v_or3_b32 v3, v5, v3, v6
	v_or3_b32 v2, v8, v2, v4
	s_waitcnt vmcnt(5)
	v_ashrrev_i32_e32 v4, v24, v11
	ds_write2_b32 v46, v2, v3 offset1:1
	v_lshlrev_b32_e32 v2, 4, v4
	s_waitcnt vmcnt(4)
	v_lshrrev_b32_e32 v3, 4, v16
	v_lshrrev_b32_e32 v6, 12, v4
	;; [unrolled: 1-line block ×3, first 2 shown]
	v_and_b32_e32 v9, 0xf0f0f0f, v3
	v_and_b32_e32 v13, 16, v2
	v_lshl_add_u64 v[2:3], v[120:121], 0, s[18:19]
	v_lshlrev_b32_e32 v5, 11, v4
	v_and_b32_e32 v6, 16, v6
	global_load_dword v15, v[2:3], off
	v_and_b32_e32 v8, 0x1000, v8
	v_lshl_add_u64 v[2:3], v[118:119], 0, s[18:19]
	v_and_b32_e32 v11, 0xf0f0f0f, v16
	global_load_dword v16, v[2:3], off
	v_and_b32_e32 v2, 0x1000, v5
	v_or3_b32 v3, v6, v9, v8
	v_lshlrev_b32_e32 v5, 2, v4
	v_lshlrev_b32_e32 v6, 18, v4
	;; [unrolled: 1-line block ×4, first 2 shown]
	v_or3_b32 v2, v13, v11, v2
	v_and_b32_e32 v6, 0x100000, v6
	v_and_b32_e32 v5, 0x100000, v5
	;; [unrolled: 1-line block ×4, first 2 shown]
	v_or3_b32 v3, v3, v5, v8
	v_or3_b32 v2, v2, v6, v4
	ds_write2_b32 v48, v2, v3 offset1:1
	s_waitcnt vmcnt(5)
	v_ashrrev_i32_e32 v4, v24, v10
	v_lshl_add_u64 v[2:3], v[124:125], 0, s[18:19]
	v_lshlrev_b32_e32 v5, 4, v4
	v_lshlrev_b32_e32 v6, 11, v4
	s_waitcnt vmcnt(4)
	v_lshrrev_b32_e32 v8, 4, v12
	v_lshrrev_b32_e32 v9, 12, v4
	;; [unrolled: 1-line block ×3, first 2 shown]
	global_load_dword v11, v[2:3], off
	v_lshl_add_u64 v[2:3], v[122:123], 0, s[18:19]
	v_and_b32_e32 v8, 0xf0f0f0f, v8
	global_load_dword v13, v[2:3], off
	v_and_b32_e32 v2, 0xf0f0f0f, v12
	v_and_b32_e32 v3, 16, v9
	;; [unrolled: 1-line block ×5, first 2 shown]
	v_or3_b32 v2, v5, v2, v6
	v_or3_b32 v3, v3, v8, v9
	v_lshlrev_b32_e32 v5, 2, v4
	v_lshlrev_b32_e32 v6, 18, v4
	v_lshlrev_b32_e32 v8, 9, v4
	v_lshlrev_b32_e32 v4, 25, v4
	v_and_b32_e32 v6, 0x100000, v6
	v_and_b32_e32 v5, 0x100000, v5
	;; [unrolled: 1-line block ×4, first 2 shown]
	v_or3_b32 v3, v3, v5, v8
	v_or3_b32 v2, v2, v6, v4
	ds_write2_b32 v50, v2, v3 offset1:1
	v_lshl_add_u64 v[2:3], v[126:127], 0, s[18:19]
	global_load_dword v4, v[2:3], off
	v_lshl_add_u64 v[2:3], v[128:129], 0, s[18:19]
	global_load_dword v5, v[2:3], off
	;; [unrolled: 2-line block ×4, first 2 shown]
	s_waitcnt vmcnt(9)
	v_ashrrev_i32_e32 v8, v24, v14
	v_lshlrev_b32_e32 v3, 4, v8
	v_lshlrev_b32_e32 v9, 11, v8
	s_waitcnt vmcnt(8)
	v_lshrrev_b32_e32 v10, 4, v7
	v_lshrrev_b32_e32 v12, 12, v8
	v_lshrrev_b32_e32 v14, 5, v8
	v_and_b32_e32 v10, 0xf0f0f0f, v10
	v_and_b32_e32 v7, 0xf0f0f0f, v7
	v_and_b32_e32 v12, 16, v12
	v_and_b32_e32 v3, 16, v3
	v_and_b32_e32 v14, 0x1000, v14
	v_and_b32_e32 v9, 0x1000, v9
	v_or3_b32 v3, v3, v7, v9
	v_or3_b32 v7, v12, v10, v14
	v_lshlrev_b32_e32 v9, 2, v8
	v_lshlrev_b32_e32 v10, 18, v8
	v_lshlrev_b32_e32 v12, 9, v8
	v_lshlrev_b32_e32 v8, 25, v8
	v_and_b32_e32 v10, 0x100000, v10
	v_and_b32_e32 v9, 0x100000, v9
	v_and_b32_e32 v8, 0x10000000, v8
	v_and_b32_e32 v12, 0x10000000, v12
	v_or3_b32 v7, v7, v9, v12
	v_or3_b32 v3, v3, v10, v8
	ds_write2_b32 v52, v3, v7 offset1:1
	s_waitcnt vmcnt(7)
	v_ashrrev_i32_e32 v3, v24, v15
	v_lshlrev_b32_e32 v7, 4, v3
	v_lshlrev_b32_e32 v8, 11, v3
	s_waitcnt vmcnt(6)
	v_lshrrev_b32_e32 v9, 4, v16
	v_lshrrev_b32_e32 v10, 12, v3
	v_lshrrev_b32_e32 v12, 5, v3
	v_and_b32_e32 v9, 0xf0f0f0f, v9
	v_and_b32_e32 v14, 0xf0f0f0f, v16
	v_and_b32_e32 v10, 16, v10
	v_and_b32_e32 v7, 16, v7
	v_and_b32_e32 v12, 0x1000, v12
	v_and_b32_e32 v8, 0x1000, v8
	v_or3_b32 v7, v7, v14, v8
	v_or3_b32 v8, v10, v9, v12
	v_lshlrev_b32_e32 v9, 2, v3
	v_lshlrev_b32_e32 v10, 18, v3
	v_lshlrev_b32_e32 v12, 9, v3
	v_lshlrev_b32_e32 v3, 25, v3
	v_and_b32_e32 v10, 0x100000, v10
	v_and_b32_e32 v9, 0x100000, v9
	v_and_b32_e32 v3, 0x10000000, v3
	v_and_b32_e32 v12, 0x10000000, v12
	v_or3_b32 v8, v8, v9, v12
	v_or3_b32 v3, v7, v10, v3
	ds_write2_b32 v54, v3, v8 offset1:1
	s_waitcnt vmcnt(5)
	v_ashrrev_i32_e32 v3, v24, v11
	v_lshlrev_b32_e32 v7, 4, v3
	v_lshlrev_b32_e32 v8, 11, v3
	s_waitcnt vmcnt(4)
	v_lshrrev_b32_e32 v9, 4, v13
	v_lshrrev_b32_e32 v10, 12, v3
	v_lshrrev_b32_e32 v11, 5, v3
	v_and_b32_e32 v9, 0xf0f0f0f, v9
	v_and_b32_e32 v12, 0xf0f0f0f, v13
	v_and_b32_e32 v10, 16, v10
	v_and_b32_e32 v7, 16, v7
	v_and_b32_e32 v11, 0x1000, v11
	v_and_b32_e32 v8, 0x1000, v8
	v_or3_b32 v7, v7, v12, v8
	v_or3_b32 v8, v10, v9, v11
	v_lshlrev_b32_e32 v9, 2, v3
	v_lshlrev_b32_e32 v10, 18, v3
	v_lshlrev_b32_e32 v11, 9, v3
	v_lshlrev_b32_e32 v3, 25, v3
	v_and_b32_e32 v10, 0x100000, v10
	v_and_b32_e32 v9, 0x100000, v9
	v_and_b32_e32 v3, 0x10000000, v3
	v_and_b32_e32 v11, 0x10000000, v11
	v_or3_b32 v8, v8, v9, v11
	v_or3_b32 v3, v7, v10, v3
	ds_write2_b32 v56, v3, v8 offset1:1
	s_waitcnt vmcnt(3)
	ds_write_b32 v53, v4
	s_waitcnt vmcnt(2)
	ds_write_b32 v55, v5
	;; [unrolled: 2-line block ×4, first 2 shown]
	s_cbranch_scc0 .LBB184_5
; %bb.7:                                ;   in Loop: Header=BB184_6 Depth=1
	v_add_u32_e32 v2, s4, v27
	v_cmp_gt_i32_e64 s[2:3], s8, v2
	s_and_b64 s[22:23], s[0:1], s[2:3]
	s_and_saveexec_b64 s[2:3], s[22:23]
	s_cbranch_execz .LBB184_9
; %bb.8:                                ;   in Loop: Header=BB184_6 Depth=1
	v_add_u32_e32 v2, s4, v51
	v_mad_i64_i32 v[2:3], s[22:23], v2, 36, v[58:59]
	global_load_dword v2, v[2:3], off offset:4
	s_waitcnt vmcnt(0)
	ds_write_b32 v29, v2
.LBB184_9:                              ;   in Loop: Header=BB184_6 Depth=1
	s_or_b64 exec, exec, s[2:3]
	s_and_saveexec_b64 s[22:23], vcc
	s_cbranch_execz .LBB184_12
; %bb.10:                               ;   in Loop: Header=BB184_6 Depth=1
	v_add_u32_e32 v2, s4, v22
	v_cmp_gt_i32_e64 s[2:3], s8, v2
	s_and_b64 s[2:3], s[0:1], s[2:3]
	s_and_b64 exec, exec, s[2:3]
	s_cbranch_execz .LBB184_12
; %bb.11:                               ;   in Loop: Header=BB184_6 Depth=1
	v_add_u32_e32 v2, s4, v23
	v_mad_i64_i32 v[2:3], s[2:3], v2, 36, s[14:15]
	global_load_dword v2, v[2:3], off
	s_waitcnt vmcnt(0)
	ds_write_b32 v31, v2
.LBB184_12:                             ;   in Loop: Header=BB184_6 Depth=1
	s_or_b64 exec, exec, s[22:23]
	s_waitcnt lgkmcnt(0)
	s_barrier
	ds_read_b128 v[14:17], v33
	ds_read_b128 v[18:21], v33 offset:16
	ds_read_b128 v[2:5], v35
	ds_read2_b32 v[140:141], v37 offset1:1
	ds_read_b128 v[10:13], v33 offset:32
	ds_read_b128 v[6:9], v33 offset:48
	ds_read2_b32 v[138:139], v39 offset1:1
	ds_read2_b32 v[142:143], v37 offset0:2 offset1:3
	v_mov_b32_e32 v25, 0
	s_waitcnt lgkmcnt(4)
	v_dot4c_i32_i8_e32 v25, v140, v14
	v_dot4c_i32_i8_e32 v25, v141, v18
	s_waitcnt lgkmcnt(1)
	v_pk_mul_f16 v153, v2, v138
	s_waitcnt lgkmcnt(0)
	v_dot4c_i32_i8_e32 v25, v142, v15
	v_add_u32_e32 v138, 0x2080, v37
	ds_read2_b32 v[140:141], v37 offset0:4 offset1:5
	ds_read2_b32 v[144:145], v37 offset0:6 offset1:7
	;; [unrolled: 1-line block ×3, first 2 shown]
	v_dot4c_i32_i8_e32 v25, v143, v19
	ds_read2_b32 v[154:155], v37 offset0:26 offset1:27
	ds_read2_b32 v[156:157], v37 offset0:28 offset1:29
	;; [unrolled: 1-line block ×3, first 2 shown]
	ds_read2_b32 v[142:143], v138 offset1:1
	s_waitcnt lgkmcnt(6)
	v_dot4c_i32_i8_e32 v25, v140, v16
	v_dot4c_i32_i8_e32 v25, v141, v20
	ds_read2_b32 v[140:141], v45 offset0:2 offset1:3
	ds_read2_b32 v[160:161], v41 offset1:1
	v_mov_b32_e32 v138, 0
	s_waitcnt lgkmcnt(2)
	v_dot4c_i32_i8_e32 v138, v142, v14
	v_add_u32_e32 v142, 0x2088, v37
	v_dot4c_i32_i8_e32 v138, v143, v18
	ds_read2_b32 v[142:143], v142 offset1:1
	v_dot4c_i32_i8_e32 v25, v144, v17
	v_dot4c_i32_i8_e32 v25, v145, v21
	v_add_u32_e32 v145, 0x2090, v37
	v_add_u32_e32 v150, 0x2098, v37
	;; [unrolled: 1-line block ×3, first 2 shown]
	ds_read2_b32 v[148:149], v145 offset1:1
	ds_read2_b32 v[150:151], v150 offset1:1
	;; [unrolled: 1-line block ×3, first 2 shown]
	s_waitcnt lgkmcnt(3)
	v_dot4c_i32_i8_e32 v138, v142, v15
	v_dot4c_i32_i8_e32 v138, v143, v19
	s_waitcnt lgkmcnt(2)
	v_dot4c_i32_i8_e32 v138, v148, v16
	v_dot4c_i32_i8_e32 v138, v149, v20
	;; [unrolled: 3-line block ×3, first 2 shown]
	ds_read2_b32 v[164:165], v43 offset1:1
	ds_read2_b32 v[148:149], v41 offset0:2 offset1:3
	ds_read2_b32 v[166:167], v39 offset0:2 offset1:3
	v_cvt_f32_i32_e32 v151, v138
	v_add_u32_e32 v138, 0x4108, v37
	v_cvt_f32_i32_e32 v150, v25
	v_mov_b32_e32 v25, 0
	ds_read2_b32 v[142:143], v138 offset1:1
	v_pk_mul_f16 v174, v2, v160
	s_waitcnt lgkmcnt(4)
	v_dot4c_i32_i8_e32 v25, v162, v14
	v_add_u32_e32 v160, 0x4110, v37
	v_add_u32_e32 v168, 0x4118, v37
	v_dot4c_i32_i8_e32 v25, v163, v18
	v_add_u32_e32 v138, 0x6180, v37
	ds_read2_b32 v[162:163], v160 offset1:1
	ds_read2_b32 v[168:169], v168 offset1:1
	;; [unrolled: 1-line block ×3, first 2 shown]
	s_waitcnt lgkmcnt(3)
	v_dot4c_i32_i8_e32 v25, v142, v15
	v_dot4c_i32_i8_e32 v25, v143, v19
	v_mov_b32_e32 v138, 0
	s_waitcnt lgkmcnt(2)
	v_dot4c_i32_i8_e32 v25, v162, v16
	s_waitcnt lgkmcnt(0)
	v_dot4c_i32_i8_e32 v138, v170, v14
	v_add_u32_e32 v14, 0x6188, v37
	v_dot4c_i32_i8_e32 v25, v163, v20
	ds_read2_b32 v[162:163], v14 offset1:1
	v_dot4c_i32_i8_e32 v25, v168, v17
	v_dot4c_i32_i8_e32 v138, v171, v18
	v_add_u32_e32 v18, 0x6190, v37
	v_dot4c_i32_i8_e32 v25, v169, v21
	v_add_u32_e32 v143, 0x6198, v37
	v_add_u32_e32 v14, 0x20a0, v37
	ds_read2_b32 v[168:169], v18 offset1:1
	ds_read2_b32 v[170:171], v143 offset1:1
	;; [unrolled: 1-line block ×3, first 2 shown]
	s_waitcnt lgkmcnt(3)
	v_dot4c_i32_i8_e32 v138, v162, v15
	v_dot4c_i32_i8_e32 v138, v163, v19
	s_waitcnt lgkmcnt(2)
	v_dot4c_i32_i8_e32 v138, v168, v16
	v_dot4c_i32_i8_e32 v138, v169, v20
	s_waitcnt lgkmcnt(1)
	v_dot4c_i32_i8_e32 v138, v170, v17
	ds_read2_b32 v[18:19], v45 offset1:1
	ds_read2_b32 v[16:17], v43 offset0:2 offset1:3
	v_dot4c_i32_i8_e32 v138, v171, v21
	ds_read2_b32 v[20:21], v37 offset0:10 offset1:11
	v_cvt_f32_i32_e32 v14, v25
	v_mov_b32_e32 v25, 0
	v_dot4c_i32_i8_e32 v25, v146, v10
	v_dot4c_i32_i8_e32 v25, v147, v6
	ds_read2_b32 v[146:147], v37 offset0:12 offset1:13
	ds_read2_b32 v[162:163], v37 offset0:14 offset1:15
	;; [unrolled: 1-line block ×3, first 2 shown]
	v_pk_mul_f16 v164, v2, v164
	s_waitcnt lgkmcnt(5)
	v_pk_mul_f16 v170, v2, v18
	s_waitcnt lgkmcnt(3)
	v_dot4c_i32_i8_e32 v25, v20, v11
	v_add_u32_e32 v2, 0x20a8, v37
	v_dot4c_i32_i8_e32 v25, v21, v7
	ds_read2_b32 v[20:21], v2 offset1:1
	s_waitcnt lgkmcnt(3)
	v_dot4c_i32_i8_e32 v25, v146, v12
	v_dot4c_i32_i8_e32 v25, v147, v8
	v_mov_b32_e32 v175, 0
	s_waitcnt lgkmcnt(2)
	v_dot4c_i32_i8_e32 v25, v162, v13
	v_dot4c_i32_i8_e32 v175, v172, v10
	v_add_u32_e32 v18, 0x20b0, v37
	v_add_u32_e32 v146, 0x20b8, v37
	v_cvt_f32_i32_e32 v15, v138
	v_dot4c_i32_i8_e32 v25, v163, v9
	v_pk_mul_f16 v171, v3, v139
	v_dot4c_i32_i8_e32 v175, v173, v6
	v_add_u32_e32 v2, 0x4120, v37
	ds_read2_b32 v[138:139], v18 offset1:1
	ds_read2_b32 v[146:147], v146 offset1:1
	ds_read2_b32 v[162:163], v2 offset1:1
	s_waitcnt lgkmcnt(3)
	v_dot4c_i32_i8_e32 v175, v20, v11
	v_dot4c_i32_i8_e32 v175, v21, v7
	v_add_u32_e32 v2, 0x4128, v37
	s_waitcnt lgkmcnt(2)
	v_dot4c_i32_i8_e32 v175, v138, v12
	ds_read2_b32 v[20:21], v2 offset1:1
	v_dot4c_i32_i8_e32 v175, v139, v8
	s_waitcnt lgkmcnt(2)
	v_dot4c_i32_i8_e32 v175, v146, v13
	v_mov_b32_e32 v173, 0
	v_add_u32_e32 v18, 0x4130, v37
	v_add_u32_e32 v146, 0x4138, v37
	v_dot4c_i32_i8_e32 v175, v147, v9
	v_pk_mul_f16 v172, v3, v161
	s_waitcnt lgkmcnt(1)
	v_dot4c_i32_i8_e32 v173, v162, v10
	v_add_u32_e32 v2, 0x61a0, v37
	ds_read2_b32 v[138:139], v18 offset1:1
	ds_read2_b32 v[146:147], v146 offset1:1
	;; [unrolled: 1-line block ×3, first 2 shown]
	v_dot4c_i32_i8_e32 v173, v163, v6
	s_waitcnt lgkmcnt(3)
	v_dot4c_i32_i8_e32 v173, v20, v11
	v_add_u32_e32 v2, 0x61a8, v37
	v_dot4c_i32_i8_e32 v173, v21, v7
	ds_read2_b32 v[20:21], v2 offset1:1
	s_waitcnt lgkmcnt(3)
	v_dot4c_i32_i8_e32 v173, v138, v12
	v_mov_b32_e32 v163, 0
	v_dot4c_i32_i8_e32 v173, v139, v8
	s_waitcnt lgkmcnt(1)
	v_dot4c_i32_i8_e32 v163, v160, v10
	v_dot4c_i32_i8_e32 v173, v146, v13
	;; [unrolled: 1-line block ×3, first 2 shown]
	v_add_u32_e32 v6, 0x61b0, v37
	v_dot4c_i32_i8_e32 v173, v147, v9
	v_add_u32_e32 v10, 0x61b8, v37
	v_add_u32_e32 v2, 0x20c0, v37
	ds_read2_b32 v[138:139], v6 offset1:1
	ds_read2_b32 v[146:147], v10 offset1:1
	;; [unrolled: 1-line block ×3, first 2 shown]
	s_waitcnt lgkmcnt(3)
	v_dot4c_i32_i8_e32 v163, v20, v11
	v_dot4c_i32_i8_e32 v163, v21, v7
	s_waitcnt lgkmcnt(2)
	v_dot4c_i32_i8_e32 v163, v138, v12
	v_dot4c_i32_i8_e32 v163, v139, v8
	s_waitcnt lgkmcnt(1)
	v_dot4c_i32_i8_e32 v163, v146, v13
	ds_read_b128 v[10:13], v33 offset:64
	v_dot4c_i32_i8_e32 v163, v147, v9
	ds_read_b128 v[6:9], v33 offset:80
	v_pk_mul_f16 v162, v3, v165
	v_pk_mul_f16 v165, v3, v19
	ds_read2_b32 v[2:3], v37 offset0:18 offset1:19
	v_mov_b32_e32 v176, 0
	s_waitcnt lgkmcnt(2)
	v_dot4c_i32_i8_e32 v176, v168, v10
	s_waitcnt lgkmcnt(1)
	v_dot4c_i32_i8_e32 v176, v169, v6
	ds_read2_b32 v[18:19], v37 offset0:20 offset1:21
	ds_read2_b32 v[20:21], v37 offset0:22 offset1:23
	;; [unrolled: 1-line block ×3, first 2 shown]
	s_waitcnt lgkmcnt(3)
	v_dot4c_i32_i8_e32 v176, v2, v11
	v_add_u32_e32 v2, 0x20c8, v37
	v_dot4c_i32_i8_e32 v176, v3, v7
	ds_read2_b32 v[2:3], v2 offset1:1
	s_waitcnt lgkmcnt(3)
	v_dot4c_i32_i8_e32 v176, v18, v12
	v_dot4c_i32_i8_e32 v176, v19, v8
	v_mov_b32_e32 v168, 0
	s_waitcnt lgkmcnt(2)
	v_dot4c_i32_i8_e32 v176, v20, v13
	v_dot4c_i32_i8_e32 v168, v160, v10
	v_add_u32_e32 v18, 0x20d0, v37
	v_add_u32_e32 v20, 0x20d8, v37
	;; [unrolled: 1-line block ×3, first 2 shown]
	v_dot4c_i32_i8_e32 v176, v21, v9
	v_dot4c_i32_i8_e32 v168, v161, v6
	ds_read2_b32 v[18:19], v18 offset1:1
	ds_read2_b32 v[20:21], v20 offset1:1
	;; [unrolled: 1-line block ×3, first 2 shown]
	s_waitcnt lgkmcnt(3)
	v_dot4c_i32_i8_e32 v168, v2, v11
	v_dot4c_i32_i8_e32 v168, v3, v7
	v_add_u32_e32 v2, 0x4148, v37
	s_waitcnt lgkmcnt(2)
	v_dot4c_i32_i8_e32 v168, v18, v12
	ds_read2_b32 v[2:3], v2 offset1:1
	v_dot4c_i32_i8_e32 v168, v19, v8
	v_mov_b32_e32 v169, 0
	s_waitcnt lgkmcnt(2)
	v_dot4c_i32_i8_e32 v168, v20, v13
	s_waitcnt lgkmcnt(1)
	v_dot4c_i32_i8_e32 v169, v146, v10
	v_add_u32_e32 v18, 0x4150, v37
	v_add_u32_e32 v20, 0x4158, v37
	;; [unrolled: 1-line block ×3, first 2 shown]
	v_dot4c_i32_i8_e32 v168, v21, v9
	v_dot4c_i32_i8_e32 v169, v147, v6
	ds_read2_b32 v[18:19], v18 offset1:1
	ds_read2_b32 v[20:21], v20 offset1:1
	;; [unrolled: 1-line block ×3, first 2 shown]
	s_waitcnt lgkmcnt(3)
	v_dot4c_i32_i8_e32 v169, v2, v11
	v_add_u32_e32 v2, 0x61c8, v37
	v_dot4c_i32_i8_e32 v169, v3, v7
	ds_read2_b32 v[2:3], v2 offset1:1
	v_mov_b32_e32 v177, 0
	s_waitcnt lgkmcnt(3)
	v_dot4c_i32_i8_e32 v169, v18, v12
	s_waitcnt lgkmcnt(1)
	v_dot4c_i32_i8_e32 v177, v146, v10
	v_dot4c_i32_i8_e32 v169, v19, v8
	;; [unrolled: 1-line block ×3, first 2 shown]
	v_add_u32_e32 v6, 0x61d0, v37
	v_dot4c_i32_i8_e32 v169, v20, v13
	v_add_u32_e32 v10, 0x61d8, v37
	v_add_u32_e32 v20, 0x20e0, v37
	ds_read2_b32 v[18:19], v6 offset1:1
	ds_read2_b32 v[146:147], v10 offset1:1
	;; [unrolled: 1-line block ×3, first 2 shown]
	s_waitcnt lgkmcnt(3)
	v_dot4c_i32_i8_e32 v177, v2, v11
	v_dot4c_i32_i8_e32 v177, v3, v7
	s_waitcnt lgkmcnt(2)
	v_dot4c_i32_i8_e32 v177, v18, v12
	v_dot4c_i32_i8_e32 v177, v19, v8
	;; [unrolled: 1-line block ×3, first 2 shown]
	s_waitcnt lgkmcnt(1)
	v_dot4c_i32_i8_e32 v177, v146, v13
	ds_read_b128 v[10:13], v33 offset:96
	ds_read_b128 v[18:21], v33 offset:112
	v_pk_mul_f16 v166, v4, v166
	v_pk_mul_f16 v148, v4, v148
	;; [unrolled: 1-line block ×4, first 2 shown]
	v_mov_b32_e32 v4, 0
	s_waitcnt lgkmcnt(1)
	v_dot4c_i32_i8_e32 v4, v138, v10
	v_add_u32_e32 v2, 0x20e8, v37
	s_waitcnt lgkmcnt(0)
	v_dot4c_i32_i8_e32 v4, v139, v18
	ds_read2_b32 v[2:3], v2 offset1:1
	v_dot4c_i32_i8_e32 v4, v154, v11
	v_dot4c_i32_i8_e32 v4, v155, v19
	v_mov_b32_e32 v155, 0
	v_dot4c_i32_i8_e32 v155, v160, v10
	v_add_u32_e32 v6, 0x20f0, v37
	v_add_u32_e32 v8, 0x20f8, v37
	;; [unrolled: 1-line block ×3, first 2 shown]
	v_dot4c_i32_i8_e32 v177, v147, v9
	v_dot4c_i32_i8_e32 v155, v161, v18
	ds_read2_b32 v[6:7], v6 offset1:1
	ds_read2_b32 v[8:9], v8 offset1:1
	;; [unrolled: 1-line block ×3, first 2 shown]
	s_waitcnt lgkmcnt(3)
	v_dot4c_i32_i8_e32 v155, v2, v11
	v_dot4c_i32_i8_e32 v155, v3, v19
	s_waitcnt lgkmcnt(2)
	v_dot4c_i32_i8_e32 v155, v6, v12
	v_dot4c_i32_i8_e32 v155, v7, v20
	v_cvt_f32_f16_e32 v144, v153
	v_cvt_f32_f16_e32 v145, v174
	s_waitcnt lgkmcnt(1)
	v_dot4c_i32_i8_e32 v155, v8, v13
	v_cvt_f32_f16_sdwa v3, v174 dst_sel:DWORD dst_unused:UNUSED_PAD src0_sel:WORD_1
	v_cvt_f32_f16_sdwa v2, v153 dst_sel:DWORD dst_unused:UNUSED_PAD src0_sel:WORD_1
	v_dot4c_i32_i8_e32 v155, v9, v21
	v_cvt_f32_f16_e32 v7, v172
	v_cvt_f32_f16_e32 v6, v171
	v_cvt_f32_f16_sdwa v9, v172 dst_sel:DWORD dst_unused:UNUSED_PAD src0_sel:WORD_1
	v_cvt_f32_f16_sdwa v8, v171 dst_sel:DWORD dst_unused:UNUSED_PAD src0_sel:WORD_1
	v_cvt_f32_i32_e32 v147, v175
	v_cvt_f32_i32_e32 v146, v25
	v_dot4c_i32_i8_e32 v4, v156, v12
	v_dot4c_i32_i8_e32 v4, v157, v20
	;; [unrolled: 1-line block ×3, first 2 shown]
	v_pk_fma_f32 v[2:3], v[144:145], v[150:151], v[2:3]
	v_dot4c_i32_i8_e32 v4, v159, v21
	v_pk_mul_f16 v154, v5, v167
	v_pk_mul_f16 v25, v5, v149
	v_pk_add_f32 v[2:3], v[136:137], v[2:3]
	v_pk_fma_f32 v[6:7], v[6:7], v[146:147], v[8:9]
	v_cvt_f32_f16_e32 v9, v148
	v_cvt_f32_f16_e32 v8, v166
	v_cvt_f32_f16_sdwa v137, v148 dst_sel:DWORD dst_unused:UNUSED_PAD src0_sel:WORD_1
	v_cvt_f32_f16_sdwa v136, v166 dst_sel:DWORD dst_unused:UNUSED_PAD src0_sel:WORD_1
	v_cvt_f32_i32_e32 v145, v168
	v_cvt_f32_i32_e32 v144, v176
	v_cvt_f32_f16_e32 v147, v25
	v_cvt_f32_f16_e32 v146, v154
	v_cvt_f32_f16_sdwa v149, v25 dst_sel:DWORD dst_unused:UNUSED_PAD src0_sel:WORD_1
	v_cvt_f32_f16_sdwa v148, v154 dst_sel:DWORD dst_unused:UNUSED_PAD src0_sel:WORD_1
	v_cvt_f32_i32_e32 v151, v155
	v_cvt_f32_i32_e32 v150, v4
	v_pk_add_f32 v[2:3], v[2:3], v[6:7]
	v_pk_fma_f32 v[6:7], v[8:9], v[144:145], v[136:137]
	v_mov_b32_e32 v25, 0
	v_pk_add_f32 v[2:3], v[2:3], v[6:7]
	v_pk_fma_f32 v[6:7], v[146:147], v[150:151], v[148:149]
	s_waitcnt lgkmcnt(0)
	v_dot4c_i32_i8_e32 v25, v138, v10
	v_pk_add_f32 v[136:137], v[2:3], v[6:7]
	v_add_u32_e32 v2, 0x4168, v37
	ds_read2_b32 v[2:3], v2 offset1:1
	v_add_u32_e32 v4, 0x4170, v37
	v_add_u32_e32 v8, 0x4178, v37
	;; [unrolled: 1-line block ×3, first 2 shown]
	v_dot4c_i32_i8_e32 v25, v139, v18
	ds_read2_b32 v[6:7], v4 offset1:1
	ds_read2_b32 v[8:9], v8 offset1:1
	;; [unrolled: 1-line block ×3, first 2 shown]
	s_waitcnt lgkmcnt(3)
	v_dot4c_i32_i8_e32 v25, v2, v11
	v_add_u32_e32 v2, 0x61e8, v37
	v_dot4c_i32_i8_e32 v25, v3, v19
	ds_read2_b32 v[2:3], v2 offset1:1
	s_waitcnt lgkmcnt(3)
	v_dot4c_i32_i8_e32 v25, v6, v12
	v_add_u32_e32 v4, 0x61f0, v37
	v_dot4c_i32_i8_e32 v25, v7, v20
	ds_read2_b32 v[6:7], v4 offset1:1
	v_mov_b32_e32 v144, 0
	s_waitcnt lgkmcnt(3)
	v_dot4c_i32_i8_e32 v25, v8, v13
	s_waitcnt lgkmcnt(2)
	v_dot4c_i32_i8_e32 v144, v138, v10
	v_add_u32_e32 v4, 0x61f8, v37
	v_dot4c_i32_i8_e32 v25, v9, v21
	v_dot4c_i32_i8_e32 v144, v139, v18
	ds_read2_b32 v[8:9], v4 offset1:1
	s_waitcnt lgkmcnt(2)
	v_dot4c_i32_i8_e32 v144, v2, v11
	v_dot4c_i32_i8_e32 v144, v3, v19
	s_waitcnt lgkmcnt(1)
	v_dot4c_i32_i8_e32 v144, v6, v12
	v_dot4c_i32_i8_e32 v144, v7, v20
	s_waitcnt lgkmcnt(0)
	v_dot4c_i32_i8_e32 v144, v8, v13
	v_dot4c_i32_i8_e32 v144, v9, v21
	v_cvt_f32_f16_e32 v7, v165
	v_cvt_f32_f16_e32 v6, v162
	v_cvt_f32_f16_sdwa v9, v165 dst_sel:DWORD dst_unused:UNUSED_PAD src0_sel:WORD_1
	v_cvt_f32_f16_sdwa v8, v162 dst_sel:DWORD dst_unused:UNUSED_PAD src0_sel:WORD_1
	v_cvt_f32_i32_e32 v11, v163
	v_cvt_f32_i32_e32 v10, v173
	v_cvt_f32_f16_e32 v142, v164
	v_cvt_f32_f16_e32 v143, v170
	v_cvt_f32_f16_sdwa v3, v170 dst_sel:DWORD dst_unused:UNUSED_PAD src0_sel:WORD_1
	v_cvt_f32_f16_sdwa v2, v164 dst_sel:DWORD dst_unused:UNUSED_PAD src0_sel:WORD_1
	v_pk_mul_f16 v17, v5, v17
	v_pk_mul_f16 v18, v5, v141
	v_pk_fma_f32 v[4:5], v[6:7], v[10:11], v[8:9]
	v_cvt_f32_f16_e32 v7, v140
	v_cvt_f32_f16_e32 v6, v16
	v_cvt_f32_f16_sdwa v9, v140 dst_sel:DWORD dst_unused:UNUSED_PAD src0_sel:WORD_1
	v_cvt_f32_f16_sdwa v8, v16 dst_sel:DWORD dst_unused:UNUSED_PAD src0_sel:WORD_1
	v_cvt_f32_i32_e32 v11, v177
	v_cvt_f32_i32_e32 v10, v169
	v_pk_fma_f32 v[2:3], v[142:143], v[14:15], v[2:3]
	v_cvt_f32_f16_e32 v13, v18
	v_cvt_f32_f16_e32 v12, v17
	v_cvt_f32_f16_sdwa v15, v18 dst_sel:DWORD dst_unused:UNUSED_PAD src0_sel:WORD_1
	v_cvt_f32_f16_sdwa v14, v17 dst_sel:DWORD dst_unused:UNUSED_PAD src0_sel:WORD_1
	v_cvt_f32_i32_e32 v17, v144
	v_cvt_f32_i32_e32 v16, v25
	v_pk_add_f32 v[2:3], v[134:135], v[2:3]
	s_cmp_ge_i32 s6, s5
	v_pk_add_f32 v[2:3], v[2:3], v[4:5]
	v_pk_fma_f32 v[4:5], v[6:7], v[10:11], v[8:9]
	s_nop 0
	v_pk_add_f32 v[2:3], v[2:3], v[4:5]
	v_pk_fma_f32 v[4:5], v[12:13], v[16:17], v[14:15]
	s_barrier
	v_pk_add_f32 v[134:135], v[2:3], v[4:5]
	s_cbranch_scc1 .LBB184_5
; %bb.13:                               ;   in Loop: Header=BB184_6 Depth=1
	v_add_u32_e32 v2, s4, v47
	v_cmp_gt_i32_e64 s[2:3], s8, v2
	s_and_b64 s[22:23], s[0:1], s[2:3]
	s_and_saveexec_b64 s[2:3], s[22:23]
	s_cbranch_execz .LBB184_15
; %bb.14:                               ;   in Loop: Header=BB184_6 Depth=1
	v_add_u32_e32 v2, s4, v49
	v_mad_i64_i32 v[2:3], s[22:23], v2, 36, v[58:59]
	global_load_dword v2, v[2:3], off offset:4
	s_waitcnt vmcnt(0)
	ds_write_b32 v29, v2
.LBB184_15:                             ;   in Loop: Header=BB184_6 Depth=1
	s_or_b64 exec, exec, s[2:3]
	s_and_saveexec_b64 s[22:23], vcc
	s_cbranch_execz .LBB184_4
; %bb.16:                               ;   in Loop: Header=BB184_6 Depth=1
	v_add3_u32 v2, v22, s4, 4
	v_cmp_gt_i32_e64 s[2:3], s8, v2
	s_and_b64 s[2:3], s[0:1], s[2:3]
	s_and_b64 exec, exec, s[2:3]
	s_cbranch_execz .LBB184_4
; %bb.17:                               ;   in Loop: Header=BB184_6 Depth=1
	global_load_dword v2, v[60:61], off
	s_waitcnt vmcnt(0)
	ds_write_b32 v31, v2
	s_branch .LBB184_4
.LBB184_18:
	v_mov_b32_e32 v134, v135
	v_mov_b32_e32 v137, v135
	;; [unrolled: 1-line block ×3, first 2 shown]
.LBB184_19:
	s_mul_i32 s0, s10, s7
	s_waitcnt vmcnt(0)
	v_cmp_gt_i32_e32 vcc, s0, v1
	s_and_saveexec_b64 s[0:1], vcc
	s_cbranch_execz .LBB184_28
; %bb.20:
	v_and_b32_e32 v0, 0x3ff, v0
	v_add_u32_e32 v2, s11, v0
	v_mul_lo_u32 v0, v1, s9
	v_cmp_gt_u32_e32 vcc, s9, v2
	s_and_saveexec_b64 s[0:1], vcc
	s_cbranch_execz .LBB184_22
; %bb.21:
	v_add_u32_e32 v4, v0, v2
	v_mov_b32_e32 v5, 0
	v_lshl_add_u64 v[4:5], v[4:5], 2, s[16:17]
	global_store_dword v[4:5], v136, off
.LBB184_22:
	s_or_b64 exec, exec, s[0:1]
	v_add_u32_e32 v1, 32, v2
	v_cmp_gt_u32_e32 vcc, s9, v1
	s_and_saveexec_b64 s[0:1], vcc
	s_cbranch_execz .LBB184_24
; %bb.23:
	v_add_u32_e32 v4, v0, v1
	v_mov_b32_e32 v5, 0
	v_lshl_add_u64 v[4:5], v[4:5], 2, s[16:17]
	global_store_dword v[4:5], v137, off
.LBB184_24:
	s_or_b64 exec, exec, s[0:1]
	v_add_u32_e32 v1, 64, v2
	;; [unrolled: 11-line block ×3, first 2 shown]
	v_cmp_gt_u32_e32 vcc, s9, v1
	s_and_b64 exec, exec, vcc
	s_cbranch_execz .LBB184_28
; %bb.27:
	v_add_u32_e32 v0, v0, v1
	v_mov_b32_e32 v1, 0
	v_lshl_add_u64 v[0:1], v[0:1], 2, s[16:17]
	global_store_dword v[0:1], v135, off
.LBB184_28:
	s_endpgm
	.section	.rodata,"a",@progbits
	.p2align	6, 0x0
	.amdhsa_kernel _ZL8moe_q5_1IfLb1EEvPKvS1_PT_PKiS5_S5_iiiiiii
		.amdhsa_group_segment_fixed_size 38656
		.amdhsa_private_segment_fixed_size 0
		.amdhsa_kernarg_size 76
		.amdhsa_user_sgpr_count 2
		.amdhsa_user_sgpr_dispatch_ptr 0
		.amdhsa_user_sgpr_queue_ptr 0
		.amdhsa_user_sgpr_kernarg_segment_ptr 1
		.amdhsa_user_sgpr_dispatch_id 0
		.amdhsa_user_sgpr_kernarg_preload_length 0
		.amdhsa_user_sgpr_kernarg_preload_offset 0
		.amdhsa_user_sgpr_private_segment_size 0
		.amdhsa_uses_dynamic_stack 0
		.amdhsa_enable_private_segment 0
		.amdhsa_system_sgpr_workgroup_id_x 1
		.amdhsa_system_sgpr_workgroup_id_y 1
		.amdhsa_system_sgpr_workgroup_id_z 0
		.amdhsa_system_sgpr_workgroup_info 0
		.amdhsa_system_vgpr_workitem_id 1
		.amdhsa_next_free_vgpr 178
		.amdhsa_next_free_sgpr 25
		.amdhsa_accum_offset 180
		.amdhsa_reserve_vcc 1
		.amdhsa_float_round_mode_32 0
		.amdhsa_float_round_mode_16_64 0
		.amdhsa_float_denorm_mode_32 3
		.amdhsa_float_denorm_mode_16_64 3
		.amdhsa_dx10_clamp 1
		.amdhsa_ieee_mode 1
		.amdhsa_fp16_overflow 0
		.amdhsa_tg_split 0
		.amdhsa_exception_fp_ieee_invalid_op 0
		.amdhsa_exception_fp_denorm_src 0
		.amdhsa_exception_fp_ieee_div_zero 0
		.amdhsa_exception_fp_ieee_overflow 0
		.amdhsa_exception_fp_ieee_underflow 0
		.amdhsa_exception_fp_ieee_inexact 0
		.amdhsa_exception_int_div_zero 0
	.end_amdhsa_kernel
	.section	.text._ZL8moe_q5_1IfLb1EEvPKvS1_PT_PKiS5_S5_iiiiiii,"axG",@progbits,_ZL8moe_q5_1IfLb1EEvPKvS1_PT_PKiS5_S5_iiiiiii,comdat
.Lfunc_end184:
	.size	_ZL8moe_q5_1IfLb1EEvPKvS1_PT_PKiS5_S5_iiiiiii, .Lfunc_end184-_ZL8moe_q5_1IfLb1EEvPKvS1_PT_PKiS5_S5_iiiiiii
                                        ; -- End function
	.section	.AMDGPU.csdata,"",@progbits
; Kernel info:
; codeLenInByte = 10856
; NumSgprs: 31
; NumVgprs: 178
; NumAgprs: 0
; TotalNumVgprs: 178
; ScratchSize: 0
; MemoryBound: 0
; FloatMode: 240
; IeeeMode: 1
; LDSByteSize: 38656 bytes/workgroup (compile time only)
; SGPRBlocks: 3
; VGPRBlocks: 22
; NumSGPRsForWavesPerEU: 31
; NumVGPRsForWavesPerEU: 178
; AccumOffset: 180
; Occupancy: 1
; WaveLimiterHint : 1
; COMPUTE_PGM_RSRC2:SCRATCH_EN: 0
; COMPUTE_PGM_RSRC2:USER_SGPR: 2
; COMPUTE_PGM_RSRC2:TRAP_HANDLER: 0
; COMPUTE_PGM_RSRC2:TGID_X_EN: 1
; COMPUTE_PGM_RSRC2:TGID_Y_EN: 1
; COMPUTE_PGM_RSRC2:TGID_Z_EN: 0
; COMPUTE_PGM_RSRC2:TIDIG_COMP_CNT: 1
; COMPUTE_PGM_RSRC3_GFX90A:ACCUM_OFFSET: 44
; COMPUTE_PGM_RSRC3_GFX90A:TG_SPLIT: 0
	.section	.text._ZL8moe_q8_0IfLb0EEvPKvS1_PT_PKiS5_S5_iiiiiii,"axG",@progbits,_ZL8moe_q8_0IfLb0EEvPKvS1_PT_PKiS5_S5_iiiiiii,comdat
	.globl	_ZL8moe_q8_0IfLb0EEvPKvS1_PT_PKiS5_S5_iiiiiii ; -- Begin function _ZL8moe_q8_0IfLb0EEvPKvS1_PT_PKiS5_S5_iiiiiii
	.p2align	8
	.type	_ZL8moe_q8_0IfLb0EEvPKvS1_PT_PKiS5_S5_iiiiiii,@function
_ZL8moe_q8_0IfLb0EEvPKvS1_PT_PKiS5_S5_iiiiiii: ; @_ZL8moe_q8_0IfLb0EEvPKvS1_PT_PKiS5_S5_iiiiiii
; %bb.0:
	s_load_dwordx4 s[4:7], s[0:1], 0x18
	s_mov_b32 s8, s3
	s_mov_b32 s9, 0
	s_lshl_b64 s[10:11], s[8:9], 2
	s_waitcnt lgkmcnt(0)
	s_add_u32 s6, s6, s10
	s_addc_u32 s7, s7, s11
	s_load_dword s3, s[6:7], 0x0
	s_waitcnt lgkmcnt(0)
	s_cmpk_gt_u32 s3, 0xff
	s_cbranch_scc1 .LBB185_21
; %bb.1:
	s_load_dwordx2 s[6:7], s[0:1], 0x28
	s_waitcnt lgkmcnt(0)
	s_load_dword s7, s[6:7], 0x0
	s_lshl_b32 s6, s8, 3
	s_waitcnt lgkmcnt(0)
	s_cmp_gt_u32 s6, s7
	s_cbranch_scc1 .LBB185_21
; %bb.2:
	v_bfe_u32 v2, v0, 10, 10
	v_mov_b32_e32 v22, 0
	v_mov_b32_e32 v4, s4
	;; [unrolled: 1-line block ×3, first 2 shown]
	v_add_u32_e32 v6, s6, v2
	v_mov_b32_e32 v7, v22
	v_lshl_add_u64 v[4:5], v[6:7], 2, v[4:5]
	global_load_dword v1, v[4:5], off
	s_load_dwordx2 s[14:15], s[0:1], 0x30
	s_load_dwordx2 s[12:13], s[0:1], 0x10
	s_load_dwordx4 s[4:7], s[0:1], 0x3c
	s_lshl_b32 s18, s2, 7
	s_mov_b32 s19, 0
	s_waitcnt lgkmcnt(0)
	s_cmp_lt_i32 s15, 32
	s_cbranch_scc1 .LBB185_11
; %bb.3:
	s_load_dwordx4 s[8:11], s[0:1], 0x0
	s_ashr_i32 s0, s15, 31
	s_lshr_b32 s0, s0, 27
	s_add_i32 s0, s15, s0
	s_ashr_i32 s20, s0, 5
	s_ashr_i32 s0, s5, 31
	s_lshr_b32 s0, s0, 27
	s_add_i32 s0, s5, s0
	v_and_b32_e32 v66, 0x3ff, v0
	s_ashr_i32 s5, s0, 5
	v_lshlrev_b32_e32 v3, 2, v66
	s_movk_i32 s0, 0x84
	v_mul_lo_u32 v6, s20, v2
	v_mad_u32_u24 v68, v2, s0, v3
	s_lshl_b32 s0, s20, 3
	v_add_u32_e32 v8, s0, v6
	v_add_u32_e32 v9, s0, v8
	;; [unrolled: 1-line block ×11, first 2 shown]
	v_and_b32_e32 v4, 28, v3
	v_add_u32_e32 v19, s0, v18
	v_lshlrev_b32_e32 v3, 3, v2
	v_lshrrev_b32_e32 v7, 2, v66
	v_add_u32_e32 v20, s0, v19
	v_add_u32_e32 v24, v7, v3
	v_add_u16_e32 v3, v7, v3
	v_add_u32_e32 v21, s0, v20
	v_and_b32_e32 v56, 3, v66
	v_lshrrev_b16_e32 v3, 1, v3
	v_add_u32_e32 v23, s0, v21
	v_and_b32_e32 v3, 0x1ffc, v3
	v_lshlrev_b32_e32 v7, 2, v56
	s_movk_i32 s0, 0x4200
	v_add3_u32 v64, v3, v7, s0
	v_add_u32_e32 v3, 64, v24
	v_mul_lo_u32 v57, s20, v24
	v_lshlrev_b32_e32 v65, 4, v24
	v_lshrrev_b32_e32 v24, 1, v3
	v_lshlrev_b32_e32 v96, 4, v3
	v_and_b32_e32 v3, 31, v66
	v_lshlrev_b32_e32 v84, 7, v2
	v_and_b32_e32 v24, 0x3ffc, v24
	v_lshl_or_b32 v3, v3, 2, v84
	v_lshrrev_b32_e32 v67, 3, v66
	v_add3_u32 v95, v24, v7, s0
	v_add_u32_e32 v85, 0x4a40, v3
	v_lshl_add_u32 v3, v2, 2, v66
	v_mov_b32_e32 v7, 0x4e40
	v_lshl_add_u32 v86, v3, 2, v7
	v_lshlrev_b32_e32 v87, 4, v2
	v_lshlrev_b32_e32 v2, 2, v67
	;; [unrolled: 1-line block ×3, first 2 shown]
	v_add3_u32 v89, v3, v2, s0
	v_add_u32_e32 v2, 32, v66
	v_lshrrev_b32_e32 v3, 1, v2
	v_and_b32_e32 v3, 0xfc, v3
	v_lshlrev_b32_e32 v2, 4, v2
	v_add3_u32 v90, v2, v3, s0
	v_add_u32_e32 v2, 64, v66
	v_lshrrev_b32_e32 v3, 1, v2
	s_mul_i32 s16, s3, s14
	v_and_b32_e32 v3, 0xfc, v3
	v_lshlrev_b32_e32 v2, 4, v2
	s_abs_i32 s3, s7
	v_add3_u32 v91, v2, v3, s0
	v_cvt_f32_u32_e32 v3, s3
	v_add_u32_e32 v2, 0x60, v66
	v_lshrrev_b32_e32 v7, 1, v2
	v_and_b32_e32 v7, 0xfc, v7
	v_rcp_iflag_f32_e32 v3, v3
	v_lshlrev_b32_e32 v2, 4, v2
	v_add3_u32 v92, v2, v7, s0
	s_sub_i32 s0, 0, s3
	v_mul_f32_e32 v3, 0x4f7ffffe, v3
	v_cvt_u32_f32_e32 v3, v3
	s_waitcnt vmcnt(0)
	v_sub_u32_e32 v7, 0, v1
	v_max_i32_e32 v7, v1, v7
	v_xor_b32_e32 v2, s7, v1
	v_mul_lo_u32 v26, s0, v3
	v_mul_hi_u32 v26, v3, v26
	v_add_u32_e32 v3, v3, v26
	v_mul_hi_u32 v3, v7, v3
	v_mul_lo_u32 v26, v3, s3
	v_sub_u32_e32 v7, v7, v26
	v_add_u32_e32 v26, 1, v3
	v_cmp_le_u32_e64 s[0:1], s3, v7
	v_ashrrev_i32_e32 v2, 31, v2
	s_mul_i32 s2, s20, s18
	v_cndmask_b32_e64 v3, v3, v26, s[0:1]
	v_subrev_u32_e32 v26, s3, v7
	v_cndmask_b32_e64 v7, v7, v26, s[0:1]
	v_add_u32_e32 v26, 1, v3
	v_cmp_le_u32_e64 s[0:1], s3, v7
	s_mul_hi_i32 s3, s2, 34
	s_mul_i32 s14, s2, 34
	v_cndmask_b32_e64 v3, v3, v26, s[0:1]
	v_xor_b32_e32 v3, v3, v2
	v_sub_u32_e32 v2, v3, v2
	v_cmp_gt_i32_e64 s[0:1], s4, v2
	v_mul_lo_u32 v93, v2, s5
	v_mov_b32_e32 v2, s14
	v_mov_b32_e32 v3, s3
	v_mad_u64_u32 v[2:3], s[22:23], v67, 34, v[2:3]
	v_mov_b32_e32 v5, v22
	v_mad_u64_u32 v[6:7], s[22:23], v6, 34, v[2:3]
	v_lshl_add_u64 v[6:7], v[6:7], 0, v[4:5]
	s_waitcnt lgkmcnt(0)
	v_lshl_add_u64 v[6:7], v[6:7], 0, s[8:9]
	v_lshl_add_u64 v[26:27], v[6:7], 0, 2
	v_mad_u64_u32 v[6:7], s[22:23], v8, 34, v[2:3]
	v_lshl_add_u64 v[6:7], v[6:7], 0, v[4:5]
	v_lshl_add_u64 v[6:7], v[6:7], 0, s[8:9]
	v_lshl_add_u64 v[28:29], v[6:7], 0, 2
	v_mad_u64_u32 v[6:7], s[22:23], v9, 34, v[2:3]
	v_lshl_add_u64 v[6:7], v[6:7], 0, v[4:5]
	;; [unrolled: 4-line block ×13, first 2 shown]
	v_lshl_add_u64 v[6:7], v[6:7], 0, s[8:9]
	v_lshl_add_u64 v[52:53], v[6:7], 0, 2
	v_mad_u64_u32 v[6:7], s[22:23], v21, 34, v[2:3]
	v_mad_u64_u32 v[2:3], s[22:23], v23, 34, v[2:3]
	v_lshl_add_u64 v[2:3], v[2:3], 0, v[4:5]
	v_lshl_add_u64 v[2:3], v[2:3], 0, s[8:9]
	v_lshl_add_u64 v[58:59], v[2:3], 0, 2
	v_mad_u64_u32 v[2:3], s[22:23], v57, 34, 0
	v_mad_i64_i32 v[2:3], s[22:23], s2, 34, v[2:3]
	v_lshl_add_u32 v62, s20, 6, v57
	v_mad_u64_u32 v[2:3], s[22:23], v56, 34, v[2:3]
	v_lshl_add_u64 v[60:61], s[8:9], 0, v[2:3]
	v_mad_u64_u32 v[2:3], s[22:23], v62, 34, 0
	v_lshl_add_u64 v[6:7], v[6:7], 0, v[4:5]
	v_mad_i64_i32 v[2:3], s[2:3], s2, 34, v[2:3]
	v_mul_u32_u24_e32 v88, 0x84, v66
	v_lshl_add_u64 v[6:7], v[6:7], 0, s[8:9]
	v_mad_u64_u32 v[2:3], s[2:3], v56, 34, v[2:3]
	s_ashr_i32 s17, s16, 31
	v_add_u32_e32 v69, 0x420, v68
	v_add_u32_e32 v70, 0x840, v68
	;; [unrolled: 1-line block ×15, first 2 shown]
	v_lshl_add_u64 v[24:25], s[10:11], 0, v[4:5]
	v_cmp_gt_u32_e32 vcc, 4, v66
	v_lshl_add_u64 v[54:55], v[6:7], 0, 2
	v_lshl_add_u64 v[62:63], s[8:9], 0, v[2:3]
	v_add_u32_e32 v94, v64, v65
	v_add_u32_e32 v95, v95, v96
	;; [unrolled: 1-line block ×18, first 2 shown]
	s_mov_b64 s[8:9], 0x88
	v_add_u32_e32 v112, 0x2120, v88
	v_add_u32_e32 v113, 0x2128, v88
	;; [unrolled: 1-line block ×9, first 2 shown]
	s_mov_b32 s14, 0
	v_mov_b32_e32 v23, v22
	v_mov_b32_e32 v56, v22
	v_mov_b32_e32 v57, v22
	s_branch .LBB185_6
.LBB185_4:                              ;   in Loop: Header=BB185_6 Depth=1
	s_or_b64 exec, exec, s[2:3]
	s_waitcnt lgkmcnt(0)
	s_barrier
	ds_read_b128 v[2:5], v87 offset:20032
	ds_read2_b32 v[64:65], v88 offset1:1
	ds_read_b128 v[18:21], v84 offset:19008
	ds_read_b128 v[14:17], v84 offset:19024
	;; [unrolled: 1-line block ×4, first 2 shown]
	ds_read2_b32 v[122:123], v88 offset0:2 offset1:3
	v_mov_b32_e32 v121, 0
	s_waitcnt lgkmcnt(4)
	v_dot4c_i32_i8_e32 v121, v64, v18
	v_dot4c_i32_i8_e32 v121, v65, v19
	ds_read2_b32 v[64:65], v88 offset0:4 offset1:5
	ds_read2_b32 v[124:125], v88 offset0:6 offset1:7
	;; [unrolled: 1-line block ×3, first 2 shown]
	s_waitcnt lgkmcnt(3)
	v_dot4c_i32_i8_e32 v121, v122, v20
	v_dot4c_i32_i8_e32 v121, v123, v21
	s_waitcnt lgkmcnt(2)
	v_dot4c_i32_i8_e32 v121, v64, v14
	v_dot4c_i32_i8_e32 v121, v65, v15
	ds_read2_b32 v[122:123], v96 offset1:1
	s_waitcnt lgkmcnt(2)
	v_dot4c_i32_i8_e32 v121, v124, v16
	v_dot4c_i32_i8_e32 v121, v125, v17
	ds_read2_b32 v[124:125], v97 offset1:1
	v_mov_b32_e32 v136, 0
	ds_read2_b32 v[64:65], v92 offset0:2 offset1:3
	s_waitcnt lgkmcnt(2)
	v_dot4c_i32_i8_e32 v136, v122, v18
	v_dot4c_i32_i8_e32 v136, v123, v19
	ds_read2_b32 v[122:123], v98 offset1:1
	ds_read2_b32 v[128:129], v99 offset1:1
	;; [unrolled: 1-line block ×3, first 2 shown]
	s_waitcnt lgkmcnt(4)
	v_dot4c_i32_i8_e32 v136, v124, v20
	v_dot4c_i32_i8_e32 v136, v125, v21
	s_waitcnt lgkmcnt(2)
	v_dot4c_i32_i8_e32 v136, v122, v14
	v_dot4c_i32_i8_e32 v136, v123, v15
	ds_read2_b32 v[122:123], v101 offset1:1
	v_mov_b32_e32 v137, 0
	s_waitcnt lgkmcnt(2)
	v_dot4c_i32_i8_e32 v136, v128, v16
	s_waitcnt lgkmcnt(1)
	v_dot4c_i32_i8_e32 v137, v130, v18
	v_dot4c_i32_i8_e32 v136, v129, v17
	;; [unrolled: 1-line block ×3, first 2 shown]
	ds_read2_b32 v[124:125], v102 offset1:1
	ds_read2_b32 v[128:129], v103 offset1:1
	;; [unrolled: 1-line block ×3, first 2 shown]
	s_waitcnt lgkmcnt(3)
	v_dot4c_i32_i8_e32 v137, v122, v20
	v_dot4c_i32_i8_e32 v137, v123, v21
	ds_read2_b32 v[122:123], v105 offset1:1
	s_waitcnt lgkmcnt(3)
	v_dot4c_i32_i8_e32 v137, v124, v14
	v_dot4c_i32_i8_e32 v137, v125, v15
	v_mov_b32_e32 v138, 0
	s_waitcnt lgkmcnt(2)
	v_dot4c_i32_i8_e32 v137, v128, v16
	s_waitcnt lgkmcnt(1)
	v_dot4c_i32_i8_e32 v138, v130, v18
	v_dot4c_i32_i8_e32 v137, v129, v17
	;; [unrolled: 1-line block ×3, first 2 shown]
	ds_read2_b32 v[18:19], v106 offset1:1
	ds_read2_b32 v[124:125], v107 offset1:1
	;; [unrolled: 1-line block ×3, first 2 shown]
	s_waitcnt lgkmcnt(3)
	v_dot4c_i32_i8_e32 v138, v122, v20
	v_dot4c_i32_i8_e32 v138, v123, v21
	s_waitcnt lgkmcnt(2)
	v_dot4c_i32_i8_e32 v138, v18, v14
	v_dot4c_i32_i8_e32 v138, v19, v15
	ds_read2_b32 v[14:15], v88 offset0:10 offset1:11
	v_mov_b32_e32 v139, 0
	s_waitcnt lgkmcnt(2)
	v_dot4c_i32_i8_e32 v138, v124, v16
	v_dot4c_i32_i8_e32 v139, v126, v10
	;; [unrolled: 1-line block ×4, first 2 shown]
	ds_read2_b32 v[16:17], v88 offset0:12 offset1:13
	ds_read2_b32 v[18:19], v88 offset0:14 offset1:15
	;; [unrolled: 1-line block ×3, first 2 shown]
	s_waitcnt lgkmcnt(3)
	v_dot4c_i32_i8_e32 v139, v14, v12
	v_dot4c_i32_i8_e32 v139, v15, v13
	ds_read2_b32 v[14:15], v109 offset1:1
	s_waitcnt lgkmcnt(3)
	v_dot4c_i32_i8_e32 v139, v16, v6
	v_dot4c_i32_i8_e32 v139, v17, v7
	v_mov_b32_e32 v140, 0
	s_waitcnt lgkmcnt(2)
	v_dot4c_i32_i8_e32 v139, v18, v8
	v_dot4c_i32_i8_e32 v140, v128, v10
	;; [unrolled: 1-line block ×4, first 2 shown]
	ds_read2_b32 v[16:17], v110 offset1:1
	ds_read2_b32 v[18:19], v111 offset1:1
	ds_read2_b32 v[122:123], v112 offset1:1
	s_waitcnt lgkmcnt(3)
	v_dot4c_i32_i8_e32 v140, v14, v12
	v_dot4c_i32_i8_e32 v140, v15, v13
	ds_read2_b32 v[14:15], v113 offset1:1
	s_waitcnt lgkmcnt(3)
	v_dot4c_i32_i8_e32 v140, v16, v6
	v_dot4c_i32_i8_e32 v140, v17, v7
	v_mov_b32_e32 v141, 0
	s_waitcnt lgkmcnt(2)
	v_dot4c_i32_i8_e32 v140, v18, v8
	s_waitcnt lgkmcnt(1)
	v_dot4c_i32_i8_e32 v141, v122, v10
	v_dot4c_i32_i8_e32 v140, v19, v9
	;; [unrolled: 1-line block ×3, first 2 shown]
	ds_read2_b32 v[16:17], v114 offset1:1
	ds_read2_b32 v[18:19], v115 offset1:1
	;; [unrolled: 1-line block ×3, first 2 shown]
	s_waitcnt lgkmcnt(3)
	v_dot4c_i32_i8_e32 v141, v14, v12
	v_dot4c_i32_i8_e32 v141, v15, v13
	ds_read2_b32 v[14:15], v117 offset1:1
	s_waitcnt lgkmcnt(3)
	v_dot4c_i32_i8_e32 v141, v16, v6
	v_dot4c_i32_i8_e32 v141, v17, v7
	v_mov_b32_e32 v142, 0
	s_waitcnt lgkmcnt(2)
	v_dot4c_i32_i8_e32 v141, v18, v8
	s_waitcnt lgkmcnt(1)
	v_dot4c_i32_i8_e32 v142, v122, v10
	v_dot4c_i32_i8_e32 v141, v19, v9
	;; [unrolled: 1-line block ×3, first 2 shown]
	ds_read2_b32 v[10:11], v118 offset1:1
	ds_read2_b32 v[16:17], v119 offset1:1
	;; [unrolled: 1-line block ×3, first 2 shown]
	s_waitcnt lgkmcnt(3)
	v_dot4c_i32_i8_e32 v142, v14, v12
	v_dot4c_i32_i8_e32 v142, v15, v13
	s_waitcnt lgkmcnt(2)
	v_dot4c_i32_i8_e32 v142, v10, v6
	v_dot4c_i32_i8_e32 v142, v11, v7
	;; [unrolled: 3-line block ×3, first 2 shown]
	ds_read_b128 v[8:11], v84 offset:19072
	ds_read_b128 v[12:15], v84 offset:19088
	ds_read2_b32 v[6:7], v91 offset1:1
	ds_read2_b32 v[16:17], v90 offset0:2 offset1:3
	ds_read2_b32 v[122:123], v90 offset1:1
	ds_read2_b32 v[124:125], v89 offset0:2 offset1:3
	ds_read2_b32 v[126:127], v88 offset0:18 offset1:19
	v_mov_b32_e32 v143, 0
	s_waitcnt lgkmcnt(6)
	v_dot4c_i32_i8_e32 v143, v20, v8
	v_dot4c_i32_i8_e32 v143, v21, v9
	ds_read2_b32 v[20:21], v88 offset0:20 offset1:21
	ds_read2_b32 v[128:129], v88 offset0:22 offset1:23
	;; [unrolled: 1-line block ×3, first 2 shown]
	v_mov_b32_e32 v144, 0
	s_waitcnt lgkmcnt(3)
	v_dot4c_i32_i8_e32 v143, v126, v10
	v_dot4c_i32_i8_e32 v144, v18, v8
	v_add_u32_e32 v18, 0x10c8, v88
	v_dot4c_i32_i8_e32 v143, v127, v11
	v_dot4c_i32_i8_e32 v144, v19, v9
	ds_read2_b32 v[18:19], v18 offset1:1
	s_waitcnt lgkmcnt(3)
	v_dot4c_i32_i8_e32 v143, v20, v12
	v_dot4c_i32_i8_e32 v143, v21, v13
	s_waitcnt lgkmcnt(2)
	v_dot4c_i32_i8_e32 v143, v128, v14
	v_add_u32_e32 v20, 0x10d0, v88
	v_add_u32_e32 v126, 0x10d8, v88
	;; [unrolled: 1-line block ×3, first 2 shown]
	v_dot4c_i32_i8_e32 v143, v129, v15
	ds_read2_b32 v[20:21], v20 offset1:1
	ds_read2_b32 v[126:127], v126 offset1:1
	;; [unrolled: 1-line block ×3, first 2 shown]
	s_waitcnt lgkmcnt(3)
	v_dot4c_i32_i8_e32 v144, v18, v10
	v_dot4c_i32_i8_e32 v144, v19, v11
	s_waitcnt lgkmcnt(2)
	v_dot4c_i32_i8_e32 v144, v20, v12
	v_dot4c_i32_i8_e32 v144, v21, v13
	v_mov_b32_e32 v145, 0
	s_waitcnt lgkmcnt(1)
	v_dot4c_i32_i8_e32 v144, v126, v14
	s_waitcnt lgkmcnt(0)
	v_dot4c_i32_i8_e32 v145, v128, v8
	v_add_u32_e32 v126, 0x2148, v88
	v_add_u32_e32 v128, 0x2150, v88
	;; [unrolled: 1-line block ×4, first 2 shown]
	v_dot4c_i32_i8_e32 v144, v127, v15
	ds_read2_b32 v[18:19], v92 offset1:1
	ds_read2_b32 v[20:21], v91 offset0:2 offset1:3
	v_dot4c_i32_i8_e32 v145, v129, v9
	ds_read2_b32 v[126:127], v126 offset1:1
	ds_read2_b32 v[128:129], v128 offset1:1
	;; [unrolled: 1-line block ×4, first 2 shown]
	v_mov_b32_e32 v146, 0
	v_mov_b32_e32 v147, 0
	;; [unrolled: 1-line block ×3, first 2 shown]
	s_waitcnt lgkmcnt(3)
	v_dot4c_i32_i8_e32 v145, v126, v10
	s_waitcnt lgkmcnt(0)
	v_dot4c_i32_i8_e32 v146, v134, v8
	v_add_u32_e32 v8, 0x31c8, v88
	v_dot4c_i32_i8_e32 v145, v127, v11
	v_dot4c_i32_i8_e32 v146, v135, v9
	ds_read2_b32 v[8:9], v8 offset1:1
	v_dot4c_i32_i8_e32 v145, v128, v12
	v_dot4c_i32_i8_e32 v145, v129, v13
	;; [unrolled: 1-line block ×3, first 2 shown]
	v_add_u32_e32 v126, 0x31d0, v88
	v_add_u32_e32 v128, 0x31d8, v88
	;; [unrolled: 1-line block ×3, first 2 shown]
	v_dot4c_i32_i8_e32 v145, v133, v15
	ds_read2_b32 v[126:127], v126 offset1:1
	ds_read2_b32 v[128:129], v128 offset1:1
	;; [unrolled: 1-line block ×3, first 2 shown]
	s_waitcnt lgkmcnt(3)
	v_dot4c_i32_i8_e32 v146, v8, v10
	v_dot4c_i32_i8_e32 v146, v9, v11
	ds_read_b128 v[8:11], v84 offset:19104
	s_waitcnt lgkmcnt(3)
	v_dot4c_i32_i8_e32 v146, v126, v12
	v_dot4c_i32_i8_e32 v146, v127, v13
	ds_read2_b32 v[126:127], v88 offset0:26 offset1:27
	s_waitcnt lgkmcnt(3)
	v_dot4c_i32_i8_e32 v146, v128, v14
	v_dot4c_i32_i8_e32 v146, v129, v15
	ds_read_b128 v[12:15], v84 offset:19120
	s_waitcnt lgkmcnt(2)
	v_dot4c_i32_i8_e32 v147, v130, v8
	v_dot4c_i32_i8_e32 v147, v131, v9
	ds_read2_b32 v[128:129], v88 offset0:28 offset1:29
	ds_read2_b32 v[130:131], v89 offset1:1
	ds_read2_b32 v[134:135], v88 offset0:30 offset1:31
	s_waitcnt lgkmcnt(4)
	v_dot4c_i32_i8_e32 v147, v126, v10
	v_add_u32_e32 v126, 0x10e8, v88
	v_dot4c_i32_i8_e32 v147, v127, v11
	ds_read2_b32 v[126:127], v126 offset1:1
	s_waitcnt lgkmcnt(3)
	v_dot4c_i32_i8_e32 v147, v128, v12
	v_dot4c_i32_i8_e32 v147, v129, v13
	s_waitcnt lgkmcnt(1)
	v_dot4c_i32_i8_e32 v147, v134, v14
	v_dot4c_i32_i8_e32 v148, v132, v8
	v_add_u32_e32 v128, 0x10f0, v88
	v_add_u32_e32 v132, 0x10f8, v88
	;; [unrolled: 1-line block ×3, first 2 shown]
	v_dot4c_i32_i8_e32 v147, v135, v15
	v_dot4c_i32_i8_e32 v148, v133, v9
	ds_read2_b32 v[128:129], v128 offset1:1
	ds_read2_b32 v[132:133], v132 offset1:1
	;; [unrolled: 1-line block ×3, first 2 shown]
	s_waitcnt lgkmcnt(3)
	v_dot4c_i32_i8_e32 v148, v126, v10
	v_dot4c_i32_i8_e32 v148, v127, v11
	s_waitcnt lgkmcnt(2)
	v_dot4c_i32_i8_e32 v148, v128, v12
	v_dot4c_i32_i8_e32 v148, v129, v13
	s_waitcnt lgkmcnt(1)
	v_dot4c_i32_i8_e32 v148, v132, v14
	v_cvt_f32_i32_e32 v129, v136
	v_cvt_f32_i32_e32 v128, v121
	v_dot4c_i32_i8_e32 v148, v133, v15
	v_cvt_f32_i32_e32 v133, v140
	v_cvt_f32_i32_e32 v132, v139
	v_mov_b32_e32 v126, v130
	v_mov_b32_e32 v127, v122
	v_pk_mul_f32 v[126:127], v[2:3], v[126:127] op_sel_hi:[0,1]
	v_mov_b32_e32 v122, v131
	v_pk_fma_f32 v[22:23], v[126:127], v[128:129], v[22:23]
	v_pk_mul_f32 v[122:123], v[2:3], v[122:123] op_sel:[1,0]
	v_mov_b32_e32 v126, v124
	v_pk_fma_f32 v[22:23], v[122:123], v[132:133], v[22:23]
	v_cvt_f32_i32_e32 v123, v144
	v_cvt_f32_i32_e32 v122, v143
	v_mov_b32_e32 v127, v16
	v_pk_mul_f32 v[126:127], v[4:5], v[126:127] op_sel_hi:[0,1]
	v_mov_b32_e32 v124, v5
	v_pk_fma_f32 v[22:23], v[126:127], v[122:123], v[22:23]
	v_cvt_f32_i32_e32 v123, v148
	v_cvt_f32_i32_e32 v122, v147
	v_mov_b32_e32 v16, v125
	v_pk_mul_f32 v[16:17], v[124:125], v[16:17] op_sel_hi:[0,1]
	v_add_u32_e32 v5, 0x2168, v88
	v_pk_fma_f32 v[22:23], v[16:17], v[122:123], v[22:23]
	v_add_u32_e32 v122, 0x2170, v88
	v_add_u32_e32 v125, 0x2178, v88
	ds_read2_b32 v[16:17], v5 offset1:1
	v_add_u32_e32 v5, 0x31e0, v88
	ds_read2_b32 v[122:123], v122 offset1:1
	ds_read2_b32 v[126:127], v125 offset1:1
	;; [unrolled: 1-line block ×3, first 2 shown]
	v_mov_b32_e32 v121, 0
	v_mov_b32_e32 v125, 0
	s_waitcnt lgkmcnt(4)
	v_dot4c_i32_i8_e32 v121, v134, v8
	v_add_u32_e32 v5, 0x31e8, v88
	s_waitcnt lgkmcnt(0)
	v_dot4c_i32_i8_e32 v125, v128, v8
	v_dot4c_i32_i8_e32 v121, v135, v9
	;; [unrolled: 1-line block ×3, first 2 shown]
	ds_read2_b32 v[8:9], v5 offset1:1
	v_dot4c_i32_i8_e32 v121, v16, v10
	v_add_u32_e32 v5, 0x31f0, v88
	v_dot4c_i32_i8_e32 v121, v17, v11
	ds_read2_b32 v[16:17], v5 offset1:1
	v_dot4c_i32_i8_e32 v121, v122, v12
	v_add_u32_e32 v5, 0x31f8, v88
	s_waitcnt lgkmcnt(1)
	v_dot4c_i32_i8_e32 v125, v8, v10
	v_dot4c_i32_i8_e32 v121, v123, v13
	ds_read2_b32 v[122:123], v5 offset1:1
	v_dot4c_i32_i8_e32 v125, v9, v11
	s_waitcnt lgkmcnt(1)
	v_dot4c_i32_i8_e32 v125, v16, v12
	v_cvt_f32_i32_e32 v11, v138
	v_cvt_f32_i32_e32 v10, v137
	v_dot4c_i32_i8_e32 v125, v17, v13
	v_cvt_f32_i32_e32 v13, v142
	v_cvt_f32_i32_e32 v12, v141
	v_mov_b32_e32 v8, v6
	v_mov_b32_e32 v9, v18
	v_pk_mul_f32 v[8:9], v[2:3], v[8:9] op_sel_hi:[0,1]
	v_mov_b32_e32 v18, v7
	v_dot4c_i32_i8_e32 v121, v126, v14
	s_waitcnt lgkmcnt(0)
	v_dot4c_i32_i8_e32 v125, v122, v14
	v_pk_fma_f32 v[8:9], v[8:9], v[10:11], v[56:57]
	v_pk_mul_f32 v[2:3], v[2:3], v[18:19] op_sel:[1,0]
	v_dot4c_i32_i8_e32 v121, v127, v15
	v_dot4c_i32_i8_e32 v125, v123, v15
	v_pk_fma_f32 v[2:3], v[2:3], v[12:13], v[8:9]
	v_mov_b32_e32 v6, v20
	v_mov_b32_e32 v7, v64
	v_cvt_f32_i32_e32 v9, v146
	v_cvt_f32_i32_e32 v8, v145
	v_pk_mul_f32 v[4:5], v[4:5], v[6:7] op_sel_hi:[0,1]
	v_cvt_f32_i32_e32 v7, v125
	v_cvt_f32_i32_e32 v6, v121
	v_mov_b32_e32 v64, v21
	v_pk_fma_f32 v[2:3], v[4:5], v[8:9], v[2:3]
	v_pk_mul_f32 v[4:5], v[124:125], v[64:65] op_sel_hi:[0,1]
	v_pk_fma_f32 v[56:57], v[4:5], v[6:7], v[2:3]
	s_barrier
.LBB185_5:                              ;   in Loop: Header=BB185_6 Depth=1
	s_add_i32 s14, s14, 4
	s_addk_i32 s19, 0x80
	v_add_u32_e32 v66, 4, v66
	v_add_u32_e32 v67, 4, v67
	v_lshl_add_u64 v[26:27], v[26:27], 0, s[8:9]
	v_lshl_add_u64 v[28:29], v[28:29], 0, s[8:9]
	;; [unrolled: 1-line block ×17, first 2 shown]
	s_cmp_ge_i32 s14, s20
	v_lshl_add_u64 v[62:63], v[62:63], 0, s[8:9]
	s_cbranch_scc1 .LBB185_12
.LBB185_6:                              ; =>This Inner Loop Header: Depth=1
	v_lshl_add_u64 v[2:3], v[26:27], 0, s[16:17]
	global_load_dword v4, v[2:3], off
	v_lshl_add_u64 v[2:3], v[28:29], 0, s[16:17]
	global_load_dword v5, v[2:3], off
	;; [unrolled: 2-line block ×15, first 2 shown]
	v_lshl_add_u64 v[2:3], v[60:61], 0, s[16:17]
	global_load_ushort v19, v[2:3], off
	v_lshl_add_u64 v[2:3], v[62:63], 0, s[16:17]
	global_load_ushort v20, v[2:3], off
	v_lshl_add_u64 v[2:3], v[58:59], 0, s[16:17]
	global_load_dword v2, v[2:3], off
	s_cmp_lt_i32 s19, s15
	s_waitcnt vmcnt(17)
	ds_write_b32 v68, v4
	s_waitcnt vmcnt(16)
	ds_write_b32 v69, v5
	;; [unrolled: 2-line block ×14, first 2 shown]
	s_waitcnt vmcnt(2)
	v_cvt_f32_f16_e32 v3, v19
	s_waitcnt vmcnt(1)
	v_cvt_f32_f16_e32 v4, v20
	ds_write_b32 v82, v18
	s_waitcnt vmcnt(0)
	ds_write_b32 v83, v2
	ds_write_b32 v94, v3
	;; [unrolled: 1-line block ×3, first 2 shown]
	s_cbranch_scc0 .LBB185_5
; %bb.7:                                ;   in Loop: Header=BB185_6 Depth=1
	v_cmp_gt_i32_e64 s[2:3], s5, v67
	s_and_b64 s[22:23], s[0:1], s[2:3]
	s_and_saveexec_b64 s[2:3], s[22:23]
	s_cbranch_execz .LBB185_9
; %bb.8:                                ;   in Loop: Header=BB185_6 Depth=1
	v_add_u32_e32 v2, v93, v67
	v_mad_i64_i32 v[2:3], s[22:23], v2, 36, v[24:25]
	global_load_dword v2, v[2:3], off offset:4
	s_waitcnt vmcnt(0)
	ds_write_b32 v85, v2
.LBB185_9:                              ;   in Loop: Header=BB185_6 Depth=1
	s_or_b64 exec, exec, s[2:3]
	v_cmp_gt_i32_e64 s[2:3], s5, v66
	s_and_b64 s[2:3], s[0:1], s[2:3]
	s_and_b64 s[22:23], vcc, s[2:3]
	s_and_saveexec_b64 s[2:3], s[22:23]
	s_cbranch_execz .LBB185_4
; %bb.10:                               ;   in Loop: Header=BB185_6 Depth=1
	v_add_u32_e32 v2, v93, v66
	v_mad_i64_i32 v[2:3], s[22:23], v2, 36, s[10:11]
	global_load_dword v2, v[2:3], off
	s_waitcnt vmcnt(0)
	v_cvt_f32_f16_e32 v2, v2
	ds_write_b32 v86, v2
	s_branch .LBB185_4
.LBB185_11:
	v_mov_b32_e32 v57, v22
	v_mov_b32_e32 v56, v22
	;; [unrolled: 1-line block ×3, first 2 shown]
.LBB185_12:
	s_mul_i32 s0, s7, s4
	s_waitcnt vmcnt(0)
	v_cmp_gt_i32_e32 vcc, s0, v1
	s_and_saveexec_b64 s[0:1], vcc
	s_cbranch_execz .LBB185_21
; %bb.13:
	v_and_b32_e32 v0, 0x3ff, v0
	v_add_u32_e32 v2, s18, v0
	v_mul_lo_u32 v0, v1, s6
	v_cmp_gt_u32_e32 vcc, s6, v2
	s_and_saveexec_b64 s[0:1], vcc
	s_cbranch_execz .LBB185_15
; %bb.14:
	v_add_u32_e32 v4, v0, v2
	v_mov_b32_e32 v5, 0
	v_lshl_add_u64 v[4:5], v[4:5], 2, s[12:13]
	global_store_dword v[4:5], v22, off
.LBB185_15:
	s_or_b64 exec, exec, s[0:1]
	v_add_u32_e32 v1, 32, v2
	v_cmp_gt_u32_e32 vcc, s6, v1
	s_and_saveexec_b64 s[0:1], vcc
	s_cbranch_execz .LBB185_17
; %bb.16:
	v_add_u32_e32 v4, v0, v1
	v_mov_b32_e32 v5, 0
	v_lshl_add_u64 v[4:5], v[4:5], 2, s[12:13]
	global_store_dword v[4:5], v23, off
.LBB185_17:
	s_or_b64 exec, exec, s[0:1]
	v_add_u32_e32 v1, 64, v2
	;; [unrolled: 11-line block ×3, first 2 shown]
	v_cmp_gt_u32_e32 vcc, s6, v1
	s_and_b64 exec, exec, vcc
	s_cbranch_execz .LBB185_21
; %bb.20:
	v_add_u32_e32 v0, v0, v1
	v_mov_b32_e32 v1, 0
	v_lshl_add_u64 v[0:1], v[0:1], 2, s[12:13]
	global_store_dword v[0:1], v57, off
.LBB185_21:
	s_endpgm
	.section	.rodata,"a",@progbits
	.p2align	6, 0x0
	.amdhsa_kernel _ZL8moe_q8_0IfLb0EEvPKvS1_PT_PKiS5_S5_iiiiiii
		.amdhsa_group_segment_fixed_size 20160
		.amdhsa_private_segment_fixed_size 0
		.amdhsa_kernarg_size 76
		.amdhsa_user_sgpr_count 2
		.amdhsa_user_sgpr_dispatch_ptr 0
		.amdhsa_user_sgpr_queue_ptr 0
		.amdhsa_user_sgpr_kernarg_segment_ptr 1
		.amdhsa_user_sgpr_dispatch_id 0
		.amdhsa_user_sgpr_kernarg_preload_length 0
		.amdhsa_user_sgpr_kernarg_preload_offset 0
		.amdhsa_user_sgpr_private_segment_size 0
		.amdhsa_uses_dynamic_stack 0
		.amdhsa_enable_private_segment 0
		.amdhsa_system_sgpr_workgroup_id_x 1
		.amdhsa_system_sgpr_workgroup_id_y 1
		.amdhsa_system_sgpr_workgroup_id_z 0
		.amdhsa_system_sgpr_workgroup_info 0
		.amdhsa_system_vgpr_workitem_id 1
		.amdhsa_next_free_vgpr 149
		.amdhsa_next_free_sgpr 24
		.amdhsa_accum_offset 152
		.amdhsa_reserve_vcc 1
		.amdhsa_float_round_mode_32 0
		.amdhsa_float_round_mode_16_64 0
		.amdhsa_float_denorm_mode_32 3
		.amdhsa_float_denorm_mode_16_64 3
		.amdhsa_dx10_clamp 1
		.amdhsa_ieee_mode 1
		.amdhsa_fp16_overflow 0
		.amdhsa_tg_split 0
		.amdhsa_exception_fp_ieee_invalid_op 0
		.amdhsa_exception_fp_denorm_src 0
		.amdhsa_exception_fp_ieee_div_zero 0
		.amdhsa_exception_fp_ieee_overflow 0
		.amdhsa_exception_fp_ieee_underflow 0
		.amdhsa_exception_fp_ieee_inexact 0
		.amdhsa_exception_int_div_zero 0
	.end_amdhsa_kernel
	.section	.text._ZL8moe_q8_0IfLb0EEvPKvS1_PT_PKiS5_S5_iiiiiii,"axG",@progbits,_ZL8moe_q8_0IfLb0EEvPKvS1_PT_PKiS5_S5_iiiiiii,comdat
.Lfunc_end185:
	.size	_ZL8moe_q8_0IfLb0EEvPKvS1_PT_PKiS5_S5_iiiiiii, .Lfunc_end185-_ZL8moe_q8_0IfLb0EEvPKvS1_PT_PKiS5_S5_iiiiiii
                                        ; -- End function
	.section	.AMDGPU.csdata,"",@progbits
; Kernel info:
; codeLenInByte = 4652
; NumSgprs: 30
; NumVgprs: 149
; NumAgprs: 0
; TotalNumVgprs: 149
; ScratchSize: 0
; MemoryBound: 0
; FloatMode: 240
; IeeeMode: 1
; LDSByteSize: 20160 bytes/workgroup (compile time only)
; SGPRBlocks: 3
; VGPRBlocks: 18
; NumSGPRsForWavesPerEU: 30
; NumVGPRsForWavesPerEU: 149
; AccumOffset: 152
; Occupancy: 3
; WaveLimiterHint : 1
; COMPUTE_PGM_RSRC2:SCRATCH_EN: 0
; COMPUTE_PGM_RSRC2:USER_SGPR: 2
; COMPUTE_PGM_RSRC2:TRAP_HANDLER: 0
; COMPUTE_PGM_RSRC2:TGID_X_EN: 1
; COMPUTE_PGM_RSRC2:TGID_Y_EN: 1
; COMPUTE_PGM_RSRC2:TGID_Z_EN: 0
; COMPUTE_PGM_RSRC2:TIDIG_COMP_CNT: 1
; COMPUTE_PGM_RSRC3_GFX90A:ACCUM_OFFSET: 37
; COMPUTE_PGM_RSRC3_GFX90A:TG_SPLIT: 0
	.section	.text._ZL8moe_q8_0IfLb1EEvPKvS1_PT_PKiS5_S5_iiiiiii,"axG",@progbits,_ZL8moe_q8_0IfLb1EEvPKvS1_PT_PKiS5_S5_iiiiiii,comdat
	.globl	_ZL8moe_q8_0IfLb1EEvPKvS1_PT_PKiS5_S5_iiiiiii ; -- Begin function _ZL8moe_q8_0IfLb1EEvPKvS1_PT_PKiS5_S5_iiiiiii
	.p2align	8
	.type	_ZL8moe_q8_0IfLb1EEvPKvS1_PT_PKiS5_S5_iiiiiii,@function
_ZL8moe_q8_0IfLb1EEvPKvS1_PT_PKiS5_S5_iiiiiii: ; @_ZL8moe_q8_0IfLb1EEvPKvS1_PT_PKiS5_S5_iiiiiii
; %bb.0:
	s_load_dwordx4 s[4:7], s[0:1], 0x18
	s_mov_b32 s8, s3
	s_mov_b32 s9, 0
	s_lshl_b64 s[10:11], s[8:9], 2
	s_waitcnt lgkmcnt(0)
	s_add_u32 s6, s6, s10
	s_addc_u32 s7, s7, s11
	s_load_dword s3, s[6:7], 0x0
	s_waitcnt lgkmcnt(0)
	s_cmpk_gt_u32 s3, 0xff
	s_cbranch_scc1 .LBB186_21
; %bb.1:
	s_load_dwordx2 s[6:7], s[0:1], 0x28
	s_waitcnt lgkmcnt(0)
	s_load_dword s7, s[6:7], 0x0
	s_lshl_b32 s6, s8, 3
	s_waitcnt lgkmcnt(0)
	s_cmp_gt_u32 s6, s7
	s_cbranch_scc1 .LBB186_21
; %bb.2:
	v_bfe_u32 v2, v0, 10, 10
	v_mov_b32_e32 v22, 0
	v_mov_b32_e32 v4, s4
	;; [unrolled: 1-line block ×3, first 2 shown]
	v_add_u32_e32 v6, s6, v2
	v_mov_b32_e32 v7, v22
	v_lshl_add_u64 v[4:5], v[6:7], 2, v[4:5]
	global_load_dword v1, v[4:5], off
	s_load_dwordx8 s[4:11], s[0:1], 0x30
	s_load_dwordx2 s[16:17], s[0:1], 0x10
	s_waitcnt lgkmcnt(0)
	s_lshl_b32 s11, s2, 7
	s_mov_b32 s20, 0
	s_cmp_lt_i32 s5, 32
	s_cbranch_scc1 .LBB186_11
; %bb.3:
	s_load_dwordx4 s[12:15], s[0:1], 0x0
	s_ashr_i32 s0, s5, 31
	s_lshr_b32 s0, s0, 27
	s_add_i32 s0, s5, s0
	s_ashr_i32 s21, s0, 5
	s_ashr_i32 s0, s8, 31
	s_lshr_b32 s0, s0, 27
	s_add_i32 s0, s8, s0
	s_ashr_i32 s8, s0, 5
	s_not_b32 s0, s11
	s_mul_i32 s18, s3, s4
	s_add_i32 s3, s0, s6
	v_and_b32_e32 v98, 0x3ff, v0
	v_min_i32_e32 v3, s3, v2
	v_lshlrev_b32_e32 v4, 2, v98
	v_mul_lo_u32 v5, v3, s21
	s_movk_i32 s4, 0x84
	v_mad_u64_u32 v[24:25], s[0:1], v3, s4, v[4:5]
	v_add_u32_e32 v3, 8, v2
	v_min_i32_e32 v3, s3, v3
	v_mul_lo_u32 v8, v3, s21
	v_mad_u64_u32 v[26:27], s[0:1], v3, s4, v[4:5]
	v_add_u32_e32 v3, 16, v2
	v_min_i32_e32 v3, s3, v3
	v_mul_lo_u32 v9, v3, s21
	;; [unrolled: 4-line block ×15, first 2 shown]
	v_mad_u64_u32 v[54:55], s[0:1], v3, s4, v[4:5]
	v_lshrrev_b32_e32 v3, 2, v98
	v_lshl_add_u32 v3, v2, 3, v3
	v_and_b32_e32 v6, 28, v4
	v_min_i32_e32 v4, s3, v3
	v_ashrrev_i32_e32 v25, 31, v4
	v_add_u32_e32 v3, 64, v3
	v_lshrrev_b32_e32 v25, 29, v25
	v_min_i32_e32 v3, s3, v3
	v_mul_lo_u32 v47, v4, s21
	v_add_u32_e32 v25, v4, v25
	v_lshlrev_b32_e32 v51, 4, v4
	v_ashrrev_i32_e32 v4, 31, v3
	v_and_b32_e32 v45, 3, v98
	v_ashrrev_i32_e32 v25, 3, v25
	v_lshrrev_b32_e32 v4, 29, v4
	v_lshlrev_b32_e32 v25, 2, v25
	v_lshlrev_b32_e32 v27, 2, v45
	s_movk_i32 s0, 0x4200
	v_add_u32_e32 v4, v3, v4
	v_add3_u32 v49, v25, v27, s0
	v_mul_lo_u32 v53, v3, s21
	v_ashrrev_i32_e32 v4, 3, v4
	v_lshlrev_b32_e32 v88, 4, v3
	v_and_b32_e32 v3, 31, v98
	v_lshlrev_b32_e32 v25, 7, v2
	v_lshlrev_b32_e32 v4, 2, v4
	v_lshl_or_b32 v3, v3, 2, v25
	v_lshrrev_b32_e32 v99, 3, v98
	v_add3_u32 v55, v4, v27, s0
	v_add_u32_e32 v27, 0x4a40, v3
	v_lshl_add_u32 v3, v2, 2, v98
	v_mov_b32_e32 v4, 0x4e40
	v_lshl_add_u32 v29, v3, 2, v4
	v_lshlrev_b32_e32 v31, 4, v2
	v_lshlrev_b32_e32 v2, 2, v99
	;; [unrolled: 1-line block ×3, first 2 shown]
	v_add3_u32 v35, v3, v2, s0
	v_add_u32_e32 v2, 32, v98
	v_lshrrev_b32_e32 v3, 1, v2
	v_and_b32_e32 v3, 0xfc, v3
	v_lshlrev_b32_e32 v2, 4, v2
	v_add3_u32 v37, v2, v3, s0
	v_add_u32_e32 v2, 64, v98
	v_lshrrev_b32_e32 v3, 1, v2
	v_and_b32_e32 v3, 0xfc, v3
	v_lshlrev_b32_e32 v2, 4, v2
	s_abs_i32 s3, s10
	v_add3_u32 v39, v2, v3, s0
	v_cvt_f32_u32_e32 v3, s3
	v_add_u32_e32 v2, 0x60, v98
	v_lshrrev_b32_e32 v4, 1, v2
	v_and_b32_e32 v4, 0xfc, v4
	v_rcp_iflag_f32_e32 v3, v3
	v_lshlrev_b32_e32 v2, 4, v2
	v_add3_u32 v41, v2, v4, s0
	s_sub_i32 s0, 0, s3
	v_mul_f32_e32 v3, 0x4f7ffffe, v3
	v_cvt_u32_f32_e32 v3, v3
	s_waitcnt vmcnt(0)
	v_sub_u32_e32 v4, 0, v1
	v_max_i32_e32 v4, v1, v4
	v_xor_b32_e32 v2, s10, v1
	v_mul_lo_u32 v43, s0, v3
	v_mul_hi_u32 v43, v3, v43
	v_add_u32_e32 v3, v3, v43
	v_mul_hi_u32 v3, v4, v3
	v_mul_lo_u32 v43, v3, s3
	v_sub_u32_e32 v4, v4, v43
	v_add_u32_e32 v43, 1, v3
	v_cmp_le_u32_e64 s[0:1], s3, v4
	v_ashrrev_i32_e32 v2, 31, v2
	s_mul_i32 s2, s21, s11
	v_cndmask_b32_e64 v3, v3, v43, s[0:1]
	v_subrev_u32_e32 v43, s3, v4
	v_cndmask_b32_e64 v4, v4, v43, s[0:1]
	v_add_u32_e32 v43, 1, v3
	v_cmp_le_u32_e64 s[0:1], s3, v4
	s_mul_hi_i32 s3, s2, 34
	s_mul_i32 s4, s2, 34
	v_cndmask_b32_e64 v3, v3, v43, s[0:1]
	v_xor_b32_e32 v3, v3, v2
	v_sub_u32_e32 v2, v3, v2
	v_cmp_gt_i32_e64 s[0:1], s7, v2
	v_mul_lo_u32 v43, v2, s8
	v_mov_b32_e32 v2, s4
	v_mov_b32_e32 v3, s3
	v_mad_u64_u32 v[2:3], s[22:23], v99, 34, v[2:3]
	v_mov_b32_e32 v7, v22
	v_mad_i64_i32 v[4:5], s[22:23], v5, 34, v[2:3]
	v_lshl_add_u64 v[4:5], v[4:5], 0, v[6:7]
	s_waitcnt lgkmcnt(0)
	v_lshl_add_u64 v[4:5], v[4:5], 0, s[12:13]
	v_lshl_add_u64 v[58:59], v[4:5], 0, 2
	v_mad_i64_i32 v[4:5], s[22:23], v8, 34, v[2:3]
	v_lshl_add_u64 v[4:5], v[4:5], 0, v[6:7]
	v_lshl_add_u64 v[4:5], v[4:5], 0, s[12:13]
	v_lshl_add_u64 v[60:61], v[4:5], 0, 2
	v_mad_i64_i32 v[4:5], s[22:23], v9, 34, v[2:3]
	v_lshl_add_u64 v[4:5], v[4:5], 0, v[6:7]
	;; [unrolled: 4-line block ×13, first 2 shown]
	v_lshl_add_u64 v[4:5], v[4:5], 0, s[12:13]
	v_lshl_add_u64 v[84:85], v[4:5], 0, 2
	v_mad_i64_i32 v[4:5], s[22:23], v21, 34, v[2:3]
	v_mad_i64_i32 v[2:3], s[22:23], v23, 34, v[2:3]
	v_lshl_add_u64 v[2:3], v[2:3], 0, v[6:7]
	v_lshl_add_u64 v[2:3], v[2:3], 0, s[12:13]
	;; [unrolled: 1-line block ×3, first 2 shown]
	v_mad_i64_i32 v[2:3], s[22:23], v47, 34, 0
	v_mad_i64_i32 v[2:3], s[22:23], s2, 34, v[2:3]
	v_mad_u64_u32 v[2:3], s[22:23], v45, 34, v[2:3]
	v_lshl_add_u64 v[92:93], s[12:13], 0, v[2:3]
	v_mad_i64_i32 v[2:3], s[22:23], v53, 34, 0
	v_lshl_add_u64 v[4:5], v[4:5], 0, v[6:7]
	v_mad_i64_i32 v[2:3], s[2:3], s2, 34, v[2:3]
	v_mul_u32_u24_e32 v33, 0x84, v98
	v_lshl_add_u64 v[4:5], v[4:5], 0, s[12:13]
	v_mad_u64_u32 v[2:3], s[2:3], v45, 34, v[2:3]
	s_ashr_i32 s19, s18, 31
	v_lshl_add_u64 v[56:57], s[14:15], 0, v[6:7]
	v_cmp_gt_u32_e32 vcc, 4, v98
	v_lshl_add_u64 v[86:87], v[4:5], 0, 2
	v_lshl_add_u64 v[94:95], s[12:13], 0, v[2:3]
	v_add_u32_e32 v45, v49, v51
	v_add_u32_e32 v47, v55, v88
	;; [unrolled: 1-line block ×17, first 2 shown]
	s_mov_b64 s[12:13], 0x88
	v_add_u32_e32 v111, 0x10b8, v33
	v_add_u32_e32 v112, 0x2120, v33
	;; [unrolled: 1-line block ×9, first 2 shown]
	s_mov_b32 s4, 0
	v_mov_b32_e32 v23, v22
	v_mov_b32_e32 v88, v22
	;; [unrolled: 1-line block ×3, first 2 shown]
	s_branch .LBB186_6
.LBB186_4:                              ;   in Loop: Header=BB186_6 Depth=1
	s_or_b64 exec, exec, s[2:3]
	s_waitcnt lgkmcnt(0)
	s_barrier
	ds_read_b128 v[2:5], v31 offset:20032
	ds_read2_b32 v[96:97], v33 offset1:1
	ds_read_b128 v[18:21], v25 offset:19008
	ds_read_b128 v[14:17], v25 offset:19024
	;; [unrolled: 1-line block ×4, first 2 shown]
	ds_read2_b32 v[122:123], v33 offset0:2 offset1:3
	v_mov_b32_e32 v120, 0
	s_waitcnt lgkmcnt(4)
	v_dot4c_i32_i8_e32 v120, v96, v18
	v_dot4c_i32_i8_e32 v120, v97, v19
	ds_read2_b32 v[96:97], v33 offset0:4 offset1:5
	ds_read2_b32 v[124:125], v33 offset0:6 offset1:7
	;; [unrolled: 1-line block ×3, first 2 shown]
	s_waitcnt lgkmcnt(3)
	v_dot4c_i32_i8_e32 v120, v122, v20
	v_dot4c_i32_i8_e32 v120, v123, v21
	s_waitcnt lgkmcnt(2)
	v_dot4c_i32_i8_e32 v120, v96, v14
	v_dot4c_i32_i8_e32 v120, v97, v15
	ds_read2_b32 v[122:123], v49 offset1:1
	s_waitcnt lgkmcnt(2)
	v_dot4c_i32_i8_e32 v120, v124, v16
	v_dot4c_i32_i8_e32 v120, v125, v17
	ds_read2_b32 v[124:125], v51 offset1:1
	v_mov_b32_e32 v121, 0
	ds_read2_b32 v[96:97], v41 offset0:2 offset1:3
	s_waitcnt lgkmcnt(2)
	v_dot4c_i32_i8_e32 v121, v122, v18
	v_dot4c_i32_i8_e32 v121, v123, v19
	ds_read2_b32 v[122:123], v53 offset1:1
	ds_read2_b32 v[128:129], v55 offset1:1
	;; [unrolled: 1-line block ×3, first 2 shown]
	s_waitcnt lgkmcnt(4)
	v_dot4c_i32_i8_e32 v121, v124, v20
	v_dot4c_i32_i8_e32 v121, v125, v21
	s_waitcnt lgkmcnt(2)
	v_dot4c_i32_i8_e32 v121, v122, v14
	v_dot4c_i32_i8_e32 v121, v123, v15
	ds_read2_b32 v[122:123], v101 offset1:1
	v_mov_b32_e32 v136, 0
	s_waitcnt lgkmcnt(2)
	v_dot4c_i32_i8_e32 v121, v128, v16
	s_waitcnt lgkmcnt(1)
	v_dot4c_i32_i8_e32 v136, v130, v18
	v_dot4c_i32_i8_e32 v121, v129, v17
	;; [unrolled: 1-line block ×3, first 2 shown]
	ds_read2_b32 v[124:125], v102 offset1:1
	ds_read2_b32 v[128:129], v103 offset1:1
	;; [unrolled: 1-line block ×3, first 2 shown]
	s_waitcnt lgkmcnt(3)
	v_dot4c_i32_i8_e32 v136, v122, v20
	v_dot4c_i32_i8_e32 v136, v123, v21
	ds_read2_b32 v[122:123], v105 offset1:1
	s_waitcnt lgkmcnt(3)
	v_dot4c_i32_i8_e32 v136, v124, v14
	v_dot4c_i32_i8_e32 v136, v125, v15
	v_mov_b32_e32 v137, 0
	s_waitcnt lgkmcnt(2)
	v_dot4c_i32_i8_e32 v136, v128, v16
	s_waitcnt lgkmcnt(1)
	v_dot4c_i32_i8_e32 v137, v130, v18
	v_dot4c_i32_i8_e32 v136, v129, v17
	;; [unrolled: 1-line block ×3, first 2 shown]
	ds_read2_b32 v[18:19], v106 offset1:1
	ds_read2_b32 v[124:125], v107 offset1:1
	;; [unrolled: 1-line block ×3, first 2 shown]
	s_waitcnt lgkmcnt(3)
	v_dot4c_i32_i8_e32 v137, v122, v20
	v_dot4c_i32_i8_e32 v137, v123, v21
	s_waitcnt lgkmcnt(2)
	v_dot4c_i32_i8_e32 v137, v18, v14
	v_dot4c_i32_i8_e32 v137, v19, v15
	ds_read2_b32 v[14:15], v33 offset0:10 offset1:11
	v_mov_b32_e32 v138, 0
	s_waitcnt lgkmcnt(2)
	v_dot4c_i32_i8_e32 v137, v124, v16
	v_dot4c_i32_i8_e32 v138, v126, v10
	;; [unrolled: 1-line block ×4, first 2 shown]
	ds_read2_b32 v[16:17], v33 offset0:12 offset1:13
	ds_read2_b32 v[18:19], v33 offset0:14 offset1:15
	;; [unrolled: 1-line block ×3, first 2 shown]
	s_waitcnt lgkmcnt(3)
	v_dot4c_i32_i8_e32 v138, v14, v12
	v_dot4c_i32_i8_e32 v138, v15, v13
	ds_read2_b32 v[14:15], v109 offset1:1
	s_waitcnt lgkmcnt(3)
	v_dot4c_i32_i8_e32 v138, v16, v6
	v_dot4c_i32_i8_e32 v138, v17, v7
	v_mov_b32_e32 v139, 0
	s_waitcnt lgkmcnt(2)
	v_dot4c_i32_i8_e32 v138, v18, v8
	v_dot4c_i32_i8_e32 v139, v128, v10
	;; [unrolled: 1-line block ×4, first 2 shown]
	ds_read2_b32 v[16:17], v110 offset1:1
	ds_read2_b32 v[18:19], v111 offset1:1
	;; [unrolled: 1-line block ×3, first 2 shown]
	s_waitcnt lgkmcnt(3)
	v_dot4c_i32_i8_e32 v139, v14, v12
	v_dot4c_i32_i8_e32 v139, v15, v13
	s_waitcnt lgkmcnt(2)
	v_dot4c_i32_i8_e32 v139, v16, v6
	v_dot4c_i32_i8_e32 v139, v17, v7
	v_mov_b32_e32 v140, 0
	s_waitcnt lgkmcnt(1)
	v_dot4c_i32_i8_e32 v139, v18, v8
	s_waitcnt lgkmcnt(0)
	v_dot4c_i32_i8_e32 v140, v122, v10
	v_dot4c_i32_i8_e32 v139, v19, v9
	ds_read2_b32 v[14:15], v113 offset1:1
	v_dot4c_i32_i8_e32 v140, v123, v11
	ds_read2_b32 v[16:17], v114 offset1:1
	ds_read2_b32 v[18:19], v115 offset1:1
	;; [unrolled: 1-line block ×3, first 2 shown]
	v_mov_b32_e32 v141, 0
	v_mov_b32_e32 v142, 0
	s_waitcnt lgkmcnt(3)
	v_dot4c_i32_i8_e32 v140, v14, v12
	v_dot4c_i32_i8_e32 v140, v15, v13
	s_waitcnt lgkmcnt(0)
	v_dot4c_i32_i8_e32 v141, v122, v10
	v_dot4c_i32_i8_e32 v141, v123, v11
	ds_read2_b32 v[10:11], v117 offset1:1
	v_dot4c_i32_i8_e32 v140, v16, v6
	v_dot4c_i32_i8_e32 v140, v17, v7
	;; [unrolled: 1-line block ×3, first 2 shown]
	v_add_u32_e32 v18, 0x10c0, v33
	v_dot4c_i32_i8_e32 v140, v19, v9
	ds_read2_b32 v[14:15], v118 offset1:1
	ds_read2_b32 v[16:17], v119 offset1:1
	ds_read2_b32 v[18:19], v18 offset1:1
	s_waitcnt lgkmcnt(3)
	v_dot4c_i32_i8_e32 v141, v10, v12
	v_dot4c_i32_i8_e32 v141, v11, v13
	s_waitcnt lgkmcnt(2)
	v_dot4c_i32_i8_e32 v141, v14, v6
	v_dot4c_i32_i8_e32 v141, v15, v7
	;; [unrolled: 3-line block ×3, first 2 shown]
	ds_read_b128 v[8:11], v25 offset:19072
	ds_read_b128 v[12:15], v25 offset:19088
	ds_read2_b32 v[6:7], v39 offset1:1
	ds_read2_b32 v[16:17], v37 offset0:2 offset1:3
	ds_read2_b32 v[122:123], v37 offset1:1
	ds_read2_b32 v[124:125], v35 offset0:2 offset1:3
	ds_read2_b32 v[126:127], v33 offset0:18 offset1:19
	s_waitcnt lgkmcnt(6)
	v_dot4c_i32_i8_e32 v142, v20, v8
	v_dot4c_i32_i8_e32 v142, v21, v9
	ds_read2_b32 v[20:21], v33 offset0:20 offset1:21
	ds_read2_b32 v[128:129], v33 offset0:22 offset1:23
	;; [unrolled: 1-line block ×3, first 2 shown]
	v_mov_b32_e32 v143, 0
	s_waitcnt lgkmcnt(3)
	v_dot4c_i32_i8_e32 v142, v126, v10
	v_dot4c_i32_i8_e32 v143, v18, v8
	v_add_u32_e32 v18, 0x10c8, v33
	v_dot4c_i32_i8_e32 v142, v127, v11
	v_dot4c_i32_i8_e32 v143, v19, v9
	ds_read2_b32 v[18:19], v18 offset1:1
	s_waitcnt lgkmcnt(3)
	v_dot4c_i32_i8_e32 v142, v20, v12
	v_dot4c_i32_i8_e32 v142, v21, v13
	s_waitcnt lgkmcnt(2)
	v_dot4c_i32_i8_e32 v142, v128, v14
	v_add_u32_e32 v20, 0x10d0, v33
	v_add_u32_e32 v126, 0x10d8, v33
	;; [unrolled: 1-line block ×3, first 2 shown]
	v_dot4c_i32_i8_e32 v142, v129, v15
	ds_read2_b32 v[20:21], v20 offset1:1
	ds_read2_b32 v[126:127], v126 offset1:1
	;; [unrolled: 1-line block ×3, first 2 shown]
	s_waitcnt lgkmcnt(3)
	v_dot4c_i32_i8_e32 v143, v18, v10
	v_dot4c_i32_i8_e32 v143, v19, v11
	s_waitcnt lgkmcnt(2)
	v_dot4c_i32_i8_e32 v143, v20, v12
	v_dot4c_i32_i8_e32 v143, v21, v13
	v_mov_b32_e32 v144, 0
	s_waitcnt lgkmcnt(1)
	v_dot4c_i32_i8_e32 v143, v126, v14
	s_waitcnt lgkmcnt(0)
	v_dot4c_i32_i8_e32 v144, v128, v8
	v_add_u32_e32 v126, 0x2148, v33
	v_add_u32_e32 v128, 0x2150, v33
	;; [unrolled: 1-line block ×4, first 2 shown]
	v_dot4c_i32_i8_e32 v143, v127, v15
	ds_read2_b32 v[18:19], v41 offset1:1
	ds_read2_b32 v[20:21], v39 offset0:2 offset1:3
	v_dot4c_i32_i8_e32 v144, v129, v9
	ds_read2_b32 v[126:127], v126 offset1:1
	ds_read2_b32 v[128:129], v128 offset1:1
	;; [unrolled: 1-line block ×4, first 2 shown]
	v_mov_b32_e32 v145, 0
	v_mov_b32_e32 v146, 0
	;; [unrolled: 1-line block ×3, first 2 shown]
	s_waitcnt lgkmcnt(3)
	v_dot4c_i32_i8_e32 v144, v126, v10
	s_waitcnt lgkmcnt(0)
	v_dot4c_i32_i8_e32 v145, v134, v8
	v_add_u32_e32 v8, 0x31c8, v33
	v_dot4c_i32_i8_e32 v144, v127, v11
	v_dot4c_i32_i8_e32 v145, v135, v9
	ds_read2_b32 v[8:9], v8 offset1:1
	v_dot4c_i32_i8_e32 v144, v128, v12
	v_dot4c_i32_i8_e32 v144, v129, v13
	;; [unrolled: 1-line block ×3, first 2 shown]
	v_add_u32_e32 v126, 0x31d0, v33
	v_add_u32_e32 v128, 0x31d8, v33
	;; [unrolled: 1-line block ×3, first 2 shown]
	v_dot4c_i32_i8_e32 v144, v133, v15
	ds_read2_b32 v[126:127], v126 offset1:1
	ds_read2_b32 v[128:129], v128 offset1:1
	;; [unrolled: 1-line block ×3, first 2 shown]
	s_waitcnt lgkmcnt(3)
	v_dot4c_i32_i8_e32 v145, v8, v10
	v_dot4c_i32_i8_e32 v145, v9, v11
	ds_read_b128 v[8:11], v25 offset:19104
	s_waitcnt lgkmcnt(3)
	v_dot4c_i32_i8_e32 v145, v126, v12
	v_dot4c_i32_i8_e32 v145, v127, v13
	ds_read2_b32 v[126:127], v33 offset0:26 offset1:27
	s_waitcnt lgkmcnt(3)
	v_dot4c_i32_i8_e32 v145, v128, v14
	v_dot4c_i32_i8_e32 v145, v129, v15
	ds_read_b128 v[12:15], v25 offset:19120
	s_waitcnt lgkmcnt(2)
	v_dot4c_i32_i8_e32 v146, v130, v8
	v_dot4c_i32_i8_e32 v146, v131, v9
	ds_read2_b32 v[128:129], v33 offset0:28 offset1:29
	ds_read2_b32 v[130:131], v35 offset1:1
	ds_read2_b32 v[134:135], v33 offset0:30 offset1:31
	s_waitcnt lgkmcnt(4)
	v_dot4c_i32_i8_e32 v146, v126, v10
	v_add_u32_e32 v126, 0x10e8, v33
	v_dot4c_i32_i8_e32 v146, v127, v11
	ds_read2_b32 v[126:127], v126 offset1:1
	s_waitcnt lgkmcnt(3)
	v_dot4c_i32_i8_e32 v146, v128, v12
	v_dot4c_i32_i8_e32 v146, v129, v13
	s_waitcnt lgkmcnt(1)
	v_dot4c_i32_i8_e32 v146, v134, v14
	v_dot4c_i32_i8_e32 v147, v132, v8
	v_add_u32_e32 v128, 0x10f0, v33
	v_add_u32_e32 v132, 0x10f8, v33
	;; [unrolled: 1-line block ×3, first 2 shown]
	v_dot4c_i32_i8_e32 v146, v135, v15
	v_dot4c_i32_i8_e32 v147, v133, v9
	ds_read2_b32 v[128:129], v128 offset1:1
	ds_read2_b32 v[132:133], v132 offset1:1
	;; [unrolled: 1-line block ×3, first 2 shown]
	s_waitcnt lgkmcnt(3)
	v_dot4c_i32_i8_e32 v147, v126, v10
	v_dot4c_i32_i8_e32 v147, v127, v11
	s_waitcnt lgkmcnt(2)
	v_dot4c_i32_i8_e32 v147, v128, v12
	v_cvt_f32_i32_e32 v121, v121
	v_cvt_f32_i32_e32 v120, v120
	v_dot4c_i32_i8_e32 v147, v129, v13
	v_cvt_f32_i32_e32 v129, v139
	v_cvt_f32_i32_e32 v128, v138
	v_mov_b32_e32 v126, v130
	v_mov_b32_e32 v127, v122
	v_pk_mul_f32 v[126:127], v[2:3], v[126:127] op_sel_hi:[0,1]
	v_mov_b32_e32 v122, v131
	v_pk_fma_f32 v[22:23], v[126:127], v[120:121], v[22:23]
	v_pk_mul_f32 v[120:121], v[2:3], v[122:123] op_sel:[1,0]
	s_waitcnt lgkmcnt(1)
	v_dot4c_i32_i8_e32 v147, v132, v14
	v_pk_fma_f32 v[22:23], v[120:121], v[128:129], v[22:23]
	v_cvt_f32_i32_e32 v121, v143
	v_cvt_f32_i32_e32 v120, v142
	v_mov_b32_e32 v122, v124
	v_mov_b32_e32 v123, v16
	v_dot4c_i32_i8_e32 v147, v133, v15
	v_pk_mul_f32 v[122:123], v[4:5], v[122:123] op_sel_hi:[0,1]
	v_pk_fma_f32 v[22:23], v[122:123], v[120:121], v[22:23]
	v_cvt_f32_i32_e32 v120, v146
	v_cvt_f32_i32_e32 v121, v147
	v_mov_b32_e32 v122, v5
	v_mov_b32_e32 v16, v125
	v_pk_mul_f32 v[16:17], v[122:123], v[16:17] op_sel_hi:[0,1]
	v_add_u32_e32 v5, 0x2168, v33
	v_pk_fma_f32 v[22:23], v[16:17], v[120:121], v[22:23]
	ds_read2_b32 v[16:17], v5 offset1:1
	v_mov_b32_e32 v123, 0
	s_waitcnt lgkmcnt(1)
	v_dot4c_i32_i8_e32 v123, v134, v8
	v_add_u32_e32 v120, 0x2170, v33
	v_add_u32_e32 v124, 0x2178, v33
	v_dot4c_i32_i8_e32 v123, v135, v9
	v_add_u32_e32 v5, 0x31e0, v33
	ds_read2_b32 v[120:121], v120 offset1:1
	ds_read2_b32 v[124:125], v124 offset1:1
	ds_read2_b32 v[126:127], v5 offset1:1
	s_waitcnt lgkmcnt(3)
	v_dot4c_i32_i8_e32 v123, v16, v10
	v_dot4c_i32_i8_e32 v123, v17, v11
	s_waitcnt lgkmcnt(2)
	v_dot4c_i32_i8_e32 v123, v120, v12
	v_dot4c_i32_i8_e32 v123, v121, v13
	s_waitcnt lgkmcnt(1)
	v_dot4c_i32_i8_e32 v123, v124, v14
	v_mov_b32_e32 v124, 0
	s_waitcnt lgkmcnt(0)
	v_dot4c_i32_i8_e32 v124, v126, v8
	v_add_u32_e32 v5, 0x31e8, v33
	v_dot4c_i32_i8_e32 v124, v127, v9
	ds_read2_b32 v[8:9], v5 offset1:1
	v_add_u32_e32 v5, 0x31f0, v33
	ds_read2_b32 v[16:17], v5 offset1:1
	v_add_u32_e32 v5, 0x31f8, v33
	ds_read2_b32 v[120:121], v5 offset1:1
	s_waitcnt lgkmcnt(2)
	v_dot4c_i32_i8_e32 v124, v8, v10
	v_dot4c_i32_i8_e32 v124, v9, v11
	s_waitcnt lgkmcnt(1)
	v_dot4c_i32_i8_e32 v124, v16, v12
	v_cvt_f32_i32_e32 v11, v137
	v_cvt_f32_i32_e32 v10, v136
	v_dot4c_i32_i8_e32 v124, v17, v13
	v_cvt_f32_i32_e32 v13, v141
	v_cvt_f32_i32_e32 v12, v140
	v_mov_b32_e32 v8, v6
	v_mov_b32_e32 v9, v18
	v_pk_mul_f32 v[8:9], v[2:3], v[8:9] op_sel_hi:[0,1]
	v_mov_b32_e32 v18, v7
	s_waitcnt lgkmcnt(0)
	v_dot4c_i32_i8_e32 v124, v120, v14
	v_pk_fma_f32 v[8:9], v[8:9], v[10:11], v[88:89]
	v_pk_mul_f32 v[2:3], v[2:3], v[18:19] op_sel:[1,0]
	v_dot4c_i32_i8_e32 v123, v125, v15
	v_dot4c_i32_i8_e32 v124, v121, v15
	v_pk_fma_f32 v[2:3], v[2:3], v[12:13], v[8:9]
	v_mov_b32_e32 v6, v20
	v_mov_b32_e32 v7, v96
	v_cvt_f32_i32_e32 v9, v145
	v_cvt_f32_i32_e32 v8, v144
	v_pk_mul_f32 v[4:5], v[4:5], v[6:7] op_sel_hi:[0,1]
	v_cvt_f32_i32_e32 v7, v124
	v_cvt_f32_i32_e32 v6, v123
	v_mov_b32_e32 v96, v21
	v_pk_fma_f32 v[2:3], v[4:5], v[8:9], v[2:3]
	v_pk_mul_f32 v[4:5], v[122:123], v[96:97] op_sel_hi:[0,1]
	v_pk_fma_f32 v[88:89], v[4:5], v[6:7], v[2:3]
	s_barrier
.LBB186_5:                              ;   in Loop: Header=BB186_6 Depth=1
	s_add_i32 s4, s4, 4
	s_addk_i32 s20, 0x80
	v_add_u32_e32 v98, 4, v98
	v_add_u32_e32 v99, 4, v99
	v_lshl_add_u64 v[58:59], v[58:59], 0, s[12:13]
	v_lshl_add_u64 v[60:61], v[60:61], 0, s[12:13]
	;; [unrolled: 1-line block ×17, first 2 shown]
	s_cmp_ge_i32 s4, s21
	v_lshl_add_u64 v[94:95], v[94:95], 0, s[12:13]
	s_cbranch_scc1 .LBB186_12
.LBB186_6:                              ; =>This Inner Loop Header: Depth=1
	v_lshl_add_u64 v[2:3], v[58:59], 0, s[18:19]
	global_load_dword v4, v[2:3], off
	v_lshl_add_u64 v[2:3], v[60:61], 0, s[18:19]
	global_load_dword v5, v[2:3], off
	;; [unrolled: 2-line block ×15, first 2 shown]
	v_lshl_add_u64 v[2:3], v[92:93], 0, s[18:19]
	global_load_ushort v19, v[2:3], off
	v_lshl_add_u64 v[2:3], v[94:95], 0, s[18:19]
	global_load_ushort v20, v[2:3], off
	v_lshl_add_u64 v[2:3], v[90:91], 0, s[18:19]
	global_load_dword v2, v[2:3], off
	s_cmp_lt_i32 s20, s5
	s_waitcnt vmcnt(17)
	ds_write_b32 v24, v4
	s_waitcnt vmcnt(16)
	ds_write_b32 v26, v5
	;; [unrolled: 2-line block ×14, first 2 shown]
	s_waitcnt vmcnt(2)
	v_cvt_f32_f16_e32 v3, v19
	s_waitcnt vmcnt(1)
	v_cvt_f32_f16_e32 v4, v20
	ds_write_b32 v52, v18
	s_waitcnt vmcnt(0)
	ds_write_b32 v54, v2
	ds_write_b32 v45, v3
	;; [unrolled: 1-line block ×3, first 2 shown]
	s_cbranch_scc0 .LBB186_5
; %bb.7:                                ;   in Loop: Header=BB186_6 Depth=1
	v_cmp_gt_i32_e64 s[2:3], s8, v99
	s_and_b64 s[22:23], s[0:1], s[2:3]
	s_and_saveexec_b64 s[2:3], s[22:23]
	s_cbranch_execz .LBB186_9
; %bb.8:                                ;   in Loop: Header=BB186_6 Depth=1
	v_add_u32_e32 v2, v43, v99
	v_mad_i64_i32 v[2:3], s[22:23], v2, 36, v[56:57]
	global_load_dword v2, v[2:3], off offset:4
	s_waitcnt vmcnt(0)
	ds_write_b32 v27, v2
.LBB186_9:                              ;   in Loop: Header=BB186_6 Depth=1
	s_or_b64 exec, exec, s[2:3]
	v_cmp_gt_i32_e64 s[2:3], s8, v98
	s_and_b64 s[2:3], s[0:1], s[2:3]
	s_and_b64 s[22:23], vcc, s[2:3]
	s_and_saveexec_b64 s[2:3], s[22:23]
	s_cbranch_execz .LBB186_4
; %bb.10:                               ;   in Loop: Header=BB186_6 Depth=1
	v_add_u32_e32 v2, v43, v98
	v_mad_i64_i32 v[2:3], s[22:23], v2, 36, s[14:15]
	global_load_dword v2, v[2:3], off
	s_waitcnt vmcnt(0)
	v_cvt_f32_f16_e32 v2, v2
	ds_write_b32 v29, v2
	s_branch .LBB186_4
.LBB186_11:
	v_mov_b32_e32 v89, v22
	v_mov_b32_e32 v88, v22
	;; [unrolled: 1-line block ×3, first 2 shown]
.LBB186_12:
	s_mul_i32 s0, s10, s7
	s_waitcnt vmcnt(0)
	v_cmp_gt_i32_e32 vcc, s0, v1
	s_and_saveexec_b64 s[0:1], vcc
	s_cbranch_execz .LBB186_21
; %bb.13:
	v_and_b32_e32 v0, 0x3ff, v0
	v_add_u32_e32 v2, s11, v0
	v_mul_lo_u32 v0, v1, s9
	v_cmp_gt_u32_e32 vcc, s9, v2
	s_and_saveexec_b64 s[0:1], vcc
	s_cbranch_execz .LBB186_15
; %bb.14:
	v_add_u32_e32 v4, v0, v2
	v_mov_b32_e32 v5, 0
	v_lshl_add_u64 v[4:5], v[4:5], 2, s[16:17]
	global_store_dword v[4:5], v22, off
.LBB186_15:
	s_or_b64 exec, exec, s[0:1]
	v_add_u32_e32 v1, 32, v2
	v_cmp_gt_u32_e32 vcc, s9, v1
	s_and_saveexec_b64 s[0:1], vcc
	s_cbranch_execz .LBB186_17
; %bb.16:
	v_add_u32_e32 v4, v0, v1
	v_mov_b32_e32 v5, 0
	v_lshl_add_u64 v[4:5], v[4:5], 2, s[16:17]
	global_store_dword v[4:5], v23, off
.LBB186_17:
	s_or_b64 exec, exec, s[0:1]
	v_add_u32_e32 v1, 64, v2
	;; [unrolled: 11-line block ×3, first 2 shown]
	v_cmp_gt_u32_e32 vcc, s9, v1
	s_and_b64 exec, exec, vcc
	s_cbranch_execz .LBB186_21
; %bb.20:
	v_add_u32_e32 v0, v0, v1
	v_mov_b32_e32 v1, 0
	v_lshl_add_u64 v[0:1], v[0:1], 2, s[16:17]
	global_store_dword v[0:1], v89, off
.LBB186_21:
	s_endpgm
	.section	.rodata,"a",@progbits
	.p2align	6, 0x0
	.amdhsa_kernel _ZL8moe_q8_0IfLb1EEvPKvS1_PT_PKiS5_S5_iiiiiii
		.amdhsa_group_segment_fixed_size 20160
		.amdhsa_private_segment_fixed_size 0
		.amdhsa_kernarg_size 76
		.amdhsa_user_sgpr_count 2
		.amdhsa_user_sgpr_dispatch_ptr 0
		.amdhsa_user_sgpr_queue_ptr 0
		.amdhsa_user_sgpr_kernarg_segment_ptr 1
		.amdhsa_user_sgpr_dispatch_id 0
		.amdhsa_user_sgpr_kernarg_preload_length 0
		.amdhsa_user_sgpr_kernarg_preload_offset 0
		.amdhsa_user_sgpr_private_segment_size 0
		.amdhsa_uses_dynamic_stack 0
		.amdhsa_enable_private_segment 0
		.amdhsa_system_sgpr_workgroup_id_x 1
		.amdhsa_system_sgpr_workgroup_id_y 1
		.amdhsa_system_sgpr_workgroup_id_z 0
		.amdhsa_system_sgpr_workgroup_info 0
		.amdhsa_system_vgpr_workitem_id 1
		.amdhsa_next_free_vgpr 148
		.amdhsa_next_free_sgpr 24
		.amdhsa_accum_offset 148
		.amdhsa_reserve_vcc 1
		.amdhsa_float_round_mode_32 0
		.amdhsa_float_round_mode_16_64 0
		.amdhsa_float_denorm_mode_32 3
		.amdhsa_float_denorm_mode_16_64 3
		.amdhsa_dx10_clamp 1
		.amdhsa_ieee_mode 1
		.amdhsa_fp16_overflow 0
		.amdhsa_tg_split 0
		.amdhsa_exception_fp_ieee_invalid_op 0
		.amdhsa_exception_fp_denorm_src 0
		.amdhsa_exception_fp_ieee_div_zero 0
		.amdhsa_exception_fp_ieee_overflow 0
		.amdhsa_exception_fp_ieee_underflow 0
		.amdhsa_exception_fp_ieee_inexact 0
		.amdhsa_exception_int_div_zero 0
	.end_amdhsa_kernel
	.section	.text._ZL8moe_q8_0IfLb1EEvPKvS1_PT_PKiS5_S5_iiiiiii,"axG",@progbits,_ZL8moe_q8_0IfLb1EEvPKvS1_PT_PKiS5_S5_iiiiiii,comdat
.Lfunc_end186:
	.size	_ZL8moe_q8_0IfLb1EEvPKvS1_PT_PKiS5_S5_iiiiiii, .Lfunc_end186-_ZL8moe_q8_0IfLb1EEvPKvS1_PT_PKiS5_S5_iiiiiii
                                        ; -- End function
	.section	.AMDGPU.csdata,"",@progbits
; Kernel info:
; codeLenInByte = 4884
; NumSgprs: 30
; NumVgprs: 148
; NumAgprs: 0
; TotalNumVgprs: 148
; ScratchSize: 0
; MemoryBound: 0
; FloatMode: 240
; IeeeMode: 1
; LDSByteSize: 20160 bytes/workgroup (compile time only)
; SGPRBlocks: 3
; VGPRBlocks: 18
; NumSGPRsForWavesPerEU: 30
; NumVGPRsForWavesPerEU: 148
; AccumOffset: 148
; Occupancy: 3
; WaveLimiterHint : 1
; COMPUTE_PGM_RSRC2:SCRATCH_EN: 0
; COMPUTE_PGM_RSRC2:USER_SGPR: 2
; COMPUTE_PGM_RSRC2:TRAP_HANDLER: 0
; COMPUTE_PGM_RSRC2:TGID_X_EN: 1
; COMPUTE_PGM_RSRC2:TGID_Y_EN: 1
; COMPUTE_PGM_RSRC2:TGID_Z_EN: 0
; COMPUTE_PGM_RSRC2:TIDIG_COMP_CNT: 1
; COMPUTE_PGM_RSRC3_GFX90A:ACCUM_OFFSET: 36
; COMPUTE_PGM_RSRC3_GFX90A:TG_SPLIT: 0
	.section	.text._ZL8moe_q2_KIfLb0EEvPKvS1_PT_PKiS5_S5_iiiiiii,"axG",@progbits,_ZL8moe_q2_KIfLb0EEvPKvS1_PT_PKiS5_S5_iiiiiii,comdat
	.globl	_ZL8moe_q2_KIfLb0EEvPKvS1_PT_PKiS5_S5_iiiiiii ; -- Begin function _ZL8moe_q2_KIfLb0EEvPKvS1_PT_PKiS5_S5_iiiiiii
	.p2align	8
	.type	_ZL8moe_q2_KIfLb0EEvPKvS1_PT_PKiS5_S5_iiiiiii,@function
_ZL8moe_q2_KIfLb0EEvPKvS1_PT_PKiS5_S5_iiiiiii: ; @_ZL8moe_q2_KIfLb0EEvPKvS1_PT_PKiS5_S5_iiiiiii
; %bb.0:
	s_load_dwordx4 s[4:7], s[0:1], 0x18
	s_mov_b32 s8, s3
	s_mov_b32 s9, 0
	s_lshl_b64 s[10:11], s[8:9], 2
	s_waitcnt lgkmcnt(0)
	s_add_u32 s6, s6, s10
	s_addc_u32 s7, s7, s11
	s_load_dword s3, s[6:7], 0x0
	s_waitcnt lgkmcnt(0)
	s_cmpk_gt_u32 s3, 0xff
	s_cbranch_scc1 .LBB187_47
; %bb.1:
	s_load_dwordx2 s[6:7], s[0:1], 0x28
	s_waitcnt lgkmcnt(0)
	s_load_dword s7, s[6:7], 0x0
	s_lshl_b32 s6, s8, 3
	s_waitcnt lgkmcnt(0)
	s_cmp_gt_u32 s6, s7
	s_cbranch_scc1 .LBB187_47
; %bb.2:
	v_bfe_u32 v2, v0, 10, 10
	v_mov_b32_e32 v4, s4
	v_mov_b32_e32 v5, s5
	v_add_u32_e32 v10, s6, v2
	v_mov_b32_e32 v11, 0
	v_lshl_add_u64 v[4:5], v[10:11], 2, v[4:5]
	global_load_dword v1, v[4:5], off
	s_load_dwordx2 s[12:13], s[0:1], 0x10
	s_load_dwordx2 s[14:15], s[0:1], 0x30
	s_load_dwordx4 s[4:7], s[0:1], 0x3c
	s_mov_b32 s16, 0
	s_lshl_b32 s24, s2, 7
	s_mov_b32 s17, s16
	s_waitcnt lgkmcnt(0)
	s_cmpk_lt_i32 s15, 0x100
	v_mov_b64_e32 v[64:65], s[16:17]
	v_mov_b64_e32 v[66:67], s[16:17]
	s_cbranch_scc1 .LBB187_38
; %bb.3:
	s_load_dwordx4 s[8:11], s[0:1], 0x0
	s_ashr_i32 s0, s15, 31
	s_lshr_b32 s0, s0, 24
	s_add_i32 s0, s15, s0
	s_ashr_i32 s25, s0, 8
	s_ashr_i32 s0, s5, 31
	s_lshr_b32 s0, s0, 27
	s_add_i32 s0, s5, s0
	s_mul_i32 s3, s3, s14
	s_ashr_i32 s5, s0, 5
	s_ashr_i32 s0, s3, 31
	s_waitcnt lgkmcnt(0)
	s_add_u32 s1, s8, s3
	s_mul_i32 s2, s25, s24
	s_addc_u32 s0, s9, s0
	s_mul_hi_i32 s3, s2, 0x54
	s_mulk_i32 s2, 0x54
	s_add_u32 s26, s1, s2
	s_addc_u32 s27, s0, s3
	s_lshl_b32 s1, s25, 3
	v_mov_b32_e32 v4, s1
	v_mad_i32_i24 v16, s25, v2, v4
	v_add_u32_e32 v18, s1, v16
	v_add_u32_e32 v20, s1, v18
	;; [unrolled: 1-line block ×9, first 2 shown]
	v_and_b32_e32 v13, 0x3ff, v0
	v_add_u32_e32 v36, s1, v34
	v_add_u32_e32 v38, s1, v36
	v_lshlrev_b32_e32 v6, 4, v2
	v_lshrrev_b32_e32 v4, 1, v13
	v_add_u32_e32 v40, s1, v38
	v_and_b32_e32 v46, 1, v13
	v_add_u32_e32 v4, v4, v6
	v_add_u32_e32 v42, s1, v40
	v_and_b32_e32 v5, 0x7f, v4
	v_lshlrev_b32_e32 v7, 2, v46
	v_lshrrev_b32_e32 v4, 2, v4
	v_add_u32_e32 v44, s1, v42
	v_mul_i32_i24_e32 v48, s25, v5
	v_lshl_or_b32 v5, v5, 3, v7
	v_and_b32_e32 v4, 28, v4
	s_movk_i32 s1, 0x5280
	v_lshlrev_b32_e32 v7, 2, v2
	v_lshrrev_b32_e32 v49, 3, v13
	v_add3_u32 v47, v5, v4, s1
	v_add_u32_e32 v4, v49, v7
	s_lshl_b32 s3, s25, 5
	v_and_b32_e32 v5, 7, v13
	v_add_u32_e32 v51, 32, v4
	v_mov_b32_e32 v55, s3
	v_cmp_lt_u32_e32 vcc, 3, v5
	v_mul_i32_i24_e32 v54, s25, v4
	v_and_b32_e32 v8, 0x1ffc, v4
	v_lshlrev_b32_e32 v5, 2, v5
	s_movk_i32 s2, 0x4200
	v_lshlrev_b32_e32 v9, 5, v4
	v_mad_i32_i24 v56, s25, v4, v55
	v_and_b32_e32 v55, 0x3ffc, v51
	v_lshlrev_b32_e32 v65, 5, v51
	v_add_u32_e32 v51, 64, v4
	v_add_u32_e32 v4, 0x60, v4
	v_lshlrev_b32_e32 v3, 2, v13
	s_movk_i32 s0, 0x84
	v_add3_u32 v64, v55, v5, s2
	v_and_b32_e32 v55, 0x3ffc, v51
	v_lshlrev_b32_e32 v96, 5, v51
	v_and_b32_e32 v51, 0x3ffc, v4
	v_mul_i32_i24_e32 v14, s25, v2
	v_mad_u32_u24 v15, v2, s0, v3
	v_add3_u32 v97, v51, v5, s2
	v_and_b32_e32 v51, 31, v13
	v_lshlrev_b32_e32 v2, 7, v2
	v_and_b32_e32 v10, 60, v3
	v_and_b32_e32 v52, 12, v3
	v_add3_u32 v8, v8, v5, s2
	v_add3_u32 v70, v55, v5, s2
	v_lshlrev_b32_e32 v98, 5, v4
	v_and_b32_e32 v4, 28, v3
	v_mov_b32_e32 v5, v11
	v_lshl_or_b32 v3, v51, 2, v2
	v_lshrrev_b32_e32 v12, 4, v13
	v_lshl_add_u64 v[62:63], s[10:11], 0, v[4:5]
	v_add_u32_e32 v51, 0x56a0, v3
	v_or_b32_e32 v3, v7, v13
	v_mov_b32_e32 v4, 0x5aa0
	v_lshl_add_u32 v55, v3, 2, v4
	v_lshlrev_b32_e32 v3, 3, v13
	v_lshlrev_b32_e32 v59, 2, v12
	v_add_u32_e32 v4, 32, v13
	v_add3_u32 v59, v59, v3, s1
	v_mov_b32_e32 v3, 0x1080
	v_mad_u32_u24 v61, v13, s0, v3
	v_lshrrev_b32_e32 v3, 2, v4
	v_lshlrev_b32_e32 v5, 3, v4
	v_and_b32_e32 v3, 0x7c, v3
	v_add_u32_e32 v7, 64, v13
	v_add3_u32 v71, v5, v3, s1
	v_mov_b32_e32 v3, 0x2100
	v_mad_u32_u24 v72, v13, s0, v3
	v_lshrrev_b32_e32 v3, 2, v7
	s_abs_i32 s2, s7
	v_lshlrev_b32_e32 v66, 3, v7
	v_and_b32_e32 v3, 0x7c, v3
	v_cvt_f32_u32_e32 v5, s2
	v_add_u32_e32 v67, 0x60, v13
	v_add3_u32 v73, v66, v3, s1
	v_mov_b32_e32 v3, 0x3180
	v_mad_u32_u24 v74, v13, s0, v3
	v_lshrrev_b32_e32 v3, 2, v67
	v_lshlrev_b32_e32 v68, 3, v67
	v_and_b32_e32 v3, 0x7c, v3
	v_add3_u32 v75, v68, v3, s1
	v_rcp_iflag_f32_e32 v3, v5
	s_sub_i32 s0, 0, s2
	s_waitcnt vmcnt(0)
	v_sub_u32_e32 v66, 0, v1
	v_max_i32_e32 v66, v1, v66
	v_mul_f32_e32 v3, 0x4f7ffffe, v3
	v_cvt_u32_f32_e32 v3, v3
	v_xor_b32_e32 v5, s7, v1
	s_add_u32 s8, s10, 0x90
	v_ashrrev_i32_e32 v5, 31, v5
	v_mul_lo_u32 v68, s0, v3
	v_mul_hi_u32 v68, v3, v68
	v_add_u32_e32 v3, v3, v68
	v_mul_hi_u32 v3, v66, v3
	v_mul_lo_u32 v68, v3, s2
	v_sub_u32_e32 v66, v66, v68
	v_add_u32_e32 v68, 1, v3
	v_cmp_le_u32_e64 s[0:1], s2, v66
	s_addc_u32 s9, s11, 0
	s_add_u32 s18, s10, 0x120
	v_cndmask_b32_e64 v3, v3, v68, s[0:1]
	v_subrev_u32_e32 v68, s2, v66
	v_cndmask_b32_e64 v66, v66, v68, s[0:1]
	v_add_u32_e32 v68, 1, v3
	v_cmp_le_u32_e64 s[0:1], s2, v66
	s_addc_u32 s19, s11, 0
	v_add_u32_e32 v58, s3, v56
	v_cndmask_b32_e64 v3, v3, v68, s[0:1]
	v_xor_b32_e32 v3, v3, v5
	v_sub_u32_e32 v3, v3, v5
	v_lshrrev_b32_e32 v78, 3, v67
	v_mul_lo_u32 v68, v3, s5
	s_add_u32 s20, s10, 0x1b0
	v_and_b32_e32 v79, 0x1fc, v67
	v_lshlrev_b32_e32 v80, 5, v13
	v_and_b32_e32 v81, 0x1fc, v7
	v_and_b32_e32 v82, 0x1fc, v4
	;; [unrolled: 1-line block ×3, first 2 shown]
	v_mov_b64_e32 v[66:67], s[16:17]
	s_movk_i32 s14, 0x54
	v_add_u32_e32 v17, 0x420, v15
	v_add_u32_e32 v19, 0x840, v15
	;; [unrolled: 1-line block ×15, first 2 shown]
	v_cndmask_b32_e64 v50, 0, 1, vcc
	v_mov_b32_e32 v53, v11
	v_add_u32_e32 v60, s3, v58
	v_cmp_gt_u32_e32 vcc, 4, v13
	v_mul_u32_u24_e32 v57, 0x84, v13
	v_lshrrev_b32_e32 v76, 3, v4
	v_lshrrev_b32_e32 v77, 3, v7
	v_cmp_gt_i32_e64 s[0:1], s4, v3
	v_ashrrev_i32_e32 v69, 31, v68
	s_addc_u32 s21, s11, 0
	v_add_u32_e32 v84, 0x56a0, v2
	v_add_u32_e32 v85, 0x5aa0, v6
	;; [unrolled: 1-line block ×14, first 2 shown]
	s_mov_b32 s17, 0x1010101
	v_mov_b32_e32 v98, 4
	v_mov_b32_e32 v99, 15
	v_mov_b64_e32 v[64:65], v[66:67]
	s_branch .LBB187_5
.LBB187_4:                              ;   in Loop: Header=BB187_5 Depth=1
	s_add_i32 s16, s16, 2
	s_cmp_ge_i32 s16, s25
	s_cbranch_scc1 .LBB187_38
.LBB187_5:                              ; =>This Loop Header: Depth=1
                                        ;     Child Loop BB187_12 Depth 2
                                        ;     Child Loop BB187_20 Depth 2
	;; [unrolled: 1-line block ×4, first 2 shown]
	s_mul_i32 s2, s16, 0x54
	s_mul_hi_u32 s3, s16, 0x54
	s_add_u32 s2, s26, s2
	s_addc_u32 s3, s27, s3
	v_mov_b64_e32 v[2:3], s[2:3]
	v_mad_u64_u32 v[4:5], s[2:3], v12, s14, v[2:3]
	v_lshl_add_u64 v[4:5], v[4:5], 0, v[10:11]
	v_lshl_add_u64 v[4:5], v[4:5], 0, 16
	v_mad_u64_u32 v[6:7], s[2:3], v14, s14, v[4:5]
	v_mad_u64_u32 v[8:9], s[2:3], v16, s14, v[4:5]
	;; [unrolled: 1-line block ×8, first 2 shown]
	global_load_dword v70, v[6:7], off
	global_load_dword v112, v[8:9], off
	global_load_dword v113, v[100:101], off
	global_load_dword v114, v[102:103], off
	global_load_dword v115, v[104:105], off
	global_load_dword v116, v[106:107], off
	global_load_dword v117, v[108:109], off
	global_load_dword v118, v[110:111], off
	v_mad_u64_u32 v[6:7], s[2:3], v30, s14, v[4:5]
	v_mad_u64_u32 v[8:9], s[2:3], v32, s14, v[4:5]
	;; [unrolled: 1-line block ×8, first 2 shown]
	global_load_dword v110, v[6:7], off
	global_load_dword v111, v[8:9], off
	;; [unrolled: 1-line block ×8, first 2 shown]
	v_mad_u64_u32 v[4:5], s[2:3], v48, s14, v[2:3]
	v_mad_u64_u32 v[2:3], s[2:3], v50, s14, v[2:3]
	v_lshl_add_u64 v[2:3], v[2:3], 0, v[52:53]
	v_mad_u64_u32 v[4:5], s[2:3], v46, s14, v[4:5]
	v_mad_u64_u32 v[6:7], s[2:3], v54, s14, v[2:3]
	;; [unrolled: 1-line block ×5, first 2 shown]
	global_load_dword v102, v[4:5], off offset:80
	global_load_dword v103, v[6:7], off
	global_load_dword v104, v[8:9], off
	;; [unrolled: 1-line block ×3, first 2 shown]
	s_lshl_b32 s29, s16, 8
	global_load_dword v2, v[2:3], off
	s_cmp_lt_i32 s29, s15
	s_waitcnt vmcnt(20)
	ds_write_b32 v15, v70
	s_waitcnt vmcnt(19)
	ds_write_b32 v17, v112
	;; [unrolled: 2-line block ×21, first 2 shown]
	s_cbranch_scc0 .LBB187_4
; %bb.6:                                ;   in Loop: Header=BB187_5 Depth=1
	s_lshl_b32 s28, s16, 3
	v_add_u32_e32 v2, s28, v49
	v_cmp_gt_i32_e64 s[2:3], s5, v2
	s_and_b64 s[22:23], s[0:1], s[2:3]
	s_and_saveexec_b64 s[2:3], s[22:23]
	s_cbranch_execz .LBB187_8
; %bb.7:                                ;   in Loop: Header=BB187_5 Depth=1
	v_add_u32_e32 v2, v68, v2
	v_mad_i64_i32 v[2:3], s[22:23], v2, 36, v[62:63]
	global_load_dword v2, v[2:3], off offset:4
	s_waitcnt vmcnt(0)
	ds_write_b32 v51, v2
.LBB187_8:                              ;   in Loop: Header=BB187_5 Depth=1
	s_or_b64 exec, exec, s[2:3]
	s_and_saveexec_b64 s[22:23], vcc
	s_cbranch_execz .LBB187_11
; %bb.9:                                ;   in Loop: Header=BB187_5 Depth=1
	v_or_b32_e32 v2, s28, v13
	v_cmp_gt_i32_e64 s[2:3], s5, v2
	s_and_b64 s[2:3], s[0:1], s[2:3]
	s_and_b64 exec, exec, s[2:3]
	s_cbranch_execz .LBB187_11
; %bb.10:                               ;   in Loop: Header=BB187_5 Depth=1
	v_add_u32_e32 v2, v68, v2
	v_mad_i64_i32 v[2:3], s[2:3], v2, 36, s[10:11]
	global_load_dword v2, v[2:3], off
	s_waitcnt vmcnt(0)
	v_cvt_f32_f16_e32 v2, v2
	ds_write_b32 v55, v2
.LBB187_11:                             ;   in Loop: Header=BB187_5 Depth=1
	s_or_b64 exec, exec, s[22:23]
	s_mov_b32 s2, 0
	s_mov_b32 s3, -2
	v_mov_b32_e32 v100, v85
	v_mov_b32_e32 v101, v84
	s_waitcnt lgkmcnt(0)
	s_barrier
.LBB187_12:                             ;   Parent Loop BB187_5 Depth=1
                                        ; =>  This Inner Loop Header: Depth=2
	s_and_b32 s23, s2, -16
	s_add_i32 s22, s3, 2
	v_add_u32_e32 v102, s23, v80
	s_and_b32 s23, s22, 0x3ffffff8
	s_lshr_b32 s30, s22, 2
	s_lshl_b32 s23, s23, 2
	s_and_b32 s30, s30, 0x3ffffffc
	v_add3_u32 v114, v83, s3, v102
	v_add3_u32 v118, v82, s3, v102
	;; [unrolled: 1-line block ×4, first 2 shown]
	v_add_u32_e32 v108, s23, v57
	v_add_u32_e32 v115, s30, v59
	;; [unrolled: 1-line block ×8, first 2 shown]
	ds_read_b32 v70, v100
	ds_read_b128 v[6:9], v101
	ds_read_b128 v[2:5], v101 offset:16
	ds_read2_b32 v[102:103], v108 offset1:1
	ds_read2_b32 v[104:105], v108 offset0:2 offset1:3
	ds_read2_b32 v[106:107], v108 offset0:4 offset1:5
	;; [unrolled: 1-line block ×3, first 2 shown]
	ds_read2_b32 v[110:111], v116 offset1:1
	ds_read2_b32 v[112:113], v116 offset0:2 offset1:3
	ds_read_b32 v148, v115
	ds_read_u16 v149, v114 offset:16898
	ds_read2_b32 v[114:115], v116 offset0:4 offset1:5
	ds_read2_b32 v[116:117], v116 offset0:6 offset1:7
	ds_read_b32 v150, v119
	ds_read_u16 v151, v118 offset:17922
	ds_read2_b32 v[118:119], v124 offset1:1
	ds_read2_b32 v[120:121], v124 offset0:2 offset1:3
	ds_read2_b32 v[122:123], v124 offset0:4 offset1:5
	;; [unrolled: 1-line block ×3, first 2 shown]
	ds_read2_b32 v[126:127], v132 offset1:1
	ds_read2_b32 v[128:129], v132 offset0:2 offset1:3
	ds_read_b32 v152, v131
	ds_read_u16 v153, v130 offset:18946
	ds_read2_b32 v[130:131], v132 offset0:4 offset1:5
	ds_read2_b32 v[132:133], v132 offset0:6 offset1:7
	ds_read_b32 v147, v147
	ds_read_u16 v146, v146 offset:19970
	s_waitcnt lgkmcnt(14)
	v_ashrrev_i32_e32 v154, s22, v102
	v_ashrrev_i32_e32 v155, s22, v103
	;; [unrolled: 1-line block ×8, first 2 shown]
	v_bfe_u32 v162, v149, 4, 4
	v_lshrrev_b32_sdwa v164, v98, v149 dst_sel:DWORD dst_unused:UNUSED_PAD src0_sel:DWORD src1_sel:BYTE_1
	s_waitcnt lgkmcnt(12)
	v_bfe_u32 v165, v151, 4, 4
	v_lshrrev_b32_sdwa v167, v98, v151 dst_sel:DWORD dst_unused:UNUSED_PAD src0_sel:DWORD src1_sel:BYTE_1
	v_cvt_f32_f16_e32 v102, v148
	v_cvt_f32_f16_sdwa v104, v148 dst_sel:DWORD dst_unused:UNUSED_PAD src0_sel:WORD_1
	s_waitcnt lgkmcnt(4)
	v_bfe_u32 v148, v153, 4, 4
	s_waitcnt lgkmcnt(0)
	v_bfe_u32 v169, v146, 4, 4
	v_mov_b32_e32 v135, 0
	v_mov_b32_e32 v138, 0
	v_mov_b32_e32 v141, 0
	v_mov_b32_e32 v144, 0
	v_cvt_f32_f16_e32 v107, v147
	v_cvt_f32_f16_e32 v106, v152
	v_cvt_f32_f16_sdwa v109, v147 dst_sel:DWORD dst_unused:UNUSED_PAD src0_sel:WORD_1
	v_cvt_f32_f16_sdwa v108, v152 dst_sel:DWORD dst_unused:UNUSED_PAD src0_sel:WORD_1
	v_and_b32_e32 v147, 0x3030303, v154
	v_and_b32_e32 v152, 0x3030303, v155
	;; [unrolled: 1-line block ×8, first 2 shown]
	v_mul_lo_u32 v160, v162, s17
	v_mul_lo_u32 v161, v164, s17
	;; [unrolled: 1-line block ×6, first 2 shown]
	v_ashrrev_i32_e32 v110, s22, v110
	v_ashrrev_i32_e32 v126, s22, v126
	v_dot4c_i32_i8_e32 v135, v160, v6
	v_dot4c_i32_i8_e32 v138, v162, v6
	;; [unrolled: 1-line block ×4, first 2 shown]
	v_mov_b32_e32 v137, 0
	v_mov_b32_e32 v143, 0
	v_ashrrev_i32_e32 v111, s22, v111
	v_ashrrev_i32_e32 v114, s22, v114
	v_ashrrev_i32_e32 v118, s22, v118
	v_ashrrev_i32_e32 v127, s22, v127
	v_ashrrev_i32_e32 v130, s22, v130
	v_and_b32_e32 v110, 0x3030303, v110
	v_and_b32_e32 v126, 0x3030303, v126
	v_dot4c_i32_i8_e32 v135, v160, v7
	v_dot4c_i32_i8_e32 v138, v162, v7
	;; [unrolled: 1-line block ×4, first 2 shown]
	v_mov_b32_e32 v134, 0
	v_mov_b32_e32 v139, 0
	;; [unrolled: 1-line block ×4, first 2 shown]
	v_ashrrev_i32_e32 v112, s22, v112
	v_ashrrev_i32_e32 v115, s22, v115
	;; [unrolled: 1-line block ×4, first 2 shown]
	v_lshrrev_b32_sdwa v168, v98, v153 dst_sel:DWORD dst_unused:UNUSED_PAD src0_sel:DWORD src1_sel:BYTE_1
	v_ashrrev_i32_e32 v128, s22, v128
	v_ashrrev_i32_e32 v131, s22, v131
	v_lshrrev_b32_sdwa v171, v98, v146 dst_sel:DWORD dst_unused:UNUSED_PAD src0_sel:DWORD src1_sel:BYTE_1
	v_and_b32_e32 v111, 0x3030303, v111
	v_and_b32_e32 v114, 0x3030303, v114
	;; [unrolled: 1-line block ×5, first 2 shown]
	v_dot4c_i32_i8_e32 v137, v110, v6
	v_dot4c_i32_i8_e32 v143, v126, v6
	;; [unrolled: 1-line block ×6, first 2 shown]
	v_mov_b32_e32 v136, 0
	v_mov_b32_e32 v142, 0
	v_ashrrev_i32_e32 v113, s22, v113
	v_ashrrev_i32_e32 v116, s22, v116
	;; [unrolled: 1-line block ×6, first 2 shown]
	v_and_b32_e32 v112, 0x3030303, v112
	v_and_b32_e32 v115, 0x3030303, v115
	v_and_b32_e32 v119, 0x3030303, v119
	v_and_b32_e32 v122, 0x3030303, v122
	v_mul_lo_u32 v165, v168, s17
	v_and_b32_e32 v128, 0x3030303, v128
	v_and_b32_e32 v131, 0x3030303, v131
	v_mul_lo_u32 v168, v171, s17
	v_dot4c_i32_i8_e32 v134, v147, v6
	v_dot4c_i32_i8_e32 v139, v114, v2
	;; [unrolled: 1-line block ×10, first 2 shown]
	v_ashrrev_i32_e32 v117, s22, v117
	v_ashrrev_i32_e32 v121, s22, v121
	;; [unrolled: 1-line block ×4, first 2 shown]
	v_and_b32_e32 v113, 0x3030303, v113
	v_and_b32_e32 v116, 0x3030303, v116
	;; [unrolled: 1-line block ×6, first 2 shown]
	v_dot4c_i32_i8_e32 v136, v156, v2
	v_dot4c_i32_i8_e32 v142, v122, v2
	;; [unrolled: 1-line block ×12, first 2 shown]
	v_and_b32_e32 v166, 15, v151
	v_ashrrev_i32_e32 v125, s22, v125
	v_and_b32_e32 v170, 15, v146
	v_and_b32_e32 v117, 0x3030303, v117
	v_and_b32_e32 v121, 0x3030303, v121
	v_and_b32_e32 v124, 0x3030303, v124
	v_and_b32_e32 v133, 0x3030303, v133
	v_dot4c_i32_i8_e32 v136, v157, v3
	v_dot4c_i32_i8_e32 v142, v123, v3
	;; [unrolled: 1-line block ×12, first 2 shown]
	s_add_i32 s2, s2, 2
	v_and_b32_e32 v163, 15, v149
	v_and_b32_sdwa v151, v151, v99 dst_sel:DWORD dst_unused:UNUSED_PAD src0_sel:BYTE_1 src1_sel:DWORD
	v_cvt_f32_f16_e32 v103, v150
	v_cvt_f32_f16_sdwa v105, v150 dst_sel:DWORD dst_unused:UNUSED_PAD src0_sel:WORD_1
	v_and_b32_e32 v150, 15, v153
	v_and_b32_sdwa v146, v146, v99 dst_sel:DWORD dst_unused:UNUSED_PAD src0_sel:BYTE_1 src1_sel:DWORD
	v_and_b32_e32 v125, 0x3030303, v125
	v_dot4c_i32_i8_e32 v136, v158, v4
	v_dot4c_i32_i8_e32 v142, v124, v4
	;; [unrolled: 1-line block ×6, first 2 shown]
	v_mul_lo_u32 v8, v166, v137
	v_mul_lo_u32 v112, v170, v143
	v_dot4c_i32_i8_e32 v135, v161, v4
	v_dot4c_i32_i8_e32 v138, v164, v4
	;; [unrolled: 1-line block ×4, first 2 shown]
	s_mov_b32 s3, s22
	s_cmp_lt_u32 s22, 6
	v_and_b32_sdwa v149, v149, v99 dst_sel:DWORD dst_unused:UNUSED_PAD src0_sel:BYTE_1 src1_sel:DWORD
	v_and_b32_sdwa v153, v153, v99 dst_sel:DWORD dst_unused:UNUSED_PAD src0_sel:BYTE_1 src1_sel:DWORD
	v_dot4c_i32_i8_e32 v136, v159, v5
	v_dot4c_i32_i8_e32 v142, v125, v5
	v_mul_lo_u32 v6, v163, v134
	v_mul_lo_u32 v110, v150, v140
	v_mad_u64_u32 v[8:9], s[22:23], v151, v139, v[8:9]
	v_mad_u64_u32 v[2:3], s[22:23], v146, v145, v[112:113]
	v_dot4c_i32_i8_e32 v135, v161, v5
	v_dot4c_i32_i8_e32 v138, v164, v5
	;; [unrolled: 1-line block ×4, first 2 shown]
	v_mad_u64_u32 v[6:7], s[22:23], v149, v136, v[6:7]
	v_mad_u64_u32 v[110:111], s[22:23], v153, v142, v[110:111]
	v_cvt_f32_i32_e32 v9, v2
	v_cvt_f32_i32_e32 v3, v138
	;; [unrolled: 1-line block ×8, first 2 shown]
	v_pk_mul_f32 v[2:3], v[104:105], v[2:3]
	v_pk_mul_f32 v[4:5], v[108:109], v[4:5]
	v_pk_fma_f32 v[2:3], v[6:7], v[102:103], v[2:3] neg_lo:[0,0,1] neg_hi:[0,0,1]
	v_pk_fma_f32 v[4:5], v[8:9], v[106:107], v[4:5] neg_lo:[0,0,1] neg_hi:[0,0,1]
	v_add_u32_e32 v101, 32, v101
	v_add_u32_e32 v100, 4, v100
	v_pk_fma_f32 v[66:67], v[70:71], v[2:3], v[66:67] op_sel_hi:[0,1,1]
	v_pk_fma_f32 v[64:65], v[70:71], v[4:5], v[64:65] op_sel_hi:[0,1,1]
	s_cbranch_scc1 .LBB187_12
; %bb.13:                               ;   in Loop: Header=BB187_5 Depth=1
	s_or_b32 s2, s29, 0x80
	s_cmp_ge_i32 s2, s15
	s_barrier
	s_cbranch_scc1 .LBB187_4
; %bb.14:                               ;   in Loop: Header=BB187_5 Depth=1
	v_add_u32_e32 v2, s28, v76
	v_cmp_gt_i32_e64 s[2:3], s5, v2
	s_and_b64 s[22:23], s[0:1], s[2:3]
	s_and_saveexec_b64 s[2:3], s[22:23]
	s_cbranch_execz .LBB187_16
; %bb.15:                               ;   in Loop: Header=BB187_5 Depth=1
	v_add_u32_e32 v2, v68, v2
	v_mad_i64_i32 v[2:3], s[22:23], v2, 36, v[62:63]
	global_load_dword v2, v[2:3], off offset:4
	s_waitcnt vmcnt(0)
	ds_write_b32 v51, v2
.LBB187_16:                             ;   in Loop: Header=BB187_5 Depth=1
	s_or_b64 exec, exec, s[2:3]
	s_and_saveexec_b64 s[22:23], vcc
	s_cbranch_execz .LBB187_19
; %bb.17:                               ;   in Loop: Header=BB187_5 Depth=1
	v_or_b32_e32 v2, s28, v13
	v_or_b32_e32 v3, 4, v2
	v_cmp_gt_i32_e64 s[2:3], s5, v3
	s_and_b64 s[2:3], s[0:1], s[2:3]
	s_and_b64 exec, exec, s[2:3]
	s_cbranch_execz .LBB187_19
; %bb.18:                               ;   in Loop: Header=BB187_5 Depth=1
	v_ashrrev_i32_e32 v3, 31, v2
	v_lshl_add_u64 v[2:3], v[68:69], 0, v[2:3]
	v_mad_u64_u32 v[4:5], s[2:3], v2, 36, s[8:9]
	v_mad_i32_i24 v5, v3, 36, v5
	global_load_dword v2, v[4:5], off
	s_waitcnt vmcnt(0)
	v_cvt_f32_f16_e32 v2, v2
	ds_write_b32 v55, v2
.LBB187_19:                             ;   in Loop: Header=BB187_5 Depth=1
	s_or_b64 exec, exec, s[22:23]
	s_mov_b32 s2, 8
	s_mov_b32 s3, 0
	v_mov_b32_e32 v100, v84
	v_mov_b32_e32 v101, v85
	s_waitcnt lgkmcnt(0)
	s_barrier
.LBB187_20:                             ;   Parent Loop BB187_5 Depth=1
                                        ; =>  This Inner Loop Header: Depth=2
	s_add_i32 s22, s3, 8
	s_and_b32 s23, s2, -16
	v_add_u32_e32 v102, s3, v80
	s_and_b32 s30, s22, 0x3ffffff8
	s_lshr_b32 s31, s22, 2
	v_add3_u32 v114, v89, s23, v102
	v_add3_u32 v118, v88, s23, v102
	;; [unrolled: 1-line block ×4, first 2 shown]
	s_lshl_b32 s23, s30, 2
	s_and_b32 s30, s31, 0x3ffffffc
	v_add_u32_e32 v108, s23, v57
	v_add_u32_e32 v115, s30, v59
	v_add_u32_e32 v116, s23, v61
	v_add_u32_e32 v119, s30, v71
	v_add_u32_e32 v124, s23, v72
	v_add_u32_e32 v131, s30, v73
	v_add_u32_e32 v132, s23, v74
	v_add_u32_e32 v147, s30, v75
	ds_read_b32 v70, v101
	ds_read_b128 v[6:9], v100
	ds_read_b128 v[2:5], v100 offset:16
	ds_read2_b32 v[102:103], v108 offset1:1
	ds_read2_b32 v[104:105], v108 offset0:2 offset1:3
	ds_read2_b32 v[106:107], v108 offset0:4 offset1:5
	;; [unrolled: 1-line block ×3, first 2 shown]
	ds_read2_b32 v[110:111], v116 offset1:1
	ds_read2_b32 v[112:113], v116 offset0:2 offset1:3
	ds_read_b32 v148, v115
	ds_read_u16 v149, v114
	ds_read2_b32 v[114:115], v116 offset0:4 offset1:5
	ds_read2_b32 v[116:117], v116 offset0:6 offset1:7
	ds_read_b32 v150, v119
	ds_read_u16 v151, v118
	ds_read2_b32 v[118:119], v124 offset1:1
	ds_read2_b32 v[120:121], v124 offset0:2 offset1:3
	ds_read2_b32 v[122:123], v124 offset0:4 offset1:5
	;; [unrolled: 1-line block ×3, first 2 shown]
	ds_read2_b32 v[126:127], v132 offset1:1
	ds_read2_b32 v[128:129], v132 offset0:2 offset1:3
	ds_read_b32 v152, v131
	ds_read_u16 v153, v130
	ds_read2_b32 v[130:131], v132 offset0:4 offset1:5
	ds_read2_b32 v[132:133], v132 offset0:6 offset1:7
	ds_read_b32 v147, v147
	ds_read_u16 v146, v146
	s_waitcnt lgkmcnt(14)
	v_ashrrev_i32_e32 v154, s3, v102
	v_ashrrev_i32_e32 v155, s3, v103
	;; [unrolled: 1-line block ×8, first 2 shown]
	v_bfe_u32 v162, v149, 4, 4
	v_lshrrev_b32_sdwa v164, v98, v149 dst_sel:DWORD dst_unused:UNUSED_PAD src0_sel:DWORD src1_sel:BYTE_1
	s_waitcnt lgkmcnt(12)
	v_bfe_u32 v165, v151, 4, 4
	v_lshrrev_b32_sdwa v167, v98, v151 dst_sel:DWORD dst_unused:UNUSED_PAD src0_sel:DWORD src1_sel:BYTE_1
	v_cvt_f32_f16_e32 v102, v148
	v_cvt_f32_f16_sdwa v104, v148 dst_sel:DWORD dst_unused:UNUSED_PAD src0_sel:WORD_1
	s_waitcnt lgkmcnt(4)
	v_bfe_u32 v148, v153, 4, 4
	s_waitcnt lgkmcnt(0)
	v_bfe_u32 v169, v146, 4, 4
	v_mov_b32_e32 v135, 0
	v_mov_b32_e32 v138, 0
	;; [unrolled: 1-line block ×4, first 2 shown]
	v_cvt_f32_f16_e32 v107, v147
	v_cvt_f32_f16_e32 v106, v152
	v_cvt_f32_f16_sdwa v109, v147 dst_sel:DWORD dst_unused:UNUSED_PAD src0_sel:WORD_1
	v_cvt_f32_f16_sdwa v108, v152 dst_sel:DWORD dst_unused:UNUSED_PAD src0_sel:WORD_1
	v_and_b32_e32 v147, 0x3030303, v154
	v_and_b32_e32 v152, 0x3030303, v155
	v_and_b32_e32 v154, 0x3030303, v156
	v_and_b32_e32 v155, 0x3030303, v157
	v_and_b32_e32 v156, 0x3030303, v158
	v_and_b32_e32 v157, 0x3030303, v159
	v_and_b32_e32 v158, 0x3030303, v160
	v_and_b32_e32 v159, 0x3030303, v161
	v_mul_lo_u32 v160, v162, s17
	v_mul_lo_u32 v161, v164, s17
	;; [unrolled: 1-line block ×6, first 2 shown]
	v_ashrrev_i32_e32 v110, s3, v110
	v_dot4c_i32_i8_e32 v135, v160, v6
	v_dot4c_i32_i8_e32 v138, v162, v6
	;; [unrolled: 1-line block ×4, first 2 shown]
	v_mov_b32_e32 v134, 0
	v_mov_b32_e32 v137, 0
	v_ashrrev_i32_e32 v111, s3, v111
	v_ashrrev_i32_e32 v114, s3, v114
	;; [unrolled: 1-line block ×4, first 2 shown]
	v_and_b32_e32 v110, 0x3030303, v110
	v_dot4c_i32_i8_e32 v135, v160, v7
	v_dot4c_i32_i8_e32 v138, v162, v7
	;; [unrolled: 1-line block ×4, first 2 shown]
	v_mov_b32_e32 v136, 0
	v_mov_b32_e32 v139, 0
	;; [unrolled: 1-line block ×4, first 2 shown]
	v_ashrrev_i32_e32 v112, s3, v112
	v_ashrrev_i32_e32 v115, s3, v115
	;; [unrolled: 1-line block ×4, first 2 shown]
	v_lshrrev_b32_sdwa v168, v98, v153 dst_sel:DWORD dst_unused:UNUSED_PAD src0_sel:DWORD src1_sel:BYTE_1
	v_ashrrev_i32_e32 v127, s3, v127
	v_ashrrev_i32_e32 v130, s3, v130
	v_lshrrev_b32_sdwa v171, v98, v146 dst_sel:DWORD dst_unused:UNUSED_PAD src0_sel:DWORD src1_sel:BYTE_1
	v_and_b32_e32 v111, 0x3030303, v111
	v_and_b32_e32 v114, 0x3030303, v114
	v_and_b32_e32 v118, 0x3030303, v118
	v_and_b32_e32 v126, 0x3030303, v126
	v_dot4c_i32_i8_e32 v134, v147, v6
	v_dot4c_i32_i8_e32 v137, v110, v6
	;; [unrolled: 1-line block ×6, first 2 shown]
	v_mov_b32_e32 v142, 0
	v_mov_b32_e32 v145, 0
	v_ashrrev_i32_e32 v113, s3, v113
	v_ashrrev_i32_e32 v116, s3, v116
	;; [unrolled: 1-line block ×6, first 2 shown]
	v_and_b32_e32 v112, 0x3030303, v112
	v_and_b32_e32 v115, 0x3030303, v115
	;; [unrolled: 1-line block ×4, first 2 shown]
	v_mul_lo_u32 v165, v168, s17
	v_and_b32_e32 v127, 0x3030303, v127
	v_and_b32_e32 v130, 0x3030303, v130
	v_mul_lo_u32 v168, v171, s17
	v_dot4c_i32_i8_e32 v136, v156, v2
	v_dot4c_i32_i8_e32 v139, v114, v2
	;; [unrolled: 1-line block ×10, first 2 shown]
	v_ashrrev_i32_e32 v117, s3, v117
	v_ashrrev_i32_e32 v121, s3, v121
	;; [unrolled: 1-line block ×5, first 2 shown]
	v_and_b32_e32 v113, 0x3030303, v113
	v_and_b32_e32 v116, 0x3030303, v116
	;; [unrolled: 1-line block ×6, first 2 shown]
	v_dot4c_i32_i8_e32 v142, v122, v2
	v_dot4c_i32_i8_e32 v145, v130, v2
	;; [unrolled: 1-line block ×12, first 2 shown]
	v_and_b32_e32 v163, 15, v149
	v_and_b32_e32 v166, 15, v151
	v_ashrrev_i32_e32 v125, s3, v125
	v_ashrrev_i32_e32 v133, s3, v133
	v_and_b32_e32 v117, 0x3030303, v117
	v_and_b32_e32 v121, 0x3030303, v121
	;; [unrolled: 1-line block ×5, first 2 shown]
	v_dot4c_i32_i8_e32 v142, v123, v3
	v_dot4c_i32_i8_e32 v145, v131, v3
	;; [unrolled: 1-line block ×12, first 2 shown]
	s_add_i32 s2, s2, 2
	v_and_b32_sdwa v149, v149, v99 dst_sel:DWORD dst_unused:UNUSED_PAD src0_sel:BYTE_1 src1_sel:DWORD
	v_and_b32_sdwa v151, v151, v99 dst_sel:DWORD dst_unused:UNUSED_PAD src0_sel:BYTE_1 src1_sel:DWORD
	v_cvt_f32_f16_e32 v103, v150
	v_cvt_f32_f16_sdwa v105, v150 dst_sel:DWORD dst_unused:UNUSED_PAD src0_sel:WORD_1
	v_and_b32_e32 v150, 15, v153
	v_and_b32_e32 v170, 15, v146
	s_add_i32 s3, s3, 2
	v_and_b32_e32 v125, 0x3030303, v125
	v_and_b32_e32 v133, 0x3030303, v133
	v_dot4c_i32_i8_e32 v142, v124, v4
	v_dot4c_i32_i8_e32 v145, v132, v4
	;; [unrolled: 1-line block ×6, first 2 shown]
	v_mul_lo_u32 v6, v163, v134
	v_mul_lo_u32 v8, v166, v137
	v_dot4c_i32_i8_e32 v135, v161, v4
	v_dot4c_i32_i8_e32 v138, v164, v4
	;; [unrolled: 1-line block ×4, first 2 shown]
	v_and_b32_sdwa v153, v153, v99 dst_sel:DWORD dst_unused:UNUSED_PAD src0_sel:BYTE_1 src1_sel:DWORD
	v_and_b32_sdwa v146, v146, v99 dst_sel:DWORD dst_unused:UNUSED_PAD src0_sel:BYTE_1 src1_sel:DWORD
	s_cmp_lt_u32 s22, 14
	v_dot4c_i32_i8_e32 v142, v125, v5
	v_dot4c_i32_i8_e32 v145, v133, v5
	v_mul_lo_u32 v110, v150, v140
	v_mul_lo_u32 v112, v170, v143
	v_mad_u64_u32 v[6:7], s[22:23], v149, v136, v[6:7]
	v_mad_u64_u32 v[8:9], s[22:23], v151, v139, v[8:9]
	v_dot4c_i32_i8_e32 v135, v161, v5
	v_dot4c_i32_i8_e32 v138, v164, v5
	;; [unrolled: 1-line block ×4, first 2 shown]
	v_mad_u64_u32 v[2:3], s[22:23], v153, v142, v[110:111]
	v_mad_u64_u32 v[110:111], s[22:23], v146, v145, v[112:113]
	v_cvt_f32_i32_e32 v7, v8
	v_cvt_f32_i32_e32 v5, v138
	;; [unrolled: 1-line block ×8, first 2 shown]
	v_pk_mul_f32 v[4:5], v[104:105], v[4:5]
	v_pk_mul_f32 v[8:9], v[108:109], v[8:9]
	v_pk_fma_f32 v[4:5], v[102:103], v[6:7], v[4:5] neg_lo:[0,0,1] neg_hi:[0,0,1]
	v_pk_fma_f32 v[2:3], v[106:107], v[2:3], v[8:9] neg_lo:[0,0,1] neg_hi:[0,0,1]
	v_add_u32_e32 v101, 4, v101
	v_add_u32_e32 v100, 32, v100
	v_pk_fma_f32 v[66:67], v[70:71], v[4:5], v[66:67] op_sel_hi:[0,1,1]
	v_pk_fma_f32 v[64:65], v[70:71], v[2:3], v[64:65] op_sel_hi:[0,1,1]
	s_cbranch_scc1 .LBB187_20
; %bb.21:                               ;   in Loop: Header=BB187_5 Depth=1
	s_or_b32 s2, s29, 0x100
	s_cmp_ge_i32 s2, s15
	s_barrier
	s_cbranch_scc1 .LBB187_4
; %bb.22:                               ;   in Loop: Header=BB187_5 Depth=1
	v_add_u32_e32 v2, s28, v77
	v_cmp_gt_i32_e64 s[2:3], s5, v2
	s_and_b64 s[22:23], s[0:1], s[2:3]
	s_and_saveexec_b64 s[2:3], s[22:23]
	s_cbranch_execz .LBB187_24
; %bb.23:                               ;   in Loop: Header=BB187_5 Depth=1
	v_add_u32_e32 v2, v68, v2
	v_mad_i64_i32 v[2:3], s[22:23], v2, 36, v[62:63]
	global_load_dword v2, v[2:3], off offset:4
	s_waitcnt vmcnt(0)
	ds_write_b32 v51, v2
.LBB187_24:                             ;   in Loop: Header=BB187_5 Depth=1
	s_or_b64 exec, exec, s[2:3]
	s_and_saveexec_b64 s[22:23], vcc
	s_cbranch_execz .LBB187_27
; %bb.25:                               ;   in Loop: Header=BB187_5 Depth=1
	v_or_b32_e32 v2, s28, v13
	v_or_b32_e32 v3, 8, v2
	v_cmp_gt_i32_e64 s[2:3], s5, v3
	s_and_b64 s[2:3], s[0:1], s[2:3]
	s_and_b64 exec, exec, s[2:3]
	s_cbranch_execz .LBB187_27
; %bb.26:                               ;   in Loop: Header=BB187_5 Depth=1
	v_ashrrev_i32_e32 v3, 31, v2
	v_lshl_add_u64 v[2:3], v[68:69], 0, v[2:3]
	v_mad_u64_u32 v[4:5], s[2:3], v2, 36, s[18:19]
	v_mad_i32_i24 v5, v3, 36, v5
	global_load_dword v2, v[4:5], off
	s_waitcnt vmcnt(0)
	v_cvt_f32_f16_e32 v2, v2
	ds_write_b32 v55, v2
.LBB187_27:                             ;   in Loop: Header=BB187_5 Depth=1
	s_or_b64 exec, exec, s[22:23]
	s_mov_b32 s2, 16
	s_mov_b32 s3, 14
	v_mov_b32_e32 v100, v84
	v_mov_b32_e32 v101, v85
	s_waitcnt lgkmcnt(0)
	s_barrier
.LBB187_28:                             ;   Parent Loop BB187_5 Depth=1
                                        ; =>  This Inner Loop Header: Depth=2
	s_add_i32 s23, s3, 2
	s_and_b32 s30, s2, -16
	s_and_b32 s31, s23, 0x3ffffff8
	s_lshr_b32 s33, s23, 2
	s_add_i32 s30, s3, s30
	s_lshl_b32 s31, s31, 2
	s_and_b32 s33, s33, 0x3ffffffc
	v_add_u32_e32 v114, s30, v93
	v_add_u32_e32 v118, s30, v92
	;; [unrolled: 1-line block ×12, first 2 shown]
	ds_read_b32 v70, v101
	ds_read_b128 v[6:9], v100
	ds_read_b128 v[2:5], v100 offset:16
	ds_read2_b32 v[102:103], v108 offset1:1
	ds_read2_b32 v[104:105], v108 offset0:2 offset1:3
	ds_read2_b32 v[106:107], v108 offset0:4 offset1:5
	;; [unrolled: 1-line block ×3, first 2 shown]
	ds_read2_b32 v[110:111], v116 offset1:1
	ds_read2_b32 v[112:113], v116 offset0:2 offset1:3
	ds_read_b32 v148, v115
	ds_read_u16 v149, v114 offset:16882
	ds_read2_b32 v[114:115], v116 offset0:4 offset1:5
	ds_read2_b32 v[116:117], v116 offset0:6 offset1:7
	ds_read_b32 v150, v119
	ds_read_u16 v151, v118 offset:17906
	ds_read2_b32 v[118:119], v124 offset1:1
	ds_read2_b32 v[120:121], v124 offset0:2 offset1:3
	ds_read2_b32 v[122:123], v124 offset0:4 offset1:5
	;; [unrolled: 1-line block ×3, first 2 shown]
	ds_read2_b32 v[126:127], v132 offset1:1
	ds_read2_b32 v[128:129], v132 offset0:2 offset1:3
	ds_read_b32 v152, v131
	ds_read_u16 v153, v130 offset:18930
	ds_read2_b32 v[130:131], v132 offset0:4 offset1:5
	ds_read2_b32 v[132:133], v132 offset0:6 offset1:7
	ds_read_b32 v147, v147
	ds_read_u16 v146, v146 offset:19954
	s_add_i32 s22, s3, -14
	s_waitcnt lgkmcnt(14)
	v_ashrrev_i32_e32 v154, s22, v102
	v_ashrrev_i32_e32 v156, s22, v104
	;; [unrolled: 1-line block ×4, first 2 shown]
	v_bfe_u32 v162, v149, 4, 4
	s_waitcnt lgkmcnt(12)
	v_bfe_u32 v164, v151, 4, 4
	v_cvt_f32_f16_e32 v102, v148
	v_cvt_f32_f16_sdwa v104, v148 dst_sel:DWORD dst_unused:UNUSED_PAD src0_sel:WORD_1
	s_waitcnt lgkmcnt(4)
	v_bfe_u32 v148, v153, 4, 4
	s_waitcnt lgkmcnt(0)
	v_bfe_u32 v168, v146, 4, 4
	v_mov_b32_e32 v135, 0
	v_mov_b32_e32 v138, 0
	;; [unrolled: 1-line block ×4, first 2 shown]
	v_ashrrev_i32_e32 v159, s22, v107
	v_ashrrev_i32_e32 v161, s22, v109
	v_cvt_f32_f16_e32 v107, v147
	v_cvt_f32_f16_sdwa v109, v147 dst_sel:DWORD dst_unused:UNUSED_PAD src0_sel:WORD_1
	v_and_b32_e32 v147, 0x3030303, v154
	v_and_b32_e32 v154, 0x3030303, v156
	v_and_b32_e32 v156, 0x3030303, v158
	v_and_b32_e32 v158, 0x3030303, v160
	v_mul_lo_u32 v160, v162, s17
	v_mul_lo_u32 v162, v164, s17
	;; [unrolled: 1-line block ×4, first 2 shown]
	v_ashrrev_i32_e32 v110, s22, v110
	v_dot4c_i32_i8_e32 v135, v160, v6
	v_dot4c_i32_i8_e32 v138, v162, v6
	;; [unrolled: 1-line block ×4, first 2 shown]
	v_mov_b32_e32 v134, 0
	v_mov_b32_e32 v137, 0
	v_ashrrev_i32_e32 v155, s22, v103
	v_ashrrev_i32_e32 v111, s22, v111
	;; [unrolled: 1-line block ×5, first 2 shown]
	v_and_b32_e32 v110, 0x3030303, v110
	v_dot4c_i32_i8_e32 v135, v160, v7
	v_dot4c_i32_i8_e32 v138, v162, v7
	;; [unrolled: 1-line block ×4, first 2 shown]
	v_mov_b32_e32 v136, 0
	v_mov_b32_e32 v139, 0
	;; [unrolled: 1-line block ×4, first 2 shown]
	v_ashrrev_i32_e32 v157, s22, v105
	v_lshrrev_b32_sdwa v163, v98, v149 dst_sel:DWORD dst_unused:UNUSED_PAD src0_sel:DWORD src1_sel:BYTE_1
	v_ashrrev_i32_e32 v112, s22, v112
	v_ashrrev_i32_e32 v115, s22, v115
	v_lshrrev_b32_sdwa v165, v98, v151 dst_sel:DWORD dst_unused:UNUSED_PAD src0_sel:DWORD src1_sel:BYTE_1
	v_cvt_f32_f16_e32 v103, v150
	v_cvt_f32_f16_sdwa v105, v150 dst_sel:DWORD dst_unused:UNUSED_PAD src0_sel:WORD_1
	v_ashrrev_i32_e32 v119, s22, v119
	v_ashrrev_i32_e32 v122, s22, v122
	v_lshrrev_b32_sdwa v150, v98, v153 dst_sel:DWORD dst_unused:UNUSED_PAD src0_sel:DWORD src1_sel:BYTE_1
	v_ashrrev_i32_e32 v127, s22, v127
	v_ashrrev_i32_e32 v130, s22, v130
	v_lshrrev_b32_sdwa v169, v98, v146 dst_sel:DWORD dst_unused:UNUSED_PAD src0_sel:DWORD src1_sel:BYTE_1
	v_cvt_f32_f16_e32 v106, v152
	v_cvt_f32_f16_sdwa v108, v152 dst_sel:DWORD dst_unused:UNUSED_PAD src0_sel:WORD_1
	v_and_b32_e32 v152, 0x3030303, v155
	v_and_b32_e32 v111, 0x3030303, v111
	;; [unrolled: 1-line block ×5, first 2 shown]
	v_dot4c_i32_i8_e32 v134, v147, v6
	v_dot4c_i32_i8_e32 v137, v110, v6
	;; [unrolled: 1-line block ×6, first 2 shown]
	v_mov_b32_e32 v142, 0
	v_mov_b32_e32 v145, 0
	v_ashrrev_i32_e32 v113, s22, v113
	v_ashrrev_i32_e32 v116, s22, v116
	;; [unrolled: 1-line block ×6, first 2 shown]
	v_and_b32_e32 v155, 0x3030303, v157
	v_and_b32_e32 v157, 0x3030303, v159
	;; [unrolled: 1-line block ×3, first 2 shown]
	v_mul_lo_u32 v161, v163, s17
	v_and_b32_e32 v112, 0x3030303, v112
	v_and_b32_e32 v115, 0x3030303, v115
	v_mul_lo_u32 v163, v165, s17
	v_and_b32_e32 v119, 0x3030303, v119
	v_and_b32_e32 v122, 0x3030303, v122
	;; [unrolled: 3-line block ×3, first 2 shown]
	v_mul_lo_u32 v165, v169, s17
	v_dot4c_i32_i8_e32 v136, v156, v2
	v_dot4c_i32_i8_e32 v139, v114, v2
	;; [unrolled: 1-line block ×10, first 2 shown]
	v_ashrrev_i32_e32 v117, s22, v117
	v_ashrrev_i32_e32 v121, s22, v121
	v_ashrrev_i32_e32 v124, s22, v124
	v_ashrrev_i32_e32 v129, s22, v129
	v_ashrrev_i32_e32 v132, s22, v132
	v_and_b32_e32 v113, 0x3030303, v113
	v_and_b32_e32 v116, 0x3030303, v116
	;; [unrolled: 1-line block ×6, first 2 shown]
	v_dot4c_i32_i8_e32 v142, v122, v2
	v_dot4c_i32_i8_e32 v145, v130, v2
	;; [unrolled: 1-line block ×12, first 2 shown]
	v_and_b32_e32 v166, 15, v149
	v_and_b32_e32 v167, 15, v151
	v_ashrrev_i32_e32 v125, s22, v125
	v_ashrrev_i32_e32 v133, s22, v133
	v_and_b32_e32 v117, 0x3030303, v117
	v_and_b32_e32 v121, 0x3030303, v121
	;; [unrolled: 1-line block ×5, first 2 shown]
	v_dot4c_i32_i8_e32 v142, v123, v3
	v_dot4c_i32_i8_e32 v145, v131, v3
	;; [unrolled: 1-line block ×12, first 2 shown]
	s_add_i32 s2, s2, 2
	v_and_b32_sdwa v151, v151, v99 dst_sel:DWORD dst_unused:UNUSED_PAD src0_sel:BYTE_1 src1_sel:DWORD
	v_and_b32_sdwa v149, v149, v99 dst_sel:DWORD dst_unused:UNUSED_PAD src0_sel:BYTE_1 src1_sel:DWORD
	v_and_b32_e32 v170, 15, v153
	v_and_b32_e32 v171, 15, v146
	;; [unrolled: 1-line block ×4, first 2 shown]
	v_dot4c_i32_i8_e32 v142, v124, v4
	v_dot4c_i32_i8_e32 v145, v132, v4
	;; [unrolled: 1-line block ×6, first 2 shown]
	v_mul_lo_u32 v6, v167, v137
	v_mul_lo_u32 v8, v166, v134
	v_dot4c_i32_i8_e32 v135, v161, v4
	v_dot4c_i32_i8_e32 v138, v163, v4
	;; [unrolled: 1-line block ×4, first 2 shown]
	s_mov_b32 s3, s23
	s_cmp_lt_u32 s23, 22
	v_and_b32_sdwa v146, v146, v99 dst_sel:DWORD dst_unused:UNUSED_PAD src0_sel:BYTE_1 src1_sel:DWORD
	v_and_b32_sdwa v153, v153, v99 dst_sel:DWORD dst_unused:UNUSED_PAD src0_sel:BYTE_1 src1_sel:DWORD
	v_dot4c_i32_i8_e32 v142, v125, v5
	v_dot4c_i32_i8_e32 v145, v133, v5
	v_mul_lo_u32 v2, v171, v143
	v_mul_lo_u32 v110, v170, v140
	v_mad_u64_u32 v[8:9], s[22:23], v149, v136, v[8:9]
	v_mad_u64_u32 v[6:7], s[22:23], v151, v139, v[6:7]
	v_dot4c_i32_i8_e32 v135, v161, v5
	v_dot4c_i32_i8_e32 v138, v163, v5
	;; [unrolled: 1-line block ×4, first 2 shown]
	v_mad_u64_u32 v[110:111], s[22:23], v153, v142, v[110:111]
	v_mad_u64_u32 v[2:3], s[22:23], v146, v145, v[2:3]
	v_cvt_f32_i32_e32 v7, v6
	v_cvt_f32_i32_e32 v6, v8
	;; [unrolled: 1-line block ×8, first 2 shown]
	v_pk_mul_f32 v[4:5], v[104:105], v[4:5]
	v_pk_mul_f32 v[8:9], v[108:109], v[8:9]
	v_pk_fma_f32 v[4:5], v[102:103], v[6:7], v[4:5] neg_lo:[0,0,1] neg_hi:[0,0,1]
	v_pk_fma_f32 v[2:3], v[106:107], v[2:3], v[8:9] neg_lo:[0,0,1] neg_hi:[0,0,1]
	v_add_u32_e32 v101, 4, v101
	v_add_u32_e32 v100, 32, v100
	v_pk_fma_f32 v[66:67], v[70:71], v[4:5], v[66:67] op_sel_hi:[0,1,1]
	v_pk_fma_f32 v[64:65], v[70:71], v[2:3], v[64:65] op_sel_hi:[0,1,1]
	s_cbranch_scc1 .LBB187_28
; %bb.29:                               ;   in Loop: Header=BB187_5 Depth=1
	s_or_b32 s2, s29, 0x180
	s_cmp_ge_i32 s2, s15
	s_barrier
	s_cbranch_scc1 .LBB187_4
; %bb.30:                               ;   in Loop: Header=BB187_5 Depth=1
	v_add_u32_e32 v2, s28, v78
	v_cmp_gt_i32_e64 s[2:3], s5, v2
	s_and_b64 s[22:23], s[0:1], s[2:3]
	s_and_saveexec_b64 s[2:3], s[22:23]
	s_cbranch_execz .LBB187_32
; %bb.31:                               ;   in Loop: Header=BB187_5 Depth=1
	v_add_u32_e32 v2, v68, v2
	v_mad_i64_i32 v[2:3], s[22:23], v2, 36, v[62:63]
	global_load_dword v2, v[2:3], off offset:4
	s_waitcnt vmcnt(0)
	ds_write_b32 v51, v2
.LBB187_32:                             ;   in Loop: Header=BB187_5 Depth=1
	s_or_b64 exec, exec, s[2:3]
	s_and_saveexec_b64 s[22:23], vcc
	s_cbranch_execz .LBB187_35
; %bb.33:                               ;   in Loop: Header=BB187_5 Depth=1
	v_or_b32_e32 v2, s28, v13
	v_or_b32_e32 v3, 12, v2
	v_cmp_gt_i32_e64 s[2:3], s5, v3
	s_and_b64 s[2:3], s[0:1], s[2:3]
	s_and_b64 exec, exec, s[2:3]
	s_cbranch_execz .LBB187_35
; %bb.34:                               ;   in Loop: Header=BB187_5 Depth=1
	v_ashrrev_i32_e32 v3, 31, v2
	v_lshl_add_u64 v[2:3], v[68:69], 0, v[2:3]
	v_mad_u64_u32 v[4:5], s[2:3], v2, 36, s[20:21]
	v_mad_i32_i24 v5, v3, 36, v5
	global_load_dword v2, v[4:5], off
	s_waitcnt vmcnt(0)
	v_cvt_f32_f16_e32 v2, v2
	ds_write_b32 v55, v2
.LBB187_35:                             ;   in Loop: Header=BB187_5 Depth=1
	s_or_b64 exec, exec, s[22:23]
	s_mov_b32 s2, 24
	s_mov_b32 s3, 22
	v_mov_b32_e32 v100, v84
	v_mov_b32_e32 v101, v85
	s_waitcnt lgkmcnt(0)
	s_barrier
.LBB187_36:                             ;   Parent Loop BB187_5 Depth=1
                                        ; =>  This Inner Loop Header: Depth=2
	s_add_i32 s23, s3, 2
	s_and_b32 s28, s2, -16
	s_and_b32 s29, s23, 0x3ffffff8
	s_lshr_b32 s30, s23, 2
	s_add_i32 s28, s3, s28
	s_lshl_b32 s29, s29, 2
	s_and_b32 s30, s30, 0x3ffffffc
	v_add_u32_e32 v114, s28, v93
	v_add_u32_e32 v118, s28, v92
	;; [unrolled: 1-line block ×12, first 2 shown]
	ds_read_b32 v70, v101
	ds_read_b128 v[6:9], v100
	ds_read_b128 v[2:5], v100 offset:16
	ds_read2_b32 v[102:103], v108 offset1:1
	ds_read2_b32 v[104:105], v108 offset0:2 offset1:3
	ds_read2_b32 v[106:107], v108 offset0:4 offset1:5
	;; [unrolled: 1-line block ×3, first 2 shown]
	ds_read2_b32 v[110:111], v116 offset1:1
	ds_read2_b32 v[112:113], v116 offset0:2 offset1:3
	ds_read_b32 v148, v115
	ds_read_u16 v149, v114 offset:16882
	ds_read2_b32 v[114:115], v116 offset0:4 offset1:5
	ds_read2_b32 v[116:117], v116 offset0:6 offset1:7
	ds_read_b32 v150, v119
	ds_read_u16 v151, v118 offset:17906
	ds_read2_b32 v[118:119], v124 offset1:1
	ds_read2_b32 v[120:121], v124 offset0:2 offset1:3
	ds_read2_b32 v[122:123], v124 offset0:4 offset1:5
	;; [unrolled: 1-line block ×3, first 2 shown]
	ds_read2_b32 v[126:127], v132 offset1:1
	ds_read2_b32 v[128:129], v132 offset0:2 offset1:3
	ds_read_b32 v152, v131
	ds_read_u16 v153, v130 offset:18930
	ds_read2_b32 v[130:131], v132 offset0:4 offset1:5
	ds_read2_b32 v[132:133], v132 offset0:6 offset1:7
	ds_read_b32 v147, v147
	ds_read_u16 v146, v146 offset:19954
	s_sub_i32 s22, s3, 22
	s_waitcnt lgkmcnt(14)
	v_ashrrev_i32_e32 v154, s22, v102
	v_ashrrev_i32_e32 v156, s22, v104
	;; [unrolled: 1-line block ×4, first 2 shown]
	v_bfe_u32 v162, v149, 4, 4
	s_waitcnt lgkmcnt(12)
	v_bfe_u32 v164, v151, 4, 4
	v_cvt_f32_f16_e32 v102, v148
	v_cvt_f32_f16_sdwa v104, v148 dst_sel:DWORD dst_unused:UNUSED_PAD src0_sel:WORD_1
	s_waitcnt lgkmcnt(4)
	v_bfe_u32 v148, v153, 4, 4
	s_waitcnt lgkmcnt(0)
	v_bfe_u32 v168, v146, 4, 4
	v_mov_b32_e32 v138, 0
	v_mov_b32_e32 v139, 0
	;; [unrolled: 1-line block ×4, first 2 shown]
	v_ashrrev_i32_e32 v159, s22, v107
	v_ashrrev_i32_e32 v161, s22, v109
	v_cvt_f32_f16_e32 v107, v147
	v_cvt_f32_f16_sdwa v109, v147 dst_sel:DWORD dst_unused:UNUSED_PAD src0_sel:WORD_1
	v_and_b32_e32 v147, 0x3030303, v154
	v_and_b32_e32 v154, 0x3030303, v156
	;; [unrolled: 1-line block ×4, first 2 shown]
	v_mul_lo_u32 v160, v162, s17
	v_mul_lo_u32 v162, v164, s17
	v_mul_lo_u32 v148, v148, s17
	v_mul_lo_u32 v164, v168, s17
	v_ashrrev_i32_e32 v110, s22, v110
	v_dot4c_i32_i8_e32 v138, v160, v6
	v_dot4c_i32_i8_e32 v139, v162, v6
	;; [unrolled: 1-line block ×4, first 2 shown]
	v_mov_b32_e32 v134, 0
	v_mov_b32_e32 v136, 0
	v_ashrrev_i32_e32 v155, s22, v103
	v_ashrrev_i32_e32 v111, s22, v111
	;; [unrolled: 1-line block ×5, first 2 shown]
	v_and_b32_e32 v110, 0x3030303, v110
	v_dot4c_i32_i8_e32 v138, v160, v7
	v_dot4c_i32_i8_e32 v139, v162, v7
	;; [unrolled: 1-line block ×4, first 2 shown]
	v_mov_b32_e32 v135, 0
	v_mov_b32_e32 v137, 0
	;; [unrolled: 1-line block ×4, first 2 shown]
	v_ashrrev_i32_e32 v157, s22, v105
	v_ashrrev_i32_e32 v112, s22, v112
	;; [unrolled: 1-line block ×3, first 2 shown]
	v_lshrrev_b32_sdwa v163, v98, v149 dst_sel:DWORD dst_unused:UNUSED_PAD src0_sel:DWORD src1_sel:BYTE_1
	v_lshrrev_b32_sdwa v167, v98, v151 dst_sel:DWORD dst_unused:UNUSED_PAD src0_sel:DWORD src1_sel:BYTE_1
	v_cvt_f32_f16_e32 v103, v150
	v_cvt_f32_f16_sdwa v105, v150 dst_sel:DWORD dst_unused:UNUSED_PAD src0_sel:WORD_1
	v_ashrrev_i32_e32 v119, s22, v119
	v_ashrrev_i32_e32 v122, s22, v122
	;; [unrolled: 1-line block ×4, first 2 shown]
	v_lshrrev_b32_sdwa v150, v98, v153 dst_sel:DWORD dst_unused:UNUSED_PAD src0_sel:DWORD src1_sel:BYTE_1
	v_lshrrev_b32_sdwa v171, v98, v146 dst_sel:DWORD dst_unused:UNUSED_PAD src0_sel:DWORD src1_sel:BYTE_1
	v_cvt_f32_f16_e32 v106, v152
	v_cvt_f32_f16_sdwa v108, v152 dst_sel:DWORD dst_unused:UNUSED_PAD src0_sel:WORD_1
	v_and_b32_e32 v152, 0x3030303, v155
	v_and_b32_e32 v111, 0x3030303, v111
	;; [unrolled: 1-line block ×5, first 2 shown]
	v_dot4c_i32_i8_e32 v134, v147, v6
	v_dot4c_i32_i8_e32 v136, v110, v6
	;; [unrolled: 1-line block ×6, first 2 shown]
	v_mov_b32_e32 v141, 0
	v_mov_b32_e32 v143, 0
	v_ashrrev_i32_e32 v113, s22, v113
	v_ashrrev_i32_e32 v116, s22, v116
	;; [unrolled: 1-line block ×6, first 2 shown]
	v_and_b32_e32 v155, 0x3030303, v157
	v_and_b32_e32 v157, 0x3030303, v159
	;; [unrolled: 1-line block ×5, first 2 shown]
	v_mul_lo_u32 v161, v163, s17
	v_mul_lo_u32 v163, v167, s17
	v_and_b32_e32 v119, 0x3030303, v119
	v_and_b32_e32 v122, 0x3030303, v122
	;; [unrolled: 1-line block ×4, first 2 shown]
	v_mul_lo_u32 v150, v150, s17
	v_mul_lo_u32 v167, v171, s17
	v_dot4c_i32_i8_e32 v135, v156, v2
	v_dot4c_i32_i8_e32 v137, v114, v2
	;; [unrolled: 1-line block ×10, first 2 shown]
	v_ashrrev_i32_e32 v117, s22, v117
	v_ashrrev_i32_e32 v121, s22, v121
	;; [unrolled: 1-line block ×5, first 2 shown]
	v_and_b32_e32 v113, 0x3030303, v113
	v_and_b32_e32 v116, 0x3030303, v116
	;; [unrolled: 1-line block ×6, first 2 shown]
	v_dot4c_i32_i8_e32 v141, v122, v2
	v_dot4c_i32_i8_e32 v143, v130, v2
	;; [unrolled: 1-line block ×12, first 2 shown]
	v_and_b32_e32 v165, 15, v149
	v_and_b32_e32 v166, 15, v151
	v_ashrrev_i32_e32 v125, s22, v125
	v_ashrrev_i32_e32 v133, s22, v133
	v_and_b32_e32 v117, 0x3030303, v117
	v_and_b32_e32 v121, 0x3030303, v121
	;; [unrolled: 1-line block ×5, first 2 shown]
	v_dot4c_i32_i8_e32 v141, v123, v3
	v_dot4c_i32_i8_e32 v143, v131, v3
	;; [unrolled: 1-line block ×12, first 2 shown]
	s_add_i32 s2, s2, 2
	v_and_b32_sdwa v151, v151, v99 dst_sel:DWORD dst_unused:UNUSED_PAD src0_sel:BYTE_1 src1_sel:DWORD
	v_and_b32_sdwa v149, v149, v99 dst_sel:DWORD dst_unused:UNUSED_PAD src0_sel:BYTE_1 src1_sel:DWORD
	v_and_b32_e32 v169, 15, v153
	v_and_b32_e32 v170, 15, v146
	;; [unrolled: 1-line block ×4, first 2 shown]
	v_dot4c_i32_i8_e32 v141, v124, v4
	v_dot4c_i32_i8_e32 v143, v132, v4
	;; [unrolled: 1-line block ×6, first 2 shown]
	v_mul_lo_u32 v6, v166, v136
	v_mul_lo_u32 v8, v165, v134
	v_dot4c_i32_i8_e32 v138, v161, v4
	v_dot4c_i32_i8_e32 v139, v163, v4
	;; [unrolled: 1-line block ×4, first 2 shown]
	s_mov_b32 s3, s23
	s_cmp_lt_u32 s23, 30
	v_and_b32_sdwa v146, v146, v99 dst_sel:DWORD dst_unused:UNUSED_PAD src0_sel:BYTE_1 src1_sel:DWORD
	v_and_b32_sdwa v153, v153, v99 dst_sel:DWORD dst_unused:UNUSED_PAD src0_sel:BYTE_1 src1_sel:DWORD
	v_dot4c_i32_i8_e32 v141, v125, v5
	v_dot4c_i32_i8_e32 v143, v133, v5
	v_mul_lo_u32 v110, v170, v142
	v_mul_lo_u32 v112, v169, v140
	v_mad_u64_u32 v[8:9], s[22:23], v149, v135, v[8:9]
	v_mad_u64_u32 v[6:7], s[22:23], v151, v137, v[6:7]
	v_dot4c_i32_i8_e32 v138, v161, v5
	v_dot4c_i32_i8_e32 v139, v163, v5
	;; [unrolled: 1-line block ×4, first 2 shown]
	v_mad_u64_u32 v[2:3], s[22:23], v153, v141, v[112:113]
	v_mad_u64_u32 v[110:111], s[22:23], v146, v143, v[110:111]
	v_cvt_f32_i32_e32 v7, v6
	v_cvt_f32_i32_e32 v6, v8
	;; [unrolled: 1-line block ×8, first 2 shown]
	v_pk_mul_f32 v[4:5], v[104:105], v[4:5]
	v_pk_mul_f32 v[8:9], v[108:109], v[8:9]
	v_pk_fma_f32 v[4:5], v[102:103], v[6:7], v[4:5] neg_lo:[0,0,1] neg_hi:[0,0,1]
	v_pk_fma_f32 v[2:3], v[106:107], v[2:3], v[8:9] neg_lo:[0,0,1] neg_hi:[0,0,1]
	v_add_u32_e32 v101, 4, v101
	v_add_u32_e32 v100, 32, v100
	v_pk_fma_f32 v[66:67], v[70:71], v[4:5], v[66:67] op_sel_hi:[0,1,1]
	v_pk_fma_f32 v[64:65], v[70:71], v[2:3], v[64:65] op_sel_hi:[0,1,1]
	s_cbranch_scc1 .LBB187_36
; %bb.37:                               ;   in Loop: Header=BB187_5 Depth=1
	s_barrier
	s_branch .LBB187_4
.LBB187_38:
	s_mul_i32 s0, s7, s4
	s_waitcnt vmcnt(0)
	v_cmp_gt_i32_e32 vcc, s0, v1
	s_and_saveexec_b64 s[0:1], vcc
	s_cbranch_execz .LBB187_47
; %bb.39:
	v_and_b32_e32 v0, 0x3ff, v0
	v_add_u32_e32 v2, s24, v0
	v_mul_lo_u32 v0, v1, s6
	v_cmp_gt_u32_e32 vcc, s6, v2
	s_and_saveexec_b64 s[0:1], vcc
	s_cbranch_execz .LBB187_41
; %bb.40:
	v_add_u32_e32 v4, v0, v2
	v_mov_b32_e32 v5, 0
	v_lshl_add_u64 v[4:5], v[4:5], 2, s[12:13]
	global_store_dword v[4:5], v66, off
.LBB187_41:
	s_or_b64 exec, exec, s[0:1]
	v_add_u32_e32 v1, 32, v2
	v_cmp_gt_u32_e32 vcc, s6, v1
	s_and_saveexec_b64 s[0:1], vcc
	s_cbranch_execz .LBB187_43
; %bb.42:
	v_add_u32_e32 v4, v0, v1
	v_mov_b32_e32 v5, 0
	v_lshl_add_u64 v[4:5], v[4:5], 2, s[12:13]
	global_store_dword v[4:5], v67, off
.LBB187_43:
	s_or_b64 exec, exec, s[0:1]
	v_add_u32_e32 v1, 64, v2
	;; [unrolled: 11-line block ×3, first 2 shown]
	v_cmp_gt_u32_e32 vcc, s6, v1
	s_and_b64 exec, exec, vcc
	s_cbranch_execz .LBB187_47
; %bb.46:
	v_add_u32_e32 v0, v0, v1
	v_mov_b32_e32 v1, 0
	v_lshl_add_u64 v[0:1], v[0:1], 2, s[12:13]
	global_store_dword v[0:1], v65, off
.LBB187_47:
	s_endpgm
	.section	.rodata,"a",@progbits
	.p2align	6, 0x0
	.amdhsa_kernel _ZL8moe_q2_KIfLb0EEvPKvS1_PT_PKiS5_S5_iiiiiii
		.amdhsa_group_segment_fixed_size 23328
		.amdhsa_private_segment_fixed_size 0
		.amdhsa_kernarg_size 76
		.amdhsa_user_sgpr_count 2
		.amdhsa_user_sgpr_dispatch_ptr 0
		.amdhsa_user_sgpr_queue_ptr 0
		.amdhsa_user_sgpr_kernarg_segment_ptr 1
		.amdhsa_user_sgpr_dispatch_id 0
		.amdhsa_user_sgpr_kernarg_preload_length 0
		.amdhsa_user_sgpr_kernarg_preload_offset 0
		.amdhsa_user_sgpr_private_segment_size 0
		.amdhsa_uses_dynamic_stack 0
		.amdhsa_enable_private_segment 0
		.amdhsa_system_sgpr_workgroup_id_x 1
		.amdhsa_system_sgpr_workgroup_id_y 1
		.amdhsa_system_sgpr_workgroup_id_z 0
		.amdhsa_system_sgpr_workgroup_info 0
		.amdhsa_system_vgpr_workitem_id 1
		.amdhsa_next_free_vgpr 172
		.amdhsa_next_free_sgpr 34
		.amdhsa_accum_offset 172
		.amdhsa_reserve_vcc 1
		.amdhsa_float_round_mode_32 0
		.amdhsa_float_round_mode_16_64 0
		.amdhsa_float_denorm_mode_32 3
		.amdhsa_float_denorm_mode_16_64 3
		.amdhsa_dx10_clamp 1
		.amdhsa_ieee_mode 1
		.amdhsa_fp16_overflow 0
		.amdhsa_tg_split 0
		.amdhsa_exception_fp_ieee_invalid_op 0
		.amdhsa_exception_fp_denorm_src 0
		.amdhsa_exception_fp_ieee_div_zero 0
		.amdhsa_exception_fp_ieee_overflow 0
		.amdhsa_exception_fp_ieee_underflow 0
		.amdhsa_exception_fp_ieee_inexact 0
		.amdhsa_exception_int_div_zero 0
	.end_amdhsa_kernel
	.section	.text._ZL8moe_q2_KIfLb0EEvPKvS1_PT_PKiS5_S5_iiiiiii,"axG",@progbits,_ZL8moe_q2_KIfLb0EEvPKvS1_PT_PKiS5_S5_iiiiiii,comdat
.Lfunc_end187:
	.size	_ZL8moe_q2_KIfLb0EEvPKvS1_PT_PKiS5_S5_iiiiiii, .Lfunc_end187-_ZL8moe_q2_KIfLb0EEvPKvS1_PT_PKiS5_S5_iiiiiii
                                        ; -- End function
	.section	.AMDGPU.csdata,"",@progbits
; Kernel info:
; codeLenInByte = 8596
; NumSgprs: 40
; NumVgprs: 172
; NumAgprs: 0
; TotalNumVgprs: 172
; ScratchSize: 0
; MemoryBound: 0
; FloatMode: 240
; IeeeMode: 1
; LDSByteSize: 23328 bytes/workgroup (compile time only)
; SGPRBlocks: 4
; VGPRBlocks: 21
; NumSGPRsForWavesPerEU: 40
; NumVGPRsForWavesPerEU: 172
; AccumOffset: 172
; Occupancy: 2
; WaveLimiterHint : 1
; COMPUTE_PGM_RSRC2:SCRATCH_EN: 0
; COMPUTE_PGM_RSRC2:USER_SGPR: 2
; COMPUTE_PGM_RSRC2:TRAP_HANDLER: 0
; COMPUTE_PGM_RSRC2:TGID_X_EN: 1
; COMPUTE_PGM_RSRC2:TGID_Y_EN: 1
; COMPUTE_PGM_RSRC2:TGID_Z_EN: 0
; COMPUTE_PGM_RSRC2:TIDIG_COMP_CNT: 1
; COMPUTE_PGM_RSRC3_GFX90A:ACCUM_OFFSET: 42
; COMPUTE_PGM_RSRC3_GFX90A:TG_SPLIT: 0
	.section	.text._ZL8moe_q2_KIfLb1EEvPKvS1_PT_PKiS5_S5_iiiiiii,"axG",@progbits,_ZL8moe_q2_KIfLb1EEvPKvS1_PT_PKiS5_S5_iiiiiii,comdat
	.globl	_ZL8moe_q2_KIfLb1EEvPKvS1_PT_PKiS5_S5_iiiiiii ; -- Begin function _ZL8moe_q2_KIfLb1EEvPKvS1_PT_PKiS5_S5_iiiiiii
	.p2align	8
	.type	_ZL8moe_q2_KIfLb1EEvPKvS1_PT_PKiS5_S5_iiiiiii,@function
_ZL8moe_q2_KIfLb1EEvPKvS1_PT_PKiS5_S5_iiiiiii: ; @_ZL8moe_q2_KIfLb1EEvPKvS1_PT_PKiS5_S5_iiiiiii
; %bb.0:
	s_load_dwordx4 s[4:7], s[0:1], 0x18
	s_mov_b32 s8, s3
	s_mov_b32 s9, 0
	s_lshl_b64 s[10:11], s[8:9], 2
	s_waitcnt lgkmcnt(0)
	s_add_u32 s6, s6, s10
	s_addc_u32 s7, s7, s11
	s_load_dword s3, s[6:7], 0x0
	s_waitcnt lgkmcnt(0)
	s_cmpk_gt_u32 s3, 0xff
	s_cbranch_scc1 .LBB188_47
; %bb.1:
	s_load_dwordx2 s[6:7], s[0:1], 0x28
	s_waitcnt lgkmcnt(0)
	s_load_dword s7, s[6:7], 0x0
	s_lshl_b32 s6, s8, 3
	s_waitcnt lgkmcnt(0)
	s_cmp_gt_u32 s6, s7
	s_cbranch_scc1 .LBB188_47
; %bb.2:
	v_bfe_u32 v2, v0, 10, 10
	v_mov_b32_e32 v4, s4
	v_mov_b32_e32 v5, s5
	v_add_u32_e32 v10, s6, v2
	v_mov_b32_e32 v11, 0
	v_lshl_add_u64 v[4:5], v[10:11], 2, v[4:5]
	global_load_dword v1, v[4:5], off
	s_load_dwordx8 s[4:11], s[0:1], 0x30
	s_load_dwordx2 s[16:17], s[0:1], 0x10
	s_mov_b32 s18, 0
	s_waitcnt lgkmcnt(0)
	s_lshl_b32 s11, s2, 7
	s_mov_b32 s19, s18
	s_cmpk_lt_i32 s5, 0x100
	v_mov_b64_e32 v[96:97], s[18:19]
	v_mov_b64_e32 v[98:99], s[18:19]
	s_cbranch_scc1 .LBB188_38
; %bb.3:
	s_load_dwordx4 s[12:15], s[0:1], 0x0
	s_ashr_i32 s0, s5, 31
	s_lshr_b32 s0, s0, 24
	s_add_i32 s0, s5, s0
	s_ashr_i32 s26, s0, 8
	s_ashr_i32 s0, s8, 31
	s_lshr_b32 s0, s0, 27
	s_add_i32 s0, s8, s0
	s_mul_i32 s3, s3, s4
	s_ashr_i32 s8, s0, 5
	s_ashr_i32 s0, s3, 31
	s_waitcnt lgkmcnt(0)
	s_add_u32 s1, s12, s3
	s_mul_i32 s2, s26, s11
	s_addc_u32 s0, s13, s0
	s_mul_hi_i32 s3, s2, 0x54
	s_mulk_i32 s2, 0x54
	s_add_u32 s27, s1, s2
	s_addc_u32 s28, s0, s3
	s_not_b32 s0, s11
	s_add_i32 s2, s0, s6
	v_and_b32_e32 v13, 0x3ff, v0
	v_lshlrev_b32_e32 v4, 2, v13
	v_min_i32_e32 v3, s2, v2
	s_movk_i32 s3, 0x84
	v_mul_lo_u32 v14, v3, s26
                                        ; kill: def $vgpr5 killed $sgpr0 killed $exec
	v_mad_u64_u32 v[16:17], s[0:1], v3, s3, v[4:5]
	v_add_u32_e32 v3, 8, v2
	v_min_i32_e32 v3, s2, v3
	v_mul_lo_u32 v18, v3, s26
	v_mad_u64_u32 v[20:21], s[0:1], v3, s3, v[4:5]
	v_add_u32_e32 v3, 16, v2
	v_min_i32_e32 v3, s2, v3
	v_mul_lo_u32 v22, v3, s26
	;; [unrolled: 4-line block ×15, first 2 shown]
	v_mad_u64_u32 v[76:77], s[0:1], v3, s3, v[4:5]
	v_lshlrev_b32_e32 v3, 4, v2
	v_lshrrev_b32_e32 v5, 1, v13
	v_add_u32_e32 v5, v5, v3
	v_and_b32_e32 v5, 0x7f, v5
	v_min_i32_e32 v5, s2, v5
	v_ashrrev_i32_e32 v6, 31, v5
	v_lshrrev_b32_e32 v6, 28, v6
	v_add_u32_e32 v6, v5, v6
	v_and_b32_e32 v78, 1, v13
	v_ashrrev_i32_e32 v6, 4, v6
	v_lshlrev_b32_e32 v6, 2, v6
	v_lshlrev_b32_e32 v7, 2, v78
	s_movk_i32 s0, 0x5280
	v_lshlrev_b32_e32 v8, 2, v2
	v_lshrrev_b32_e32 v15, 3, v13
	v_mul_lo_u32 v80, v5, s26
	v_add3_u32 v6, v6, v7, s0
	v_lshlrev_b32_e32 v7, 3, v5
	v_add_u32_e32 v5, v15, v8
	v_min_i32_e32 v17, s2, v5
	v_ashrrev_i32_e32 v19, 31, v17
	v_lshrrev_b32_e32 v19, 30, v19
	v_and_b32_e32 v9, 7, v13
	v_mul_lo_u32 v86, v17, s26
	v_add_u32_e32 v19, v17, v19
	v_lshlrev_b32_e32 v77, 5, v17
	v_add_u32_e32 v17, 32, v5
	v_cmp_lt_u32_e32 vcc, 3, v9
	v_and_b32_e32 v19, -4, v19
	v_lshlrev_b32_e32 v9, 2, v9
	s_movk_i32 s1, 0x4200
	v_min_i32_e32 v17, s2, v17
	v_add3_u32 v75, v19, v9, s1
	v_ashrrev_i32_e32 v19, 31, v17
	v_lshrrev_b32_e32 v19, 30, v19
	v_mul_lo_u32 v88, v17, s26
	v_add_u32_e32 v19, v17, v19
	v_lshlrev_b32_e32 v81, 5, v17
	v_add_u32_e32 v17, 64, v5
	v_and_b32_e32 v19, -4, v19
	v_min_i32_e32 v17, s2, v17
	v_add3_u32 v79, v19, v9, s1
	v_ashrrev_i32_e32 v19, 31, v17
	v_add_u32_e32 v5, 0x60, v5
	v_lshrrev_b32_e32 v19, 30, v19
	v_min_i32_e32 v5, s2, v5
	v_mul_lo_u32 v90, v17, s26
	v_add_u32_e32 v19, v17, v19
	v_lshlrev_b32_e32 v87, 5, v17
	v_ashrrev_i32_e32 v17, 31, v5
	v_lshrrev_b32_e32 v17, 30, v17
	v_add_u32_e32 v17, v5, v17
	v_and_b32_e32 v19, -4, v19
	v_and_b32_e32 v17, -4, v17
	v_and_b32_e32 v10, 60, v4
	v_and_b32_e32 v84, 12, v4
	v_add3_u32 v83, v19, v9, s1
	v_mul_lo_u32 v92, v5, s26
	v_add3_u32 v9, v17, v9, s1
	v_lshlrev_b32_e32 v89, 5, v5
	v_and_b32_e32 v17, 31, v13
	v_and_b32_e32 v4, 28, v4
	v_mov_b32_e32 v5, v11
	v_lshlrev_b32_e32 v2, 7, v2
	v_lshl_add_u64 v[94:95], s[14:15], 0, v[4:5]
	v_lshl_or_b32 v4, v17, 2, v2
	v_lshrrev_b32_e32 v12, 4, v13
	v_add_u32_e32 v17, 0x56a0, v4
	v_or_b32_e32 v4, v8, v13
	v_mov_b32_e32 v5, 0x5aa0
	v_lshl_add_u32 v19, v4, 2, v5
	v_lshlrev_b32_e32 v4, 3, v13
	v_lshlrev_b32_e32 v23, 2, v12
	v_add_u32_e32 v5, 32, v13
	v_add3_u32 v23, v23, v4, s0
	v_mov_b32_e32 v4, 0x1080
	v_mad_u32_u24 v25, v13, s3, v4
	v_lshrrev_b32_e32 v4, 2, v5
	v_lshlrev_b32_e32 v8, 3, v5
	v_and_b32_e32 v4, 0x7c, v4
	v_add_u32_e32 v47, 64, v13
	v_add3_u32 v27, v8, v4, s0
	v_mov_b32_e32 v4, 0x2100
	v_mad_u32_u24 v29, v13, s3, v4
	v_lshrrev_b32_e32 v4, 2, v47
	s_abs_i32 s2, s10
	v_lshlrev_b32_e32 v31, 3, v47
	v_and_b32_e32 v4, 0x7c, v4
	v_cvt_f32_u32_e32 v8, s2
	v_add_u32_e32 v43, 0x60, v13
	v_add3_u32 v31, v31, v4, s0
	v_mov_b32_e32 v4, 0x3180
	v_mad_u32_u24 v33, v13, s3, v4
	v_lshrrev_b32_e32 v4, 2, v43
	v_lshlrev_b32_e32 v35, 3, v43
	v_and_b32_e32 v4, 0x7c, v4
	v_add3_u32 v35, v35, v4, s0
	v_rcp_iflag_f32_e32 v4, v8
	s_sub_i32 s0, 0, s2
	s_waitcnt vmcnt(0)
	v_sub_u32_e32 v45, 0, v1
	v_max_i32_e32 v45, v1, v45
	v_mul_f32_e32 v4, 0x4f7ffffe, v4
	v_cvt_u32_f32_e32 v4, v4
	v_xor_b32_e32 v8, s10, v1
	s_add_u32 s12, s14, 0x90
	v_ashrrev_i32_e32 v8, 31, v8
	v_mul_lo_u32 v49, s0, v4
	v_mul_hi_u32 v49, v4, v49
	v_add_u32_e32 v4, v4, v49
	v_mul_hi_u32 v4, v45, v4
	v_mul_lo_u32 v49, v4, s2
	v_sub_u32_e32 v45, v45, v49
	v_add_u32_e32 v49, 1, v4
	v_cmp_le_u32_e64 s[0:1], s2, v45
	s_addc_u32 s13, s15, 0
	s_add_u32 s20, s14, 0x120
	v_cndmask_b32_e64 v4, v4, v49, s[0:1]
	v_subrev_u32_e32 v49, s2, v45
	v_cndmask_b32_e64 v45, v45, v49, s[0:1]
	v_add_u32_e32 v49, 1, v4
	v_cmp_le_u32_e64 s[0:1], s2, v45
	s_addc_u32 s21, s15, 0
	v_lshrrev_b32_e32 v39, 3, v47
	v_cndmask_b32_e64 v4, v4, v49, s[0:1]
	v_xor_b32_e32 v4, v4, v8
	v_sub_u32_e32 v4, v4, v8
	v_lshrrev_b32_e32 v41, 3, v43
	v_mul_lo_u32 v100, v4, s8
	s_add_u32 s22, s14, 0x1b0
	v_and_b32_e32 v43, 0x1fc, v43
	v_lshlrev_b32_e32 v45, 5, v13
	v_and_b32_e32 v47, 0x1fc, v47
	v_and_b32_e32 v49, 0x1fc, v5
	;; [unrolled: 1-line block ×3, first 2 shown]
	s_movk_i32 s4, 0x54
	v_cndmask_b32_e64 v82, 0, 1, vcc
	v_mov_b32_e32 v85, v11
	v_cmp_gt_u32_e32 vcc, 4, v13
	v_mul_u32_u24_e32 v21, 0x84, v13
	v_lshrrev_b32_e32 v37, 3, v5
	v_cmp_gt_i32_e64 s[0:1], s7, v4
	v_ashrrev_i32_e32 v101, 31, v100
	s_addc_u32 s23, s15, 0
	v_add_u32_e32 v53, 0x56a0, v2
	v_add_u32_e32 v55, 0x5aa0, v3
	;; [unrolled: 1-line block ×10, first 2 shown]
	v_mov_b64_e32 v[98:99], s[18:19]
	v_add_u32_e32 v73, v6, v7
	v_add_u32_e32 v75, v75, v77
	;; [unrolled: 1-line block ×5, first 2 shown]
	s_mov_b32 s6, 0x1010101
	v_mov_b32_e32 v83, 4
	v_mov_b32_e32 v87, 15
	v_mov_b64_e32 v[96:97], s[18:19]
	s_branch .LBB188_5
.LBB188_4:                              ;   in Loop: Header=BB188_5 Depth=1
	s_add_i32 s18, s18, 2
	s_cmp_ge_i32 s18, s26
	s_cbranch_scc1 .LBB188_38
.LBB188_5:                              ; =>This Loop Header: Depth=1
                                        ;     Child Loop BB188_12 Depth 2
                                        ;     Child Loop BB188_20 Depth 2
	;; [unrolled: 1-line block ×4, first 2 shown]
	s_mul_i32 s2, s18, 0x54
	s_mul_hi_u32 s3, s18, 0x54
	s_add_u32 s2, s27, s2
	s_addc_u32 s3, s28, s3
	v_mov_b64_e32 v[2:3], s[2:3]
	v_mad_u64_u32 v[4:5], s[2:3], v12, s4, v[2:3]
	v_lshl_add_u64 v[4:5], v[4:5], 0, v[10:11]
	v_lshl_add_u64 v[4:5], v[4:5], 0, 16
	v_mad_i64_i32 v[6:7], s[2:3], v14, s4, v[4:5]
	v_mad_i64_i32 v[8:9], s[2:3], v18, s4, v[4:5]
	;; [unrolled: 1-line block ×8, first 2 shown]
	global_load_dword v89, v[6:7], off
	global_load_dword v91, v[8:9], off
	;; [unrolled: 1-line block ×8, first 2 shown]
	v_mad_i64_i32 v[6:7], s[2:3], v46, s4, v[4:5]
	v_mad_i64_i32 v[8:9], s[2:3], v50, s4, v[4:5]
	;; [unrolled: 1-line block ×8, first 2 shown]
	global_load_dword v112, v[6:7], off
	global_load_dword v113, v[8:9], off
	;; [unrolled: 1-line block ×8, first 2 shown]
	v_mad_i64_i32 v[4:5], s[2:3], v80, s4, v[2:3]
	v_mad_u64_u32 v[2:3], s[2:3], v82, s4, v[2:3]
	v_lshl_add_u64 v[2:3], v[2:3], 0, v[84:85]
	v_mad_u64_u32 v[4:5], s[2:3], v78, s4, v[4:5]
	v_mad_i64_i32 v[6:7], s[2:3], v86, s4, v[2:3]
	v_mad_i64_i32 v[8:9], s[2:3], v88, s4, v[2:3]
	;; [unrolled: 1-line block ×4, first 2 shown]
	global_load_dword v104, v[4:5], off offset:80
	global_load_dword v105, v[6:7], off
	global_load_dword v106, v[8:9], off
	;; [unrolled: 1-line block ×3, first 2 shown]
	s_lshl_b32 s29, s18, 8
	global_load_dword v2, v[2:3], off
	s_cmp_lt_i32 s29, s5
	s_waitcnt vmcnt(20)
	ds_write_b32 v16, v89
	s_waitcnt vmcnt(19)
	ds_write_b32 v20, v91
	;; [unrolled: 2-line block ×21, first 2 shown]
	s_cbranch_scc0 .LBB188_4
; %bb.6:                                ;   in Loop: Header=BB188_5 Depth=1
	s_lshl_b32 s19, s18, 3
	v_add_u32_e32 v2, s19, v15
	v_cmp_gt_i32_e64 s[2:3], s8, v2
	s_and_b64 s[24:25], s[0:1], s[2:3]
	s_and_saveexec_b64 s[2:3], s[24:25]
	s_cbranch_execz .LBB188_8
; %bb.7:                                ;   in Loop: Header=BB188_5 Depth=1
	v_add_u32_e32 v2, v100, v2
	v_mad_i64_i32 v[2:3], s[24:25], v2, 36, v[94:95]
	global_load_dword v2, v[2:3], off offset:4
	s_waitcnt vmcnt(0)
	ds_write_b32 v17, v2
.LBB188_8:                              ;   in Loop: Header=BB188_5 Depth=1
	s_or_b64 exec, exec, s[2:3]
	s_and_saveexec_b64 s[24:25], vcc
	s_cbranch_execz .LBB188_11
; %bb.9:                                ;   in Loop: Header=BB188_5 Depth=1
	v_or_b32_e32 v2, s19, v13
	v_cmp_gt_i32_e64 s[2:3], s8, v2
	s_and_b64 s[2:3], s[0:1], s[2:3]
	s_and_b64 exec, exec, s[2:3]
	s_cbranch_execz .LBB188_11
; %bb.10:                               ;   in Loop: Header=BB188_5 Depth=1
	v_add_u32_e32 v2, v100, v2
	v_mad_i64_i32 v[2:3], s[2:3], v2, 36, s[14:15]
	global_load_dword v2, v[2:3], off
	s_waitcnt vmcnt(0)
	v_cvt_f32_f16_e32 v2, v2
	ds_write_b32 v19, v2
.LBB188_11:                             ;   in Loop: Header=BB188_5 Depth=1
	s_or_b64 exec, exec, s[24:25]
	s_mov_b32 s2, 0
	s_mov_b32 s3, -2
	v_mov_b32_e32 v89, v55
	v_mov_b32_e32 v91, v53
	s_waitcnt lgkmcnt(0)
	s_barrier
.LBB188_12:                             ;   Parent Loop BB188_5 Depth=1
                                        ; =>  This Inner Loop Header: Depth=2
	s_and_b32 s25, s2, -16
	s_add_i32 s24, s3, 2
	v_add_u32_e32 v104, s25, v45
	s_and_b32 s25, s24, 0x3ffffff8
	s_lshr_b32 s30, s24, 2
	s_lshl_b32 s25, s25, 2
	s_and_b32 s30, s30, 0x3ffffffc
	v_add3_u32 v116, v51, s3, v104
	v_add3_u32 v120, v49, s3, v104
	;; [unrolled: 1-line block ×4, first 2 shown]
	v_add_u32_e32 v110, s25, v21
	v_add_u32_e32 v117, s30, v23
	;; [unrolled: 1-line block ×8, first 2 shown]
	ds_read_b32 v102, v89
	ds_read_b128 v[6:9], v91
	ds_read_b128 v[2:5], v91 offset:16
	ds_read2_b32 v[104:105], v110 offset1:1
	ds_read2_b32 v[106:107], v110 offset0:2 offset1:3
	ds_read2_b32 v[108:109], v110 offset0:4 offset1:5
	;; [unrolled: 1-line block ×3, first 2 shown]
	ds_read2_b32 v[112:113], v118 offset1:1
	ds_read2_b32 v[114:115], v118 offset0:2 offset1:3
	ds_read_b32 v148, v117
	ds_read_u16 v149, v116 offset:16898
	ds_read2_b32 v[116:117], v118 offset0:4 offset1:5
	ds_read2_b32 v[118:119], v118 offset0:6 offset1:7
	ds_read_b32 v150, v121
	ds_read_u16 v151, v120 offset:17922
	ds_read2_b32 v[120:121], v126 offset1:1
	ds_read2_b32 v[122:123], v126 offset0:2 offset1:3
	ds_read2_b32 v[124:125], v126 offset0:4 offset1:5
	;; [unrolled: 1-line block ×3, first 2 shown]
	ds_read2_b32 v[128:129], v134 offset1:1
	ds_read2_b32 v[130:131], v134 offset0:2 offset1:3
	ds_read_b32 v152, v133
	ds_read_u16 v153, v132 offset:18946
	ds_read2_b32 v[132:133], v134 offset0:4 offset1:5
	ds_read2_b32 v[134:135], v134 offset0:6 offset1:7
	ds_read_b32 v147, v147
	ds_read_u16 v146, v146 offset:19970
	s_waitcnt lgkmcnt(14)
	v_ashrrev_i32_e32 v154, s24, v104
	v_ashrrev_i32_e32 v155, s24, v105
	;; [unrolled: 1-line block ×8, first 2 shown]
	v_bfe_u32 v162, v149, 4, 4
	v_lshrrev_b32_sdwa v164, v83, v149 dst_sel:DWORD dst_unused:UNUSED_PAD src0_sel:DWORD src1_sel:BYTE_1
	s_waitcnt lgkmcnt(12)
	v_bfe_u32 v165, v151, 4, 4
	v_lshrrev_b32_sdwa v167, v83, v151 dst_sel:DWORD dst_unused:UNUSED_PAD src0_sel:DWORD src1_sel:BYTE_1
	v_cvt_f32_f16_e32 v104, v148
	v_cvt_f32_f16_sdwa v106, v148 dst_sel:DWORD dst_unused:UNUSED_PAD src0_sel:WORD_1
	s_waitcnt lgkmcnt(4)
	v_bfe_u32 v148, v153, 4, 4
	s_waitcnt lgkmcnt(0)
	v_bfe_u32 v169, v146, 4, 4
	v_mov_b32_e32 v103, 0
	v_mov_b32_e32 v138, 0
	;; [unrolled: 1-line block ×4, first 2 shown]
	v_cvt_f32_f16_e32 v109, v147
	v_cvt_f32_f16_e32 v108, v152
	v_cvt_f32_f16_sdwa v111, v147 dst_sel:DWORD dst_unused:UNUSED_PAD src0_sel:WORD_1
	v_cvt_f32_f16_sdwa v110, v152 dst_sel:DWORD dst_unused:UNUSED_PAD src0_sel:WORD_1
	v_and_b32_e32 v147, 0x3030303, v154
	v_and_b32_e32 v152, 0x3030303, v155
	;; [unrolled: 1-line block ×8, first 2 shown]
	v_mul_lo_u32 v160, v162, s6
	v_mul_lo_u32 v161, v164, s6
	;; [unrolled: 1-line block ×6, first 2 shown]
	v_ashrrev_i32_e32 v112, s24, v112
	v_ashrrev_i32_e32 v128, s24, v128
	v_dot4c_i32_i8_e32 v103, v160, v6
	v_dot4c_i32_i8_e32 v138, v162, v6
	;; [unrolled: 1-line block ×4, first 2 shown]
	v_mov_b32_e32 v137, 0
	v_mov_b32_e32 v143, 0
	v_ashrrev_i32_e32 v113, s24, v113
	v_ashrrev_i32_e32 v116, s24, v116
	;; [unrolled: 1-line block ×5, first 2 shown]
	v_and_b32_e32 v112, 0x3030303, v112
	v_and_b32_e32 v128, 0x3030303, v128
	v_dot4c_i32_i8_e32 v103, v160, v7
	v_dot4c_i32_i8_e32 v138, v162, v7
	;; [unrolled: 1-line block ×4, first 2 shown]
	v_mov_b32_e32 v93, 0
	v_mov_b32_e32 v139, 0
	;; [unrolled: 1-line block ×4, first 2 shown]
	v_ashrrev_i32_e32 v114, s24, v114
	v_ashrrev_i32_e32 v117, s24, v117
	;; [unrolled: 1-line block ×4, first 2 shown]
	v_lshrrev_b32_sdwa v168, v83, v153 dst_sel:DWORD dst_unused:UNUSED_PAD src0_sel:DWORD src1_sel:BYTE_1
	v_ashrrev_i32_e32 v130, s24, v130
	v_ashrrev_i32_e32 v133, s24, v133
	v_lshrrev_b32_sdwa v171, v83, v146 dst_sel:DWORD dst_unused:UNUSED_PAD src0_sel:DWORD src1_sel:BYTE_1
	v_and_b32_e32 v113, 0x3030303, v113
	v_and_b32_e32 v116, 0x3030303, v116
	;; [unrolled: 1-line block ×5, first 2 shown]
	v_dot4c_i32_i8_e32 v137, v112, v6
	v_dot4c_i32_i8_e32 v143, v128, v6
	;; [unrolled: 1-line block ×6, first 2 shown]
	v_mov_b32_e32 v136, 0
	v_mov_b32_e32 v142, 0
	v_ashrrev_i32_e32 v115, s24, v115
	v_ashrrev_i32_e32 v118, s24, v118
	;; [unrolled: 1-line block ×6, first 2 shown]
	v_and_b32_e32 v114, 0x3030303, v114
	v_and_b32_e32 v117, 0x3030303, v117
	;; [unrolled: 1-line block ×4, first 2 shown]
	v_mul_lo_u32 v165, v168, s6
	v_and_b32_e32 v130, 0x3030303, v130
	v_and_b32_e32 v133, 0x3030303, v133
	v_mul_lo_u32 v168, v171, s6
	v_dot4c_i32_i8_e32 v93, v147, v6
	v_dot4c_i32_i8_e32 v139, v116, v2
	v_dot4c_i32_i8_e32 v140, v120, v6
	v_dot4c_i32_i8_e32 v145, v132, v2
	v_dot4c_i32_i8_e32 v137, v113, v7
	v_dot4c_i32_i8_e32 v143, v129, v7
	v_dot4c_i32_i8_e32 v103, v160, v9
	v_dot4c_i32_i8_e32 v138, v162, v9
	v_dot4c_i32_i8_e32 v141, v148, v9
	v_dot4c_i32_i8_e32 v144, v167, v9
	v_ashrrev_i32_e32 v119, s24, v119
	v_ashrrev_i32_e32 v123, s24, v123
	;; [unrolled: 1-line block ×4, first 2 shown]
	v_and_b32_e32 v115, 0x3030303, v115
	v_and_b32_e32 v118, 0x3030303, v118
	;; [unrolled: 1-line block ×6, first 2 shown]
	v_dot4c_i32_i8_e32 v136, v156, v2
	v_dot4c_i32_i8_e32 v142, v124, v2
	;; [unrolled: 1-line block ×12, first 2 shown]
	v_and_b32_e32 v166, 15, v151
	v_ashrrev_i32_e32 v127, s24, v127
	v_and_b32_e32 v170, 15, v146
	v_and_b32_e32 v119, 0x3030303, v119
	;; [unrolled: 1-line block ×5, first 2 shown]
	v_dot4c_i32_i8_e32 v136, v157, v3
	v_dot4c_i32_i8_e32 v142, v125, v3
	;; [unrolled: 1-line block ×12, first 2 shown]
	s_add_i32 s2, s2, 2
	v_and_b32_e32 v163, 15, v149
	v_and_b32_sdwa v151, v151, v87 dst_sel:DWORD dst_unused:UNUSED_PAD src0_sel:BYTE_1 src1_sel:DWORD
	v_cvt_f32_f16_e32 v105, v150
	v_cvt_f32_f16_sdwa v107, v150 dst_sel:DWORD dst_unused:UNUSED_PAD src0_sel:WORD_1
	v_and_b32_e32 v150, 15, v153
	v_and_b32_sdwa v146, v146, v87 dst_sel:DWORD dst_unused:UNUSED_PAD src0_sel:BYTE_1 src1_sel:DWORD
	v_and_b32_e32 v127, 0x3030303, v127
	v_dot4c_i32_i8_e32 v136, v158, v4
	v_dot4c_i32_i8_e32 v142, v126, v4
	;; [unrolled: 1-line block ×6, first 2 shown]
	v_mul_lo_u32 v8, v166, v137
	v_mul_lo_u32 v114, v170, v143
	v_dot4c_i32_i8_e32 v103, v161, v4
	v_dot4c_i32_i8_e32 v138, v164, v4
	;; [unrolled: 1-line block ×4, first 2 shown]
	s_mov_b32 s3, s24
	s_cmp_lt_u32 s24, 6
	v_and_b32_sdwa v149, v149, v87 dst_sel:DWORD dst_unused:UNUSED_PAD src0_sel:BYTE_1 src1_sel:DWORD
	v_and_b32_sdwa v153, v153, v87 dst_sel:DWORD dst_unused:UNUSED_PAD src0_sel:BYTE_1 src1_sel:DWORD
	v_dot4c_i32_i8_e32 v136, v159, v5
	v_dot4c_i32_i8_e32 v142, v127, v5
	v_mul_lo_u32 v6, v163, v93
	v_mul_lo_u32 v112, v150, v140
	v_mad_u64_u32 v[8:9], s[24:25], v151, v139, v[8:9]
	v_mad_u64_u32 v[2:3], s[24:25], v146, v145, v[114:115]
	v_dot4c_i32_i8_e32 v103, v161, v5
	v_dot4c_i32_i8_e32 v138, v164, v5
	;; [unrolled: 1-line block ×4, first 2 shown]
	v_mad_u64_u32 v[6:7], s[24:25], v149, v136, v[6:7]
	v_mad_u64_u32 v[112:113], s[24:25], v153, v142, v[112:113]
	v_cvt_f32_i32_e32 v9, v2
	v_cvt_f32_i32_e32 v3, v138
	;; [unrolled: 1-line block ×8, first 2 shown]
	v_pk_mul_f32 v[2:3], v[106:107], v[2:3]
	v_pk_mul_f32 v[4:5], v[110:111], v[4:5]
	v_pk_fma_f32 v[2:3], v[6:7], v[104:105], v[2:3] neg_lo:[0,0,1] neg_hi:[0,0,1]
	v_pk_fma_f32 v[4:5], v[8:9], v[108:109], v[4:5] neg_lo:[0,0,1] neg_hi:[0,0,1]
	v_add_u32_e32 v91, 32, v91
	v_add_u32_e32 v89, 4, v89
	v_pk_fma_f32 v[98:99], v[102:103], v[2:3], v[98:99] op_sel_hi:[0,1,1]
	v_pk_fma_f32 v[96:97], v[102:103], v[4:5], v[96:97] op_sel_hi:[0,1,1]
	s_cbranch_scc1 .LBB188_12
; %bb.13:                               ;   in Loop: Header=BB188_5 Depth=1
	s_or_b32 s2, s29, 0x80
	s_cmp_ge_i32 s2, s5
	s_barrier
	s_cbranch_scc1 .LBB188_4
; %bb.14:                               ;   in Loop: Header=BB188_5 Depth=1
	v_add_u32_e32 v2, s19, v37
	v_cmp_gt_i32_e64 s[2:3], s8, v2
	s_and_b64 s[24:25], s[0:1], s[2:3]
	s_and_saveexec_b64 s[2:3], s[24:25]
	s_cbranch_execz .LBB188_16
; %bb.15:                               ;   in Loop: Header=BB188_5 Depth=1
	v_add_u32_e32 v2, v100, v2
	v_mad_i64_i32 v[2:3], s[24:25], v2, 36, v[94:95]
	global_load_dword v2, v[2:3], off offset:4
	s_waitcnt vmcnt(0)
	ds_write_b32 v17, v2
.LBB188_16:                             ;   in Loop: Header=BB188_5 Depth=1
	s_or_b64 exec, exec, s[2:3]
	s_and_saveexec_b64 s[24:25], vcc
	s_cbranch_execz .LBB188_19
; %bb.17:                               ;   in Loop: Header=BB188_5 Depth=1
	v_or_b32_e32 v2, s19, v13
	v_or_b32_e32 v3, 4, v2
	v_cmp_gt_i32_e64 s[2:3], s8, v3
	s_and_b64 s[2:3], s[0:1], s[2:3]
	s_and_b64 exec, exec, s[2:3]
	s_cbranch_execz .LBB188_19
; %bb.18:                               ;   in Loop: Header=BB188_5 Depth=1
	v_ashrrev_i32_e32 v3, 31, v2
	v_lshl_add_u64 v[2:3], v[100:101], 0, v[2:3]
	v_mad_u64_u32 v[4:5], s[2:3], v2, 36, s[12:13]
	v_mad_i32_i24 v5, v3, 36, v5
	global_load_dword v2, v[4:5], off
	s_waitcnt vmcnt(0)
	v_cvt_f32_f16_e32 v2, v2
	ds_write_b32 v19, v2
.LBB188_19:                             ;   in Loop: Header=BB188_5 Depth=1
	s_or_b64 exec, exec, s[24:25]
	s_mov_b32 s2, 8
	s_mov_b32 s3, 0
	v_mov_b32_e32 v89, v53
	v_mov_b32_e32 v91, v55
	s_waitcnt lgkmcnt(0)
	s_barrier
.LBB188_20:                             ;   Parent Loop BB188_5 Depth=1
                                        ; =>  This Inner Loop Header: Depth=2
	s_add_i32 s24, s3, 8
	s_and_b32 s25, s2, -16
	v_add_u32_e32 v93, s3, v45
	s_and_b32 s30, s24, 0x3ffffff8
	s_lshr_b32 s31, s24, 2
	v_add3_u32 v116, v63, s25, v93
	v_add3_u32 v120, v61, s25, v93
	;; [unrolled: 1-line block ×4, first 2 shown]
	s_lshl_b32 s25, s30, 2
	s_and_b32 s30, s31, 0x3ffffffc
	v_add_u32_e32 v110, s25, v21
	v_add_u32_e32 v117, s30, v23
	;; [unrolled: 1-line block ×8, first 2 shown]
	ds_read_b32 v102, v91
	ds_read_b128 v[6:9], v89
	ds_read_b128 v[2:5], v89 offset:16
	ds_read2_b32 v[104:105], v110 offset1:1
	ds_read2_b32 v[106:107], v110 offset0:2 offset1:3
	ds_read2_b32 v[108:109], v110 offset0:4 offset1:5
	;; [unrolled: 1-line block ×3, first 2 shown]
	ds_read2_b32 v[112:113], v118 offset1:1
	ds_read2_b32 v[114:115], v118 offset0:2 offset1:3
	ds_read_b32 v148, v117
	ds_read_u16 v149, v116
	ds_read2_b32 v[116:117], v118 offset0:4 offset1:5
	ds_read2_b32 v[118:119], v118 offset0:6 offset1:7
	ds_read_b32 v150, v121
	ds_read_u16 v151, v120
	ds_read2_b32 v[120:121], v126 offset1:1
	ds_read2_b32 v[122:123], v126 offset0:2 offset1:3
	ds_read2_b32 v[124:125], v126 offset0:4 offset1:5
	;; [unrolled: 1-line block ×3, first 2 shown]
	ds_read2_b32 v[128:129], v134 offset1:1
	ds_read2_b32 v[130:131], v134 offset0:2 offset1:3
	ds_read_b32 v152, v133
	ds_read_u16 v153, v132
	ds_read2_b32 v[132:133], v134 offset0:4 offset1:5
	ds_read2_b32 v[134:135], v134 offset0:6 offset1:7
	ds_read_b32 v147, v147
	ds_read_u16 v93, v93
	s_waitcnt lgkmcnt(14)
	v_ashrrev_i32_e32 v154, s3, v104
	v_ashrrev_i32_e32 v155, s3, v105
	;; [unrolled: 1-line block ×8, first 2 shown]
	v_bfe_u32 v162, v149, 4, 4
	v_lshrrev_b32_sdwa v164, v83, v149 dst_sel:DWORD dst_unused:UNUSED_PAD src0_sel:DWORD src1_sel:BYTE_1
	s_waitcnt lgkmcnt(12)
	v_bfe_u32 v165, v151, 4, 4
	v_lshrrev_b32_sdwa v167, v83, v151 dst_sel:DWORD dst_unused:UNUSED_PAD src0_sel:DWORD src1_sel:BYTE_1
	v_cvt_f32_f16_e32 v104, v148
	v_cvt_f32_f16_sdwa v106, v148 dst_sel:DWORD dst_unused:UNUSED_PAD src0_sel:WORD_1
	s_waitcnt lgkmcnt(4)
	v_bfe_u32 v148, v153, 4, 4
	s_waitcnt lgkmcnt(0)
	v_bfe_u32 v169, v93, 4, 4
	v_mov_b32_e32 v136, 0
	v_mov_b32_e32 v139, 0
	;; [unrolled: 1-line block ×4, first 2 shown]
	v_cvt_f32_f16_e32 v109, v147
	v_cvt_f32_f16_e32 v108, v152
	v_cvt_f32_f16_sdwa v111, v147 dst_sel:DWORD dst_unused:UNUSED_PAD src0_sel:WORD_1
	v_cvt_f32_f16_sdwa v110, v152 dst_sel:DWORD dst_unused:UNUSED_PAD src0_sel:WORD_1
	v_and_b32_e32 v147, 0x3030303, v154
	v_and_b32_e32 v152, 0x3030303, v155
	v_and_b32_e32 v154, 0x3030303, v156
	v_and_b32_e32 v155, 0x3030303, v157
	v_and_b32_e32 v156, 0x3030303, v158
	v_and_b32_e32 v157, 0x3030303, v159
	v_and_b32_e32 v158, 0x3030303, v160
	v_and_b32_e32 v159, 0x3030303, v161
	v_mul_lo_u32 v160, v162, s6
	v_mul_lo_u32 v161, v164, s6
	;; [unrolled: 1-line block ×6, first 2 shown]
	v_ashrrev_i32_e32 v112, s3, v112
	v_dot4c_i32_i8_e32 v136, v160, v6
	v_dot4c_i32_i8_e32 v139, v162, v6
	;; [unrolled: 1-line block ×4, first 2 shown]
	v_mov_b32_e32 v103, 0
	v_mov_b32_e32 v138, 0
	v_ashrrev_i32_e32 v113, s3, v113
	v_ashrrev_i32_e32 v116, s3, v116
	;; [unrolled: 1-line block ×4, first 2 shown]
	v_and_b32_e32 v112, 0x3030303, v112
	v_dot4c_i32_i8_e32 v136, v160, v7
	v_dot4c_i32_i8_e32 v139, v162, v7
	;; [unrolled: 1-line block ×4, first 2 shown]
	v_mov_b32_e32 v137, 0
	v_mov_b32_e32 v140, 0
	v_mov_b32_e32 v141, 0
	v_mov_b32_e32 v144, 0
	v_ashrrev_i32_e32 v114, s3, v114
	v_ashrrev_i32_e32 v117, s3, v117
	;; [unrolled: 1-line block ×4, first 2 shown]
	v_lshrrev_b32_sdwa v168, v83, v153 dst_sel:DWORD dst_unused:UNUSED_PAD src0_sel:DWORD src1_sel:BYTE_1
	v_ashrrev_i32_e32 v129, s3, v129
	v_ashrrev_i32_e32 v132, s3, v132
	v_lshrrev_b32_sdwa v171, v83, v93 dst_sel:DWORD dst_unused:UNUSED_PAD src0_sel:DWORD src1_sel:BYTE_1
	v_and_b32_e32 v113, 0x3030303, v113
	v_and_b32_e32 v116, 0x3030303, v116
	v_and_b32_e32 v120, 0x3030303, v120
	v_and_b32_e32 v128, 0x3030303, v128
	v_dot4c_i32_i8_e32 v103, v147, v6
	v_dot4c_i32_i8_e32 v138, v112, v6
	;; [unrolled: 1-line block ×6, first 2 shown]
	v_mov_b32_e32 v143, 0
	v_mov_b32_e32 v146, 0
	v_ashrrev_i32_e32 v115, s3, v115
	v_ashrrev_i32_e32 v118, s3, v118
	v_ashrrev_i32_e32 v122, s3, v122
	v_ashrrev_i32_e32 v125, s3, v125
	v_ashrrev_i32_e32 v130, s3, v130
	v_ashrrev_i32_e32 v133, s3, v133
	v_and_b32_e32 v114, 0x3030303, v114
	v_and_b32_e32 v117, 0x3030303, v117
	;; [unrolled: 1-line block ×4, first 2 shown]
	v_mul_lo_u32 v165, v168, s6
	v_and_b32_e32 v129, 0x3030303, v129
	v_and_b32_e32 v132, 0x3030303, v132
	v_mul_lo_u32 v168, v171, s6
	v_dot4c_i32_i8_e32 v137, v156, v2
	v_dot4c_i32_i8_e32 v140, v116, v2
	;; [unrolled: 1-line block ×10, first 2 shown]
	v_ashrrev_i32_e32 v119, s3, v119
	v_ashrrev_i32_e32 v123, s3, v123
	v_ashrrev_i32_e32 v126, s3, v126
	v_ashrrev_i32_e32 v131, s3, v131
	v_ashrrev_i32_e32 v134, s3, v134
	v_and_b32_e32 v115, 0x3030303, v115
	v_and_b32_e32 v118, 0x3030303, v118
	;; [unrolled: 1-line block ×6, first 2 shown]
	v_dot4c_i32_i8_e32 v143, v124, v2
	v_dot4c_i32_i8_e32 v146, v132, v2
	;; [unrolled: 1-line block ×12, first 2 shown]
	v_and_b32_e32 v163, 15, v149
	v_and_b32_e32 v166, 15, v151
	v_ashrrev_i32_e32 v127, s3, v127
	v_ashrrev_i32_e32 v135, s3, v135
	v_and_b32_e32 v119, 0x3030303, v119
	v_and_b32_e32 v123, 0x3030303, v123
	;; [unrolled: 1-line block ×5, first 2 shown]
	v_dot4c_i32_i8_e32 v143, v125, v3
	v_dot4c_i32_i8_e32 v146, v133, v3
	;; [unrolled: 1-line block ×12, first 2 shown]
	s_add_i32 s2, s2, 2
	v_and_b32_sdwa v149, v149, v87 dst_sel:DWORD dst_unused:UNUSED_PAD src0_sel:BYTE_1 src1_sel:DWORD
	v_and_b32_sdwa v151, v151, v87 dst_sel:DWORD dst_unused:UNUSED_PAD src0_sel:BYTE_1 src1_sel:DWORD
	v_cvt_f32_f16_e32 v105, v150
	v_cvt_f32_f16_sdwa v107, v150 dst_sel:DWORD dst_unused:UNUSED_PAD src0_sel:WORD_1
	v_and_b32_e32 v150, 15, v153
	v_and_b32_e32 v170, 15, v93
	s_add_i32 s3, s3, 2
	v_and_b32_e32 v127, 0x3030303, v127
	v_and_b32_e32 v135, 0x3030303, v135
	v_dot4c_i32_i8_e32 v143, v126, v4
	v_dot4c_i32_i8_e32 v146, v134, v4
	;; [unrolled: 1-line block ×6, first 2 shown]
	v_mul_lo_u32 v6, v163, v103
	v_mul_lo_u32 v8, v166, v138
	v_dot4c_i32_i8_e32 v136, v161, v4
	v_dot4c_i32_i8_e32 v139, v164, v4
	;; [unrolled: 1-line block ×4, first 2 shown]
	v_and_b32_sdwa v153, v153, v87 dst_sel:DWORD dst_unused:UNUSED_PAD src0_sel:BYTE_1 src1_sel:DWORD
	v_and_b32_sdwa v93, v93, v87 dst_sel:DWORD dst_unused:UNUSED_PAD src0_sel:BYTE_1 src1_sel:DWORD
	s_cmp_lt_u32 s24, 14
	v_dot4c_i32_i8_e32 v143, v127, v5
	v_dot4c_i32_i8_e32 v146, v135, v5
	v_mul_lo_u32 v112, v150, v141
	v_mul_lo_u32 v114, v170, v144
	v_mad_u64_u32 v[6:7], s[24:25], v149, v137, v[6:7]
	v_mad_u64_u32 v[8:9], s[24:25], v151, v140, v[8:9]
	v_dot4c_i32_i8_e32 v136, v161, v5
	v_dot4c_i32_i8_e32 v139, v164, v5
	;; [unrolled: 1-line block ×4, first 2 shown]
	v_mad_u64_u32 v[2:3], s[24:25], v153, v143, v[112:113]
	v_mad_u64_u32 v[112:113], s[24:25], v93, v146, v[114:115]
	v_cvt_f32_i32_e32 v7, v8
	v_cvt_f32_i32_e32 v5, v139
	;; [unrolled: 1-line block ×8, first 2 shown]
	v_pk_mul_f32 v[4:5], v[106:107], v[4:5]
	v_pk_mul_f32 v[8:9], v[110:111], v[8:9]
	v_pk_fma_f32 v[4:5], v[104:105], v[6:7], v[4:5] neg_lo:[0,0,1] neg_hi:[0,0,1]
	v_pk_fma_f32 v[2:3], v[108:109], v[2:3], v[8:9] neg_lo:[0,0,1] neg_hi:[0,0,1]
	v_add_u32_e32 v91, 4, v91
	v_add_u32_e32 v89, 32, v89
	v_pk_fma_f32 v[98:99], v[102:103], v[4:5], v[98:99] op_sel_hi:[0,1,1]
	v_pk_fma_f32 v[96:97], v[102:103], v[2:3], v[96:97] op_sel_hi:[0,1,1]
	s_cbranch_scc1 .LBB188_20
; %bb.21:                               ;   in Loop: Header=BB188_5 Depth=1
	s_or_b32 s2, s29, 0x100
	s_cmp_ge_i32 s2, s5
	s_barrier
	s_cbranch_scc1 .LBB188_4
; %bb.22:                               ;   in Loop: Header=BB188_5 Depth=1
	v_add_u32_e32 v2, s19, v39
	v_cmp_gt_i32_e64 s[2:3], s8, v2
	s_and_b64 s[24:25], s[0:1], s[2:3]
	s_and_saveexec_b64 s[2:3], s[24:25]
	s_cbranch_execz .LBB188_24
; %bb.23:                               ;   in Loop: Header=BB188_5 Depth=1
	v_add_u32_e32 v2, v100, v2
	v_mad_i64_i32 v[2:3], s[24:25], v2, 36, v[94:95]
	global_load_dword v2, v[2:3], off offset:4
	s_waitcnt vmcnt(0)
	ds_write_b32 v17, v2
.LBB188_24:                             ;   in Loop: Header=BB188_5 Depth=1
	s_or_b64 exec, exec, s[2:3]
	s_and_saveexec_b64 s[24:25], vcc
	s_cbranch_execz .LBB188_27
; %bb.25:                               ;   in Loop: Header=BB188_5 Depth=1
	v_or_b32_e32 v2, s19, v13
	v_or_b32_e32 v3, 8, v2
	v_cmp_gt_i32_e64 s[2:3], s8, v3
	s_and_b64 s[2:3], s[0:1], s[2:3]
	s_and_b64 exec, exec, s[2:3]
	s_cbranch_execz .LBB188_27
; %bb.26:                               ;   in Loop: Header=BB188_5 Depth=1
	v_ashrrev_i32_e32 v3, 31, v2
	v_lshl_add_u64 v[2:3], v[100:101], 0, v[2:3]
	v_mad_u64_u32 v[4:5], s[2:3], v2, 36, s[20:21]
	v_mad_i32_i24 v5, v3, 36, v5
	global_load_dword v2, v[4:5], off
	s_waitcnt vmcnt(0)
	v_cvt_f32_f16_e32 v2, v2
	ds_write_b32 v19, v2
.LBB188_27:                             ;   in Loop: Header=BB188_5 Depth=1
	s_or_b64 exec, exec, s[24:25]
	s_mov_b32 s2, 16
	s_mov_b32 s3, 14
	v_mov_b32_e32 v89, v53
	v_mov_b32_e32 v91, v55
	s_waitcnt lgkmcnt(0)
	s_barrier
.LBB188_28:                             ;   Parent Loop BB188_5 Depth=1
                                        ; =>  This Inner Loop Header: Depth=2
	s_add_i32 s25, s3, 2
	s_and_b32 s30, s2, -16
	s_and_b32 s31, s25, 0x3ffffff8
	s_lshr_b32 s33, s25, 2
	s_add_i32 s30, s3, s30
	s_lshl_b32 s31, s31, 2
	s_and_b32 s33, s33, 0x3ffffffc
	v_add_u32_e32 v116, s30, v71
	v_add_u32_e32 v120, s30, v69
	;; [unrolled: 1-line block ×12, first 2 shown]
	ds_read_b32 v102, v91
	ds_read_b128 v[6:9], v89
	ds_read_b128 v[2:5], v89 offset:16
	ds_read2_b32 v[104:105], v110 offset1:1
	ds_read2_b32 v[106:107], v110 offset0:2 offset1:3
	ds_read2_b32 v[108:109], v110 offset0:4 offset1:5
	;; [unrolled: 1-line block ×3, first 2 shown]
	ds_read2_b32 v[112:113], v118 offset1:1
	ds_read2_b32 v[114:115], v118 offset0:2 offset1:3
	ds_read_b32 v148, v117
	ds_read_u16 v149, v116 offset:16882
	ds_read2_b32 v[116:117], v118 offset0:4 offset1:5
	ds_read2_b32 v[118:119], v118 offset0:6 offset1:7
	ds_read_b32 v150, v121
	ds_read_u16 v151, v120 offset:17906
	ds_read2_b32 v[120:121], v126 offset1:1
	ds_read2_b32 v[122:123], v126 offset0:2 offset1:3
	ds_read2_b32 v[124:125], v126 offset0:4 offset1:5
	;; [unrolled: 1-line block ×3, first 2 shown]
	ds_read2_b32 v[128:129], v134 offset1:1
	ds_read2_b32 v[130:131], v134 offset0:2 offset1:3
	ds_read_b32 v152, v133
	ds_read_u16 v153, v132 offset:18930
	ds_read2_b32 v[132:133], v134 offset0:4 offset1:5
	ds_read2_b32 v[134:135], v134 offset0:6 offset1:7
	ds_read_b32 v147, v147
	ds_read_u16 v146, v146 offset:19954
	s_add_i32 s24, s3, -14
	s_waitcnt lgkmcnt(14)
	v_ashrrev_i32_e32 v154, s24, v104
	v_ashrrev_i32_e32 v156, s24, v106
	;; [unrolled: 1-line block ×4, first 2 shown]
	v_bfe_u32 v162, v149, 4, 4
	s_waitcnt lgkmcnt(12)
	v_bfe_u32 v164, v151, 4, 4
	v_cvt_f32_f16_e32 v104, v148
	v_cvt_f32_f16_sdwa v106, v148 dst_sel:DWORD dst_unused:UNUSED_PAD src0_sel:WORD_1
	s_waitcnt lgkmcnt(4)
	v_bfe_u32 v148, v153, 4, 4
	s_waitcnt lgkmcnt(0)
	v_bfe_u32 v168, v146, 4, 4
	v_mov_b32_e32 v103, 0
	v_mov_b32_e32 v138, 0
	;; [unrolled: 1-line block ×4, first 2 shown]
	v_ashrrev_i32_e32 v159, s24, v109
	v_ashrrev_i32_e32 v161, s24, v111
	v_cvt_f32_f16_e32 v109, v147
	v_cvt_f32_f16_sdwa v111, v147 dst_sel:DWORD dst_unused:UNUSED_PAD src0_sel:WORD_1
	v_and_b32_e32 v147, 0x3030303, v154
	v_and_b32_e32 v154, 0x3030303, v156
	;; [unrolled: 1-line block ×4, first 2 shown]
	v_mul_lo_u32 v160, v162, s6
	v_mul_lo_u32 v162, v164, s6
	;; [unrolled: 1-line block ×4, first 2 shown]
	v_ashrrev_i32_e32 v112, s24, v112
	v_dot4c_i32_i8_e32 v103, v160, v6
	v_dot4c_i32_i8_e32 v138, v162, v6
	;; [unrolled: 1-line block ×4, first 2 shown]
	v_mov_b32_e32 v93, 0
	v_mov_b32_e32 v137, 0
	v_ashrrev_i32_e32 v155, s24, v105
	v_ashrrev_i32_e32 v113, s24, v113
	;; [unrolled: 1-line block ×5, first 2 shown]
	v_and_b32_e32 v112, 0x3030303, v112
	v_dot4c_i32_i8_e32 v103, v160, v7
	v_dot4c_i32_i8_e32 v138, v162, v7
	;; [unrolled: 1-line block ×4, first 2 shown]
	v_mov_b32_e32 v136, 0
	v_mov_b32_e32 v139, 0
	;; [unrolled: 1-line block ×4, first 2 shown]
	v_ashrrev_i32_e32 v157, s24, v107
	v_lshrrev_b32_sdwa v163, v83, v149 dst_sel:DWORD dst_unused:UNUSED_PAD src0_sel:DWORD src1_sel:BYTE_1
	v_ashrrev_i32_e32 v114, s24, v114
	v_ashrrev_i32_e32 v117, s24, v117
	v_lshrrev_b32_sdwa v165, v83, v151 dst_sel:DWORD dst_unused:UNUSED_PAD src0_sel:DWORD src1_sel:BYTE_1
	v_cvt_f32_f16_e32 v105, v150
	v_cvt_f32_f16_sdwa v107, v150 dst_sel:DWORD dst_unused:UNUSED_PAD src0_sel:WORD_1
	v_ashrrev_i32_e32 v121, s24, v121
	v_ashrrev_i32_e32 v124, s24, v124
	v_lshrrev_b32_sdwa v150, v83, v153 dst_sel:DWORD dst_unused:UNUSED_PAD src0_sel:DWORD src1_sel:BYTE_1
	v_ashrrev_i32_e32 v129, s24, v129
	v_ashrrev_i32_e32 v132, s24, v132
	v_lshrrev_b32_sdwa v169, v83, v146 dst_sel:DWORD dst_unused:UNUSED_PAD src0_sel:DWORD src1_sel:BYTE_1
	v_cvt_f32_f16_e32 v108, v152
	v_cvt_f32_f16_sdwa v110, v152 dst_sel:DWORD dst_unused:UNUSED_PAD src0_sel:WORD_1
	v_and_b32_e32 v152, 0x3030303, v155
	v_and_b32_e32 v113, 0x3030303, v113
	;; [unrolled: 1-line block ×5, first 2 shown]
	v_dot4c_i32_i8_e32 v93, v147, v6
	v_dot4c_i32_i8_e32 v137, v112, v6
	;; [unrolled: 1-line block ×6, first 2 shown]
	v_mov_b32_e32 v142, 0
	v_mov_b32_e32 v145, 0
	v_ashrrev_i32_e32 v115, s24, v115
	v_ashrrev_i32_e32 v118, s24, v118
	;; [unrolled: 1-line block ×6, first 2 shown]
	v_and_b32_e32 v155, 0x3030303, v157
	v_and_b32_e32 v157, 0x3030303, v159
	;; [unrolled: 1-line block ×3, first 2 shown]
	v_mul_lo_u32 v161, v163, s6
	v_and_b32_e32 v114, 0x3030303, v114
	v_and_b32_e32 v117, 0x3030303, v117
	v_mul_lo_u32 v163, v165, s6
	v_and_b32_e32 v121, 0x3030303, v121
	v_and_b32_e32 v124, 0x3030303, v124
	v_mul_lo_u32 v150, v150, s6
	v_and_b32_e32 v129, 0x3030303, v129
	v_and_b32_e32 v132, 0x3030303, v132
	v_mul_lo_u32 v165, v169, s6
	v_dot4c_i32_i8_e32 v136, v156, v2
	v_dot4c_i32_i8_e32 v139, v116, v2
	;; [unrolled: 1-line block ×10, first 2 shown]
	v_ashrrev_i32_e32 v119, s24, v119
	v_ashrrev_i32_e32 v123, s24, v123
	;; [unrolled: 1-line block ×5, first 2 shown]
	v_and_b32_e32 v115, 0x3030303, v115
	v_and_b32_e32 v118, 0x3030303, v118
	;; [unrolled: 1-line block ×6, first 2 shown]
	v_dot4c_i32_i8_e32 v142, v124, v2
	v_dot4c_i32_i8_e32 v145, v132, v2
	;; [unrolled: 1-line block ×12, first 2 shown]
	v_and_b32_e32 v166, 15, v149
	v_and_b32_e32 v167, 15, v151
	v_ashrrev_i32_e32 v127, s24, v127
	v_ashrrev_i32_e32 v135, s24, v135
	v_and_b32_e32 v119, 0x3030303, v119
	v_and_b32_e32 v123, 0x3030303, v123
	;; [unrolled: 1-line block ×5, first 2 shown]
	v_dot4c_i32_i8_e32 v142, v125, v3
	v_dot4c_i32_i8_e32 v145, v133, v3
	;; [unrolled: 1-line block ×12, first 2 shown]
	s_add_i32 s2, s2, 2
	v_and_b32_sdwa v151, v151, v87 dst_sel:DWORD dst_unused:UNUSED_PAD src0_sel:BYTE_1 src1_sel:DWORD
	v_and_b32_sdwa v149, v149, v87 dst_sel:DWORD dst_unused:UNUSED_PAD src0_sel:BYTE_1 src1_sel:DWORD
	v_and_b32_e32 v170, 15, v153
	v_and_b32_e32 v171, 15, v146
	;; [unrolled: 1-line block ×4, first 2 shown]
	v_dot4c_i32_i8_e32 v142, v126, v4
	v_dot4c_i32_i8_e32 v145, v134, v4
	;; [unrolled: 1-line block ×6, first 2 shown]
	v_mul_lo_u32 v6, v167, v137
	v_mul_lo_u32 v8, v166, v93
	v_dot4c_i32_i8_e32 v103, v161, v4
	v_dot4c_i32_i8_e32 v138, v163, v4
	;; [unrolled: 1-line block ×4, first 2 shown]
	s_mov_b32 s3, s25
	s_cmp_lt_u32 s25, 22
	v_and_b32_sdwa v146, v146, v87 dst_sel:DWORD dst_unused:UNUSED_PAD src0_sel:BYTE_1 src1_sel:DWORD
	v_and_b32_sdwa v153, v153, v87 dst_sel:DWORD dst_unused:UNUSED_PAD src0_sel:BYTE_1 src1_sel:DWORD
	v_dot4c_i32_i8_e32 v142, v127, v5
	v_dot4c_i32_i8_e32 v145, v135, v5
	v_mul_lo_u32 v2, v171, v143
	v_mul_lo_u32 v112, v170, v140
	v_mad_u64_u32 v[8:9], s[24:25], v149, v136, v[8:9]
	v_mad_u64_u32 v[6:7], s[24:25], v151, v139, v[6:7]
	v_dot4c_i32_i8_e32 v103, v161, v5
	v_dot4c_i32_i8_e32 v138, v163, v5
	;; [unrolled: 1-line block ×4, first 2 shown]
	v_mad_u64_u32 v[112:113], s[24:25], v153, v142, v[112:113]
	v_mad_u64_u32 v[2:3], s[24:25], v146, v145, v[2:3]
	v_cvt_f32_i32_e32 v7, v6
	v_cvt_f32_i32_e32 v6, v8
	;; [unrolled: 1-line block ×8, first 2 shown]
	v_pk_mul_f32 v[4:5], v[106:107], v[4:5]
	v_pk_mul_f32 v[8:9], v[110:111], v[8:9]
	v_pk_fma_f32 v[4:5], v[104:105], v[6:7], v[4:5] neg_lo:[0,0,1] neg_hi:[0,0,1]
	v_pk_fma_f32 v[2:3], v[108:109], v[2:3], v[8:9] neg_lo:[0,0,1] neg_hi:[0,0,1]
	v_add_u32_e32 v91, 4, v91
	v_add_u32_e32 v89, 32, v89
	v_pk_fma_f32 v[98:99], v[102:103], v[4:5], v[98:99] op_sel_hi:[0,1,1]
	v_pk_fma_f32 v[96:97], v[102:103], v[2:3], v[96:97] op_sel_hi:[0,1,1]
	s_cbranch_scc1 .LBB188_28
; %bb.29:                               ;   in Loop: Header=BB188_5 Depth=1
	s_or_b32 s2, s29, 0x180
	s_cmp_ge_i32 s2, s5
	s_barrier
	s_cbranch_scc1 .LBB188_4
; %bb.30:                               ;   in Loop: Header=BB188_5 Depth=1
	v_add_u32_e32 v2, s19, v41
	v_cmp_gt_i32_e64 s[2:3], s8, v2
	s_and_b64 s[24:25], s[0:1], s[2:3]
	s_and_saveexec_b64 s[2:3], s[24:25]
	s_cbranch_execz .LBB188_32
; %bb.31:                               ;   in Loop: Header=BB188_5 Depth=1
	v_add_u32_e32 v2, v100, v2
	v_mad_i64_i32 v[2:3], s[24:25], v2, 36, v[94:95]
	global_load_dword v2, v[2:3], off offset:4
	s_waitcnt vmcnt(0)
	ds_write_b32 v17, v2
.LBB188_32:                             ;   in Loop: Header=BB188_5 Depth=1
	s_or_b64 exec, exec, s[2:3]
	s_and_saveexec_b64 s[24:25], vcc
	s_cbranch_execz .LBB188_35
; %bb.33:                               ;   in Loop: Header=BB188_5 Depth=1
	v_or_b32_e32 v2, s19, v13
	v_or_b32_e32 v3, 12, v2
	v_cmp_gt_i32_e64 s[2:3], s8, v3
	s_and_b64 s[2:3], s[0:1], s[2:3]
	s_and_b64 exec, exec, s[2:3]
	s_cbranch_execz .LBB188_35
; %bb.34:                               ;   in Loop: Header=BB188_5 Depth=1
	v_ashrrev_i32_e32 v3, 31, v2
	v_lshl_add_u64 v[2:3], v[100:101], 0, v[2:3]
	v_mad_u64_u32 v[4:5], s[2:3], v2, 36, s[22:23]
	v_mad_i32_i24 v5, v3, 36, v5
	global_load_dword v2, v[4:5], off
	s_waitcnt vmcnt(0)
	v_cvt_f32_f16_e32 v2, v2
	ds_write_b32 v19, v2
.LBB188_35:                             ;   in Loop: Header=BB188_5 Depth=1
	s_or_b64 exec, exec, s[24:25]
	s_mov_b32 s2, 24
	s_mov_b32 s3, 22
	v_mov_b32_e32 v89, v53
	v_mov_b32_e32 v91, v55
	s_waitcnt lgkmcnt(0)
	s_barrier
.LBB188_36:                             ;   Parent Loop BB188_5 Depth=1
                                        ; =>  This Inner Loop Header: Depth=2
	s_add_i32 s24, s3, 2
	s_and_b32 s25, s2, -16
	s_and_b32 s29, s24, 0x3ffffff8
	s_lshr_b32 s30, s24, 2
	s_add_i32 s25, s3, s25
	s_lshl_b32 s29, s29, 2
	s_and_b32 s30, s30, 0x3ffffffc
	v_add_u32_e32 v116, s25, v71
	v_add_u32_e32 v120, s25, v69
	;; [unrolled: 1-line block ×12, first 2 shown]
	ds_read_b32 v102, v91
	ds_read_b128 v[6:9], v89
	ds_read_b128 v[2:5], v89 offset:16
	ds_read2_b32 v[104:105], v110 offset1:1
	ds_read2_b32 v[106:107], v110 offset0:2 offset1:3
	ds_read2_b32 v[108:109], v110 offset0:4 offset1:5
	;; [unrolled: 1-line block ×3, first 2 shown]
	ds_read2_b32 v[112:113], v118 offset1:1
	ds_read2_b32 v[114:115], v118 offset0:2 offset1:3
	ds_read_b32 v148, v117
	ds_read_u16 v149, v116 offset:16882
	ds_read2_b32 v[116:117], v118 offset0:4 offset1:5
	ds_read2_b32 v[118:119], v118 offset0:6 offset1:7
	ds_read_b32 v150, v121
	ds_read_u16 v151, v120 offset:17906
	ds_read2_b32 v[120:121], v126 offset1:1
	ds_read2_b32 v[122:123], v126 offset0:2 offset1:3
	ds_read2_b32 v[124:125], v126 offset0:4 offset1:5
	;; [unrolled: 1-line block ×3, first 2 shown]
	ds_read2_b32 v[128:129], v134 offset1:1
	ds_read2_b32 v[130:131], v134 offset0:2 offset1:3
	ds_read_b32 v152, v133
	ds_read_u16 v153, v132 offset:18930
	ds_read2_b32 v[132:133], v134 offset0:4 offset1:5
	ds_read2_b32 v[134:135], v134 offset0:6 offset1:7
	ds_read_b32 v147, v147
	ds_read_u16 v146, v146 offset:19954
	s_sub_i32 s19, s3, 22
	s_waitcnt lgkmcnt(14)
	v_ashrrev_i32_e32 v154, s19, v104
	v_ashrrev_i32_e32 v156, s19, v106
	v_ashrrev_i32_e32 v158, s19, v108
	v_ashrrev_i32_e32 v160, s19, v110
	v_bfe_u32 v162, v149, 4, 4
	s_waitcnt lgkmcnt(12)
	v_bfe_u32 v164, v151, 4, 4
	v_cvt_f32_f16_e32 v104, v148
	v_cvt_f32_f16_sdwa v106, v148 dst_sel:DWORD dst_unused:UNUSED_PAD src0_sel:WORD_1
	s_waitcnt lgkmcnt(4)
	v_bfe_u32 v148, v153, 4, 4
	s_waitcnt lgkmcnt(0)
	v_bfe_u32 v168, v146, 4, 4
	v_mov_b32_e32 v138, 0
	v_mov_b32_e32 v139, 0
	;; [unrolled: 1-line block ×4, first 2 shown]
	v_ashrrev_i32_e32 v159, s19, v109
	v_ashrrev_i32_e32 v161, s19, v111
	v_cvt_f32_f16_e32 v109, v147
	v_cvt_f32_f16_sdwa v111, v147 dst_sel:DWORD dst_unused:UNUSED_PAD src0_sel:WORD_1
	v_and_b32_e32 v147, 0x3030303, v154
	v_and_b32_e32 v154, 0x3030303, v156
	;; [unrolled: 1-line block ×4, first 2 shown]
	v_mul_lo_u32 v160, v162, s6
	v_mul_lo_u32 v162, v164, s6
	;; [unrolled: 1-line block ×4, first 2 shown]
	v_ashrrev_i32_e32 v112, s19, v112
	v_dot4c_i32_i8_e32 v138, v160, v6
	v_dot4c_i32_i8_e32 v139, v162, v6
	;; [unrolled: 1-line block ×4, first 2 shown]
	v_mov_b32_e32 v93, 0
	v_mov_b32_e32 v136, 0
	v_ashrrev_i32_e32 v155, s19, v105
	v_ashrrev_i32_e32 v113, s19, v113
	;; [unrolled: 1-line block ×5, first 2 shown]
	v_and_b32_e32 v112, 0x3030303, v112
	v_dot4c_i32_i8_e32 v138, v160, v7
	v_dot4c_i32_i8_e32 v139, v162, v7
	;; [unrolled: 1-line block ×4, first 2 shown]
	v_mov_b32_e32 v103, 0
	v_mov_b32_e32 v137, 0
	;; [unrolled: 1-line block ×4, first 2 shown]
	v_ashrrev_i32_e32 v157, s19, v107
	v_ashrrev_i32_e32 v114, s19, v114
	;; [unrolled: 1-line block ×3, first 2 shown]
	v_lshrrev_b32_sdwa v163, v83, v149 dst_sel:DWORD dst_unused:UNUSED_PAD src0_sel:DWORD src1_sel:BYTE_1
	v_lshrrev_b32_sdwa v167, v83, v151 dst_sel:DWORD dst_unused:UNUSED_PAD src0_sel:DWORD src1_sel:BYTE_1
	v_cvt_f32_f16_e32 v105, v150
	v_cvt_f32_f16_sdwa v107, v150 dst_sel:DWORD dst_unused:UNUSED_PAD src0_sel:WORD_1
	v_ashrrev_i32_e32 v121, s19, v121
	v_ashrrev_i32_e32 v124, s19, v124
	v_ashrrev_i32_e32 v129, s19, v129
	v_ashrrev_i32_e32 v132, s19, v132
	v_lshrrev_b32_sdwa v150, v83, v153 dst_sel:DWORD dst_unused:UNUSED_PAD src0_sel:DWORD src1_sel:BYTE_1
	v_lshrrev_b32_sdwa v171, v83, v146 dst_sel:DWORD dst_unused:UNUSED_PAD src0_sel:DWORD src1_sel:BYTE_1
	v_cvt_f32_f16_e32 v108, v152
	v_cvt_f32_f16_sdwa v110, v152 dst_sel:DWORD dst_unused:UNUSED_PAD src0_sel:WORD_1
	v_and_b32_e32 v152, 0x3030303, v155
	v_and_b32_e32 v113, 0x3030303, v113
	;; [unrolled: 1-line block ×5, first 2 shown]
	v_dot4c_i32_i8_e32 v93, v147, v6
	v_dot4c_i32_i8_e32 v136, v112, v6
	;; [unrolled: 1-line block ×6, first 2 shown]
	v_mov_b32_e32 v141, 0
	v_mov_b32_e32 v143, 0
	v_ashrrev_i32_e32 v115, s19, v115
	v_ashrrev_i32_e32 v118, s19, v118
	;; [unrolled: 1-line block ×6, first 2 shown]
	v_and_b32_e32 v155, 0x3030303, v157
	v_and_b32_e32 v157, 0x3030303, v159
	;; [unrolled: 1-line block ×5, first 2 shown]
	v_mul_lo_u32 v161, v163, s6
	v_mul_lo_u32 v163, v167, s6
	v_and_b32_e32 v121, 0x3030303, v121
	v_and_b32_e32 v124, 0x3030303, v124
	v_and_b32_e32 v129, 0x3030303, v129
	v_and_b32_e32 v132, 0x3030303, v132
	v_mul_lo_u32 v150, v150, s6
	v_mul_lo_u32 v167, v171, s6
	v_dot4c_i32_i8_e32 v103, v156, v2
	v_dot4c_i32_i8_e32 v137, v116, v2
	;; [unrolled: 1-line block ×10, first 2 shown]
	v_ashrrev_i32_e32 v119, s19, v119
	v_ashrrev_i32_e32 v123, s19, v123
	v_ashrrev_i32_e32 v126, s19, v126
	v_ashrrev_i32_e32 v131, s19, v131
	v_ashrrev_i32_e32 v134, s19, v134
	v_and_b32_e32 v115, 0x3030303, v115
	v_and_b32_e32 v118, 0x3030303, v118
	;; [unrolled: 1-line block ×6, first 2 shown]
	v_dot4c_i32_i8_e32 v141, v124, v2
	v_dot4c_i32_i8_e32 v143, v132, v2
	;; [unrolled: 1-line block ×12, first 2 shown]
	v_and_b32_e32 v165, 15, v149
	v_and_b32_e32 v166, 15, v151
	v_ashrrev_i32_e32 v127, s19, v127
	v_ashrrev_i32_e32 v135, s19, v135
	v_and_b32_e32 v119, 0x3030303, v119
	v_and_b32_e32 v123, 0x3030303, v123
	;; [unrolled: 1-line block ×5, first 2 shown]
	v_dot4c_i32_i8_e32 v141, v125, v3
	v_dot4c_i32_i8_e32 v143, v133, v3
	;; [unrolled: 1-line block ×12, first 2 shown]
	s_add_i32 s2, s2, 2
	v_and_b32_sdwa v151, v151, v87 dst_sel:DWORD dst_unused:UNUSED_PAD src0_sel:BYTE_1 src1_sel:DWORD
	v_and_b32_sdwa v149, v149, v87 dst_sel:DWORD dst_unused:UNUSED_PAD src0_sel:BYTE_1 src1_sel:DWORD
	v_and_b32_e32 v169, 15, v153
	v_and_b32_e32 v170, 15, v146
	;; [unrolled: 1-line block ×4, first 2 shown]
	v_dot4c_i32_i8_e32 v141, v126, v4
	v_dot4c_i32_i8_e32 v143, v134, v4
	;; [unrolled: 1-line block ×6, first 2 shown]
	v_mul_lo_u32 v6, v166, v136
	v_mul_lo_u32 v8, v165, v93
	v_dot4c_i32_i8_e32 v138, v161, v4
	v_dot4c_i32_i8_e32 v139, v163, v4
	;; [unrolled: 1-line block ×4, first 2 shown]
	s_mov_b32 s3, s24
	s_cmp_lt_u32 s24, 30
	v_and_b32_sdwa v146, v146, v87 dst_sel:DWORD dst_unused:UNUSED_PAD src0_sel:BYTE_1 src1_sel:DWORD
	v_and_b32_sdwa v153, v153, v87 dst_sel:DWORD dst_unused:UNUSED_PAD src0_sel:BYTE_1 src1_sel:DWORD
	v_dot4c_i32_i8_e32 v141, v127, v5
	v_dot4c_i32_i8_e32 v143, v135, v5
	v_mul_lo_u32 v112, v170, v142
	v_mul_lo_u32 v114, v169, v140
	v_mad_u64_u32 v[8:9], s[24:25], v149, v103, v[8:9]
	v_mad_u64_u32 v[6:7], s[24:25], v151, v137, v[6:7]
	v_dot4c_i32_i8_e32 v138, v161, v5
	v_dot4c_i32_i8_e32 v139, v163, v5
	;; [unrolled: 1-line block ×4, first 2 shown]
	v_mad_u64_u32 v[2:3], s[24:25], v153, v141, v[114:115]
	v_mad_u64_u32 v[112:113], s[24:25], v146, v143, v[112:113]
	v_cvt_f32_i32_e32 v7, v6
	v_cvt_f32_i32_e32 v6, v8
	;; [unrolled: 1-line block ×8, first 2 shown]
	v_pk_mul_f32 v[4:5], v[106:107], v[4:5]
	v_pk_mul_f32 v[8:9], v[110:111], v[8:9]
	v_pk_fma_f32 v[4:5], v[104:105], v[6:7], v[4:5] neg_lo:[0,0,1] neg_hi:[0,0,1]
	v_pk_fma_f32 v[2:3], v[108:109], v[2:3], v[8:9] neg_lo:[0,0,1] neg_hi:[0,0,1]
	v_add_u32_e32 v91, 4, v91
	v_add_u32_e32 v89, 32, v89
	v_pk_fma_f32 v[98:99], v[102:103], v[4:5], v[98:99] op_sel_hi:[0,1,1]
	v_pk_fma_f32 v[96:97], v[102:103], v[2:3], v[96:97] op_sel_hi:[0,1,1]
	s_cbranch_scc1 .LBB188_36
; %bb.37:                               ;   in Loop: Header=BB188_5 Depth=1
	s_barrier
	s_branch .LBB188_4
.LBB188_38:
	s_mul_i32 s0, s10, s7
	s_waitcnt vmcnt(0)
	v_cmp_gt_i32_e32 vcc, s0, v1
	s_and_saveexec_b64 s[0:1], vcc
	s_cbranch_execz .LBB188_47
; %bb.39:
	v_and_b32_e32 v0, 0x3ff, v0
	v_add_u32_e32 v2, s11, v0
	v_mul_lo_u32 v0, v1, s9
	v_cmp_gt_u32_e32 vcc, s9, v2
	s_and_saveexec_b64 s[0:1], vcc
	s_cbranch_execz .LBB188_41
; %bb.40:
	v_add_u32_e32 v4, v0, v2
	v_mov_b32_e32 v5, 0
	v_lshl_add_u64 v[4:5], v[4:5], 2, s[16:17]
	global_store_dword v[4:5], v98, off
.LBB188_41:
	s_or_b64 exec, exec, s[0:1]
	v_add_u32_e32 v1, 32, v2
	v_cmp_gt_u32_e32 vcc, s9, v1
	s_and_saveexec_b64 s[0:1], vcc
	s_cbranch_execz .LBB188_43
; %bb.42:
	v_add_u32_e32 v4, v0, v1
	v_mov_b32_e32 v5, 0
	v_lshl_add_u64 v[4:5], v[4:5], 2, s[16:17]
	global_store_dword v[4:5], v99, off
.LBB188_43:
	s_or_b64 exec, exec, s[0:1]
	v_add_u32_e32 v1, 64, v2
	;; [unrolled: 11-line block ×3, first 2 shown]
	v_cmp_gt_u32_e32 vcc, s9, v1
	s_and_b64 exec, exec, vcc
	s_cbranch_execz .LBB188_47
; %bb.46:
	v_add_u32_e32 v0, v0, v1
	v_mov_b32_e32 v1, 0
	v_lshl_add_u64 v[0:1], v[0:1], 2, s[16:17]
	global_store_dword v[0:1], v97, off
.LBB188_47:
	s_endpgm
	.section	.rodata,"a",@progbits
	.p2align	6, 0x0
	.amdhsa_kernel _ZL8moe_q2_KIfLb1EEvPKvS1_PT_PKiS5_S5_iiiiiii
		.amdhsa_group_segment_fixed_size 23328
		.amdhsa_private_segment_fixed_size 0
		.amdhsa_kernarg_size 76
		.amdhsa_user_sgpr_count 2
		.amdhsa_user_sgpr_dispatch_ptr 0
		.amdhsa_user_sgpr_queue_ptr 0
		.amdhsa_user_sgpr_kernarg_segment_ptr 1
		.amdhsa_user_sgpr_dispatch_id 0
		.amdhsa_user_sgpr_kernarg_preload_length 0
		.amdhsa_user_sgpr_kernarg_preload_offset 0
		.amdhsa_user_sgpr_private_segment_size 0
		.amdhsa_uses_dynamic_stack 0
		.amdhsa_enable_private_segment 0
		.amdhsa_system_sgpr_workgroup_id_x 1
		.amdhsa_system_sgpr_workgroup_id_y 1
		.amdhsa_system_sgpr_workgroup_id_z 0
		.amdhsa_system_sgpr_workgroup_info 0
		.amdhsa_system_vgpr_workitem_id 1
		.amdhsa_next_free_vgpr 172
		.amdhsa_next_free_sgpr 34
		.amdhsa_accum_offset 172
		.amdhsa_reserve_vcc 1
		.amdhsa_float_round_mode_32 0
		.amdhsa_float_round_mode_16_64 0
		.amdhsa_float_denorm_mode_32 3
		.amdhsa_float_denorm_mode_16_64 3
		.amdhsa_dx10_clamp 1
		.amdhsa_ieee_mode 1
		.amdhsa_fp16_overflow 0
		.amdhsa_tg_split 0
		.amdhsa_exception_fp_ieee_invalid_op 0
		.amdhsa_exception_fp_denorm_src 0
		.amdhsa_exception_fp_ieee_div_zero 0
		.amdhsa_exception_fp_ieee_overflow 0
		.amdhsa_exception_fp_ieee_underflow 0
		.amdhsa_exception_fp_ieee_inexact 0
		.amdhsa_exception_int_div_zero 0
	.end_amdhsa_kernel
	.section	.text._ZL8moe_q2_KIfLb1EEvPKvS1_PT_PKiS5_S5_iiiiiii,"axG",@progbits,_ZL8moe_q2_KIfLb1EEvPKvS1_PT_PKiS5_S5_iiiiiii,comdat
.Lfunc_end188:
	.size	_ZL8moe_q2_KIfLb1EEvPKvS1_PT_PKiS5_S5_iiiiiii, .Lfunc_end188-_ZL8moe_q2_KIfLb1EEvPKvS1_PT_PKiS5_S5_iiiiiii
                                        ; -- End function
	.section	.AMDGPU.csdata,"",@progbits
; Kernel info:
; codeLenInByte = 8872
; NumSgprs: 40
; NumVgprs: 172
; NumAgprs: 0
; TotalNumVgprs: 172
; ScratchSize: 0
; MemoryBound: 0
; FloatMode: 240
; IeeeMode: 1
; LDSByteSize: 23328 bytes/workgroup (compile time only)
; SGPRBlocks: 4
; VGPRBlocks: 21
; NumSGPRsForWavesPerEU: 40
; NumVGPRsForWavesPerEU: 172
; AccumOffset: 172
; Occupancy: 2
; WaveLimiterHint : 1
; COMPUTE_PGM_RSRC2:SCRATCH_EN: 0
; COMPUTE_PGM_RSRC2:USER_SGPR: 2
; COMPUTE_PGM_RSRC2:TRAP_HANDLER: 0
; COMPUTE_PGM_RSRC2:TGID_X_EN: 1
; COMPUTE_PGM_RSRC2:TGID_Y_EN: 1
; COMPUTE_PGM_RSRC2:TGID_Z_EN: 0
; COMPUTE_PGM_RSRC2:TIDIG_COMP_CNT: 1
; COMPUTE_PGM_RSRC3_GFX90A:ACCUM_OFFSET: 42
; COMPUTE_PGM_RSRC3_GFX90A:TG_SPLIT: 0
	.section	.text._ZL8moe_q3_KIfLb0EEvPKvS1_PT_PKiS5_S5_iiiiiii,"axG",@progbits,_ZL8moe_q3_KIfLb0EEvPKvS1_PT_PKiS5_S5_iiiiiii,comdat
	.globl	_ZL8moe_q3_KIfLb0EEvPKvS1_PT_PKiS5_S5_iiiiiii ; -- Begin function _ZL8moe_q3_KIfLb0EEvPKvS1_PT_PKiS5_S5_iiiiiii
	.p2align	8
	.type	_ZL8moe_q3_KIfLb0EEvPKvS1_PT_PKiS5_S5_iiiiiii,@function
_ZL8moe_q3_KIfLb0EEvPKvS1_PT_PKiS5_S5_iiiiiii: ; @_ZL8moe_q3_KIfLb0EEvPKvS1_PT_PKiS5_S5_iiiiiii
; %bb.0:
	s_load_dwordx4 s[4:7], s[0:1], 0x18
	s_mov_b32 s8, s3
	s_mov_b32 s9, 0
	s_lshl_b64 s[10:11], s[8:9], 2
	s_waitcnt lgkmcnt(0)
	s_add_u32 s6, s6, s10
	s_addc_u32 s7, s7, s11
	s_load_dword s3, s[6:7], 0x0
	s_waitcnt lgkmcnt(0)
	s_cmpk_gt_u32 s3, 0xff
	s_cbranch_scc1 .LBB189_48
; %bb.1:
	s_load_dwordx2 s[6:7], s[0:1], 0x28
	s_waitcnt lgkmcnt(0)
	s_load_dword s7, s[6:7], 0x0
	s_lshl_b32 s6, s8, 3
	s_waitcnt lgkmcnt(0)
	s_cmp_gt_u32 s6, s7
	s_cbranch_scc1 .LBB189_48
; %bb.2:
	v_bfe_u32 v2, v0, 10, 10
	v_mov_b32_e32 v4, s4
	v_mov_b32_e32 v5, s5
	v_add_u32_e32 v10, s6, v2
	v_mov_b32_e32 v11, 0
	v_lshl_add_u64 v[4:5], v[10:11], 2, v[4:5]
	global_load_dword v1, v[4:5], off
	s_load_dwordx2 s[14:15], s[0:1], 0x30
	s_load_dwordx2 s[12:13], s[0:1], 0x10
	s_load_dwordx4 s[4:7], s[0:1], 0x3c
	s_lshl_b32 s24, s2, 7
	s_mov_b32 s25, 0
	s_waitcnt lgkmcnt(0)
	s_cmpk_lt_i32 s15, 0x100
	s_cbranch_scc1 .LBB189_38
; %bb.3:
	s_load_dwordx4 s[8:11], s[0:1], 0x0
	s_ashr_i32 s0, s15, 31
	s_lshr_b32 s0, s0, 24
	s_add_i32 s0, s15, s0
	s_ashr_i32 s26, s0, 8
	s_ashr_i32 s0, s5, 31
	s_lshr_b32 s0, s0, 27
	s_add_i32 s0, s5, s0
	s_mul_i32 s3, s3, s14
	s_ashr_i32 s5, s0, 5
	s_ashr_i32 s0, s3, 31
	s_waitcnt lgkmcnt(0)
	s_add_u32 s1, s8, s3
	s_mul_i32 s2, s26, s24
	s_addc_u32 s0, s9, s0
	s_mul_hi_i32 s3, s2, 0x6e
	s_mulk_i32 s2, 0x6e
	s_add_u32 s27, s1, s2
	s_addc_u32 s28, s0, s3
	s_lshl_b32 s1, s26, 3
	v_mov_b32_e32 v5, s1
	v_mad_i32_i24 v16, s26, v2, v5
	v_add_u32_e32 v18, s1, v16
	v_add_u32_e32 v20, s1, v18
	;; [unrolled: 1-line block ×9, first 2 shown]
	v_and_b32_e32 v15, 0x3ff, v0
	v_add_u32_e32 v36, s1, v34
	v_add_u32_e32 v38, s1, v36
	v_lshlrev_b32_e32 v6, 4, v2
	v_lshrrev_b32_e32 v7, 1, v15
	v_add_u32_e32 v40, s1, v38
	v_and_b32_e32 v46, 1, v15
	v_add_u32_e32 v5, v7, v6
	v_add_u32_e32 v42, s1, v40
	v_and_b32_e32 v8, 0x7f, v5
	v_lshlrev_b32_e32 v9, 2, v46
	v_lshrrev_b32_e32 v5, 2, v5
	v_add_u32_e32 v44, s1, v42
	v_mul_i32_i24_e32 v48, s26, v8
	v_lshl_or_b32 v8, v8, 3, v9
	v_and_b32_e32 v5, 28, v5
	s_movk_i32 s1, 0x7380
	v_lshrrev_b32_e32 v10, 4, v15
	v_add3_u32 v49, v8, v5, s1
	v_lshlrev_b32_e32 v5, 1, v2
	v_add_u32_e32 v8, v10, v5
	v_add_u16_e32 v5, v10, v5
	v_and_b32_e32 v3, 15, v15
	v_lshrrev_b16_e32 v5, 1, v5
	v_lshlrev_b32_e32 v12, 2, v3
	v_lshlrev_b32_e32 v5, 2, v5
	s_movk_i32 s2, 0x4200
	s_lshl_b32 s3, s26, 4
	v_add3_u32 v9, v5, v12, s2
	v_add_u32_e32 v5, 16, v8
	v_mov_b32_e32 v51, s3
	v_mad_i32_i24 v56, s26, v8, v51
	v_lshlrev_b32_e32 v51, 1, v5
	v_and_b32_e32 v51, 0x3ffc, v51
	v_lshlrev_b32_e32 v94, 6, v5
	v_add_u32_e32 v5, 32, v8
	v_add3_u32 v93, v51, v12, s2
	v_lshlrev_b32_e32 v51, 1, v5
	v_and_b32_e32 v51, 0x3ffc, v51
	v_lshlrev_b32_e32 v112, 6, v5
	v_add_u32_e32 v5, 48, v8
	v_add3_u32 v95, v51, v12, s2
	;; [unrolled: 5-line block ×3, first 2 shown]
	v_lshlrev_b32_e32 v51, 1, v5
	v_and_b32_e32 v51, 0x3ffc, v51
	v_lshlrev_b32_e32 v116, 6, v5
	v_add_u32_e32 v5, 0x50, v8
	v_add_u32_e32 v58, s3, v56
	v_add3_u32 v115, v51, v12, s2
	v_lshlrev_b32_e32 v51, 1, v5
	v_add_u32_e32 v60, s3, v58
	v_and_b32_e32 v51, 0x3ffc, v51
	v_lshlrev_b32_e32 v118, 6, v5
	v_add_u32_e32 v5, 0x60, v8
	v_cmp_lt_u32_e32 vcc, 7, v3
	v_and_b32_e32 v3, 7, v15
	v_add_u32_e32 v62, s3, v60
	v_add3_u32 v117, v51, v12, s2
	v_lshlrev_b32_e32 v51, 1, v5
	v_cndmask_b32_e64 v50, 0, 1, vcc
	v_lshlrev_b32_e32 v52, 2, v3
	v_add_u32_e32 v64, s3, v62
	v_and_b32_e32 v51, 0x3ffc, v51
	v_cmp_lt_u32_e32 vcc, 3, v3
	v_and_b32_e32 v3, 3, v15
	v_add_u32_e32 v66, s3, v64
	v_add3_u32 v119, v51, v12, s2
	v_lshlrev_b32_e32 v120, 6, v5
	v_add_u32_e32 v5, 0x70, v8
	v_lshlrev_b32_e32 v61, 2, v2
	v_lshrrev_b32_e32 v51, 3, v15
	v_cndmask_b32_e64 v70, 0, 1, vcc
	v_add_u16_e32 v55, -2, v3
	v_cmp_gt_u32_e32 vcc, 2, v3
	v_mul_i32_i24_e32 v54, s26, v8
	v_lshlrev_b32_e32 v11, 6, v8
	v_add_u32_e32 v68, s3, v66
	v_lshlrev_b32_e32 v8, 1, v5
	v_lshlrev_b32_e32 v121, 6, v5
	v_add_u32_e32 v5, v51, v61
	v_cndmask_b32_e32 v57, v55, v3, vcc
	v_mov_b32_e32 v59, 2
	s_lshl_b32 s3, s26, 5
	v_and_b32_e32 v8, 0x3ffc, v8
	v_lshlrev_b32_sdwa v72, v59, v57 dst_sel:DWORD dst_unused:UNUSED_PAD src0_sel:DWORD src1_sel:BYTE_0
	v_add_u32_e32 v59, 32, v5
	v_mov_b32_e32 v63, s3
	v_add3_u32 v8, v8, v12, s2
	v_cmp_lt_u32_e32 vcc, 1, v3
	v_lshlrev_b32_e32 v57, 1, v3
	v_mul_i32_i24_e32 v74, s26, v5
	v_and_b32_e32 v3, 0x1ffc, v5
	s_movk_i32 s2, 0x6300
	v_lshlrev_b32_e32 v122, 5, v5
	v_mad_i32_i24 v76, s26, v5, v63
	v_and_b32_e32 v63, 0x3ffc, v59
	v_lshlrev_b32_e32 v124, 5, v59
	v_add_u32_e32 v59, 64, v5
	v_add_u32_e32 v5, 0x60, v5
	v_mov_b32_e32 v13, 0
	v_lshlrev_b32_e32 v4, 2, v15
	s_movk_i32 s0, 0x84
	v_add3_u32 v123, v63, v52, s2
	v_and_b32_e32 v63, 0x3ffc, v59
	v_lshlrev_b32_e32 v126, 5, v59
	v_and_b32_e32 v59, 0x3ffc, v5
	v_mul_i32_i24_e32 v14, s26, v2
	v_mad_u32_u24 v17, v2, s0, v4
	v_add3_u32 v127, v59, v52, s2
	v_lshlrev_b32_e32 v128, 5, v5
	v_and_b32_e32 v59, 31, v15
	v_and_b32_e32 v4, 28, v4
	v_mov_b32_e32 v5, v13
	v_lshlrev_b32_e32 v2, 7, v2
	v_lshl_add_u64 v[82:83], s[10:11], 0, v[4:5]
	v_lshl_or_b32 v4, v59, 2, v2
	v_add_u32_e32 v59, 0x77a0, v4
	v_or_b32_e32 v4, v61, v15
	v_mov_b32_e32 v5, 0x7ba0
	v_lshl_add_u32 v61, v4, 2, v5
	v_add_u32_e32 v4, 32, v15
	v_lshrrev_b32_e32 v5, 1, v4
	v_lshl_add_u32 v71, v4, 4, v5
	v_mov_b32_e32 v5, 0x1080
	v_lshl_add_u32 v65, v15, 4, v7
	v_lshlrev_b32_e32 v7, 2, v10
	v_lshlrev_b32_e32 v69, 3, v15
	v_mad_u32_u24 v75, v15, s0, v5
	v_lshrrev_b32_e32 v5, 2, v4
	v_add3_u32 v69, v7, v69, s1
	v_and_b32_e32 v5, 0x7c, v5
	v_lshlrev_b32_e32 v7, 3, v4
	v_add_u32_e32 v97, 64, v15
	v_add_u32_e32 v96, 0x60, v15
	v_add3_u32 v77, v7, v5, s1
	v_mov_b32_e32 v5, 0x2100
	v_add3_u32 v3, v3, v52, s2
	v_add3_u32 v125, v63, v52, s2
	v_lshrrev_b32_e32 v84, 1, v96
	v_mad_u32_u24 v81, v15, s0, v5
	v_lshrrev_b32_e32 v5, 2, v97
	s_abs_i32 s2, s7
	v_and_b32_e32 v5, 0x7c, v5
	v_lshlrev_b32_e32 v7, 3, v97
	v_lshl_add_u32 v87, v96, 4, v84
	v_cvt_f32_u32_e32 v84, s2
	v_add3_u32 v86, v7, v5, s1
	v_mov_b32_e32 v5, 0x3180
	v_mad_u32_u24 v88, v15, s0, v5
	v_lshrrev_b32_e32 v5, 2, v96
	v_and_b32_e32 v5, 0x7c, v5
	v_lshlrev_b32_e32 v7, 3, v96
	v_add3_u32 v89, v7, v5, s1
	v_rcp_iflag_f32_e32 v5, v84
	s_sub_i32 s0, 0, s2
	s_waitcnt vmcnt(0)
	v_sub_u32_e32 v84, 0, v1
	v_max_i32_e32 v84, v1, v84
	v_mul_f32_e32 v5, 0x4f7ffffe, v5
	v_cvt_u32_f32_e32 v5, v5
	v_xor_b32_e32 v7, s7, v1
	s_add_u32 s8, s10, 0x90
	v_ashrrev_i32_e32 v7, 31, v7
	v_mul_lo_u32 v85, s0, v5
	v_mul_hi_u32 v85, v5, v85
	v_add_u32_e32 v5, v5, v85
	v_mul_hi_u32 v5, v84, v5
	v_mul_lo_u32 v85, v5, s2
	v_sub_u32_e32 v84, v84, v85
	v_add_u32_e32 v85, 1, v5
	v_cmp_le_u32_e64 s[0:1], s2, v84
	s_addc_u32 s9, s11, 0
	s_add_u32 s16, s10, 0x120
	v_cndmask_b32_e64 v5, v5, v85, s[0:1]
	v_subrev_u32_e32 v85, s2, v84
	v_cndmask_b32_e64 v84, v84, v85, s[0:1]
	v_add_u32_e32 v85, 1, v5
	v_cmp_le_u32_e64 s[0:1], s2, v84
	v_lshrrev_b32_e32 v79, 1, v97
	s_addc_u32 s17, s11, 0
	v_cndmask_b32_e64 v5, v5, v85, s[0:1]
	v_xor_b32_e32 v5, v5, v7
	v_sub_u32_e32 v5, v5, v7
	v_cndmask_b32_e64 v55, 0, 1, vcc
	v_add_u32_e32 v78, s3, v76
	v_lshlrev_b32_e32 v63, 5, v15
	v_lshl_add_u32 v79, v97, 4, v79
	v_lshrrev_b32_e32 v91, 3, v97
	v_lshrrev_b32_e32 v92, 3, v96
	v_mul_lo_u32 v84, v5, s5
	s_add_u32 s18, s10, 0x1b0
	v_and_b32_e32 v96, 0x1fc, v96
	v_and_b32_e32 v97, 0x1fc, v97
	;; [unrolled: 1-line block ×4, first 2 shown]
	s_movk_i32 s14, 0x6e
	v_add_u32_e32 v19, 0x420, v17
	v_add_u32_e32 v21, 0x840, v17
	;; [unrolled: 1-line block ×15, first 2 shown]
	v_mov_b32_e32 v53, v13
	v_lshlrev_b32_e32 v55, 2, v55
	v_mov_b32_e32 v73, v13
	v_add_u32_e32 v80, s3, v78
	v_cmp_gt_u32_e32 vcc, 4, v15
	v_mul_u32_u24_e32 v67, 0x84, v15
	v_lshrrev_b32_e32 v90, 3, v4
	v_cmp_gt_i32_e64 s[0:1], s4, v5
	v_ashrrev_i32_e32 v85, 31, v84
	s_addc_u32 s19, s11, 0
	v_add_u32_e32 v100, 0x77a0, v2
	v_add_u32_e32 v101, 0x7ba0, v6
	;; [unrolled: 1-line block ×18, first 2 shown]
	s_mov_b64 s[20:21], 0x60
	s_mov_b32 s29, 0x30303030
	s_movk_i32 s30, 0x3f00
	s_movk_i32 s31, 0xe000
	v_add_u32_e32 v118, v3, v122
	v_add_u32_e32 v119, v123, v124
	;; [unrolled: 1-line block ×4, first 2 shown]
	v_mov_b32_e32 v122, 8
	v_mov_b32_e32 v95, v13
	;; [unrolled: 1-line block ×5, first 2 shown]
	s_branch .LBB189_5
.LBB189_4:                              ;   in Loop: Header=BB189_5 Depth=1
	s_add_i32 s25, s25, 2
	s_cmp_ge_i32 s25, s26
	s_cbranch_scc1 .LBB189_39
.LBB189_5:                              ; =>This Loop Header: Depth=1
                                        ;     Child Loop BB189_12 Depth 2
                                        ;     Child Loop BB189_20 Depth 2
	;; [unrolled: 1-line block ×4, first 2 shown]
	s_mul_i32 s2, s25, 0x6e
	s_mul_hi_u32 s3, s25, 0x6e
	s_add_u32 s2, s27, s2
	s_addc_u32 s3, s28, s3
	v_mov_b64_e32 v[2:3], s[2:3]
	v_mad_u64_u32 v[4:5], s[2:3], v10, s14, v[2:3]
	v_lshl_add_u64 v[4:5], v[4:5], 0, v[12:13]
	v_lshl_add_u64 v[4:5], v[4:5], 0, 32
	v_mad_u64_u32 v[6:7], s[2:3], v14, s14, v[4:5]
	v_mad_u64_u32 v[8:9], s[2:3], v16, s14, v[4:5]
	;; [unrolled: 1-line block ×8, first 2 shown]
	global_load_dword v123, v[6:7], off
	global_load_dword v136, v[8:9], off
	;; [unrolled: 1-line block ×8, first 2 shown]
	v_mad_u64_u32 v[6:7], s[2:3], v30, s14, v[4:5]
	v_mad_u64_u32 v[8:9], s[2:3], v32, s14, v[4:5]
	v_mad_u64_u32 v[124:125], s[2:3], v34, s14, v[4:5]
	v_mad_u64_u32 v[126:127], s[2:3], v36, s14, v[4:5]
	v_mad_u64_u32 v[128:129], s[2:3], v38, s14, v[4:5]
	v_mad_u64_u32 v[130:131], s[2:3], v40, s14, v[4:5]
	v_mad_u64_u32 v[132:133], s[2:3], v42, s14, v[4:5]
	v_mad_u64_u32 v[4:5], s[2:3], v44, s14, v[4:5]
	global_load_dword v143, v[6:7], off
	global_load_dword v144, v[8:9], off
	;; [unrolled: 1-line block ×8, first 2 shown]
	v_mad_u64_u32 v[6:7], s[2:3], v50, s14, v[2:3]
	v_mad_u64_u32 v[4:5], s[2:3], v48, s14, v[2:3]
	v_lshl_add_u64 v[6:7], v[6:7], 0, v[52:53]
	v_mad_u64_u32 v[4:5], s[2:3], v46, s14, v[4:5]
	v_mad_u64_u32 v[124:125], s[2:3], v56, s14, v[6:7]
	;; [unrolled: 1-line block ×9, first 2 shown]
	global_load_ushort v151, v[4:5], off offset:108
	global_load_dword v152, v[8:9], off
	s_nop 0
	global_load_dword v124, v[124:125], off
	s_nop 0
	;; [unrolled: 2-line block ×3, first 2 shown]
	global_load_dword v126, v[128:129], off
	global_load_dword v127, v[130:131], off
	s_nop 0
	global_load_dword v128, v[132:133], off
	global_load_dword v129, v[134:135], off
	v_mad_u64_u32 v[4:5], s[2:3], v68, s14, v[6:7]
	v_lshl_add_u64 v[2:3], v[2:3], 0, s[20:21]
	global_load_dword v130, v[4:5], off
	v_mad_u64_u32 v[4:5], s[2:3], v74, s14, v[2:3]
	v_lshl_add_u64 v[6:7], v[4:5], 0, v[72:73]
	global_load_dword v131, v[6:7], off
	v_mad_u64_u32 v[6:7], s[2:3], v76, s14, v[2:3]
	v_mad_u64_u32 v[8:9], s[2:3], v78, s14, v[2:3]
	;; [unrolled: 1-line block ×3, first 2 shown]
	global_load_dword v132, v[2:3], off offset:8
	global_load_dword v133, v[8:9], off offset:8
	;; [unrolled: 1-line block ×4, first 2 shown]
	v_lshl_add_u64 v[4:5], v[6:7], 0, v[72:73]
	global_load_dword v6, v[4:5], off
	v_lshl_add_u64 v[4:5], v[8:9], 0, v[72:73]
	global_load_dword v4, v[4:5], off
	s_waitcnt vmcnt(31)
	ds_write_b32 v17, v123
	s_waitcnt vmcnt(30)
	ds_write_b32 v19, v136
	;; [unrolled: 2-line block ×6, first 2 shown]
	v_lshl_add_u64 v[2:3], v[2:3], 0, v[72:73]
	global_load_dword v2, v[2:3], off
	s_waitcnt vmcnt(26)
	ds_write_b32 v29, v141
	s_waitcnt vmcnt(25)
	ds_write_b32 v31, v142
	;; [unrolled: 2-line block ×7, first 2 shown]
	s_lshl_b32 s34, s25, 8
	s_cmp_lt_i32 s34, s15
	s_waitcnt vmcnt(16)
	v_cvt_f32_f16_e32 v3, v151
	ds_write_b32 v43, v148
	ds_write_b32 v45, v149
	;; [unrolled: 1-line block ×4, first 2 shown]
	s_waitcnt vmcnt(15)
	v_not_b32_e32 v3, v152
	ds_write_b32 v110, v3
	s_waitcnt vmcnt(14)
	v_not_b32_e32 v3, v124
	ds_write_b32 v111, v3
	s_waitcnt vmcnt(13)
	v_not_b32_e32 v3, v125
	ds_write_b32 v112, v3
	s_waitcnt vmcnt(12)
	v_not_b32_e32 v3, v126
	ds_write_b32 v113, v3
	s_waitcnt vmcnt(11)
	v_not_b32_e32 v3, v127
	ds_write_b32 v114, v3
	s_waitcnt vmcnt(10)
	v_not_b32_e32 v3, v128
	ds_write_b32 v115, v3
	s_waitcnt vmcnt(9)
	v_not_b32_e32 v3, v129
	ds_write_b32 v116, v3
	s_waitcnt vmcnt(8)
	v_not_b32_e32 v3, v130
	ds_write_b32 v117, v3
	s_waitcnt vmcnt(7)
	v_ashrrev_i32_e32 v3, v55, v131
	v_and_b32_e32 v3, 0xf0f0f0f, v3
	s_waitcnt vmcnt(3)
	v_ashrrev_i32_e32 v5, v57, v135
	v_lshlrev_b32_e32 v5, 4, v5
	v_and_or_b32 v3, v5, s29, v3
	v_lshlrev_b16_e32 v7, 8, v3
	v_and_b32_e32 v5, 0x3f00, v3
	v_add_u16_e32 v7, 0xe000, v7
	v_or_b32_sdwa v5, v5, v7 dst_sel:DWORD dst_unused:UNUSED_PAD src0_sel:DWORD src1_sel:BYTE_1
	v_and_b32_sdwa v7, v3, s30 dst_sel:DWORD dst_unused:UNUSED_PAD src0_sel:WORD_1 src1_sel:DWORD
	v_lshlrev_b16_sdwa v3, v122, v3 dst_sel:DWORD dst_unused:UNUSED_PAD src0_sel:DWORD src1_sel:WORD_1
	v_add_u16_e32 v3, 0xe000, v3
	v_or_b32_sdwa v3, v7, v3 dst_sel:DWORD dst_unused:UNUSED_PAD src0_sel:DWORD src1_sel:BYTE_1
	v_add_u16_e32 v5, 0xe000, v5
	v_add_u16_sdwa v3, v3, s31 dst_sel:WORD_1 dst_unused:UNUSED_PAD src0_sel:DWORD src1_sel:DWORD
	s_waitcnt vmcnt(0)
	v_ashrrev_i32_e32 v2, v55, v2
	v_or_b32_e32 v3, v5, v3
	ds_write_b32 v118, v3
	v_ashrrev_i32_e32 v3, v55, v6
	v_ashrrev_i32_e32 v5, v57, v134
	v_and_b32_e32 v3, 0xf0f0f0f, v3
	v_lshlrev_b32_e32 v5, 4, v5
	v_and_or_b32 v3, v5, s29, v3
	v_lshlrev_b16_e32 v6, 8, v3
	v_and_b32_e32 v5, 0x3f00, v3
	v_add_u16_e32 v6, 0xe000, v6
	v_or_b32_sdwa v5, v5, v6 dst_sel:DWORD dst_unused:UNUSED_PAD src0_sel:DWORD src1_sel:BYTE_1
	v_and_b32_sdwa v6, v3, s30 dst_sel:DWORD dst_unused:UNUSED_PAD src0_sel:WORD_1 src1_sel:DWORD
	v_lshlrev_b16_sdwa v3, v122, v3 dst_sel:DWORD dst_unused:UNUSED_PAD src0_sel:DWORD src1_sel:WORD_1
	v_add_u16_e32 v3, 0xe000, v3
	v_or_b32_sdwa v3, v6, v3 dst_sel:DWORD dst_unused:UNUSED_PAD src0_sel:DWORD src1_sel:BYTE_1
	v_add_u16_e32 v5, 0xe000, v5
	v_add_u16_sdwa v3, v3, s31 dst_sel:WORD_1 dst_unused:UNUSED_PAD src0_sel:DWORD src1_sel:DWORD
	v_and_b32_e32 v2, 0xf0f0f0f, v2
	v_or_b32_e32 v3, v5, v3
	ds_write_b32 v119, v3
	v_ashrrev_i32_e32 v3, v55, v4
	v_ashrrev_i32_e32 v4, v57, v133
	v_and_b32_e32 v3, 0xf0f0f0f, v3
	v_lshlrev_b32_e32 v4, 4, v4
	v_and_or_b32 v3, v4, s29, v3
	v_lshlrev_b16_e32 v5, 8, v3
	v_and_b32_e32 v4, 0x3f00, v3
	v_add_u16_e32 v5, 0xe000, v5
	v_or_b32_sdwa v4, v4, v5 dst_sel:DWORD dst_unused:UNUSED_PAD src0_sel:DWORD src1_sel:BYTE_1
	v_and_b32_sdwa v5, v3, s30 dst_sel:DWORD dst_unused:UNUSED_PAD src0_sel:WORD_1 src1_sel:DWORD
	v_lshlrev_b16_sdwa v3, v122, v3 dst_sel:DWORD dst_unused:UNUSED_PAD src0_sel:DWORD src1_sel:WORD_1
	v_add_u16_e32 v3, 0xe000, v3
	v_or_b32_sdwa v3, v5, v3 dst_sel:DWORD dst_unused:UNUSED_PAD src0_sel:DWORD src1_sel:BYTE_1
	v_add_u16_e32 v4, 0xe000, v4
	v_add_u16_sdwa v3, v3, s31 dst_sel:WORD_1 dst_unused:UNUSED_PAD src0_sel:DWORD src1_sel:DWORD
	s_nop 0
	v_or_b32_e32 v3, v4, v3
	ds_write_b32 v120, v3
	v_ashrrev_i32_e32 v3, v57, v132
	v_lshlrev_b32_e32 v3, 4, v3
	v_and_or_b32 v2, v3, s29, v2
	v_lshlrev_b16_e32 v4, 8, v2
	v_and_b32_e32 v3, 0x3f00, v2
	v_add_u16_e32 v4, 0xe000, v4
	v_or_b32_sdwa v3, v3, v4 dst_sel:DWORD dst_unused:UNUSED_PAD src0_sel:DWORD src1_sel:BYTE_1
	v_and_b32_sdwa v4, v2, s30 dst_sel:DWORD dst_unused:UNUSED_PAD src0_sel:WORD_1 src1_sel:DWORD
	v_lshlrev_b16_sdwa v2, v122, v2 dst_sel:DWORD dst_unused:UNUSED_PAD src0_sel:DWORD src1_sel:WORD_1
	v_add_u16_e32 v2, 0xe000, v2
	v_or_b32_sdwa v2, v4, v2 dst_sel:DWORD dst_unused:UNUSED_PAD src0_sel:DWORD src1_sel:BYTE_1
	v_add_u16_e32 v3, 0xe000, v3
	v_add_u16_sdwa v2, v2, s31 dst_sel:WORD_1 dst_unused:UNUSED_PAD src0_sel:DWORD src1_sel:DWORD
	s_nop 0
	v_or_b32_e32 v2, v3, v2
	ds_write_b32 v121, v2
	s_cbranch_scc0 .LBB189_4
; %bb.6:                                ;   in Loop: Header=BB189_5 Depth=1
	s_lshl_b32 s33, s25, 3
	v_add_u32_e32 v2, s33, v51
	v_cmp_gt_i32_e64 s[2:3], s5, v2
	s_and_b64 s[22:23], s[0:1], s[2:3]
	s_and_saveexec_b64 s[2:3], s[22:23]
	s_cbranch_execz .LBB189_8
; %bb.7:                                ;   in Loop: Header=BB189_5 Depth=1
	v_add_u32_e32 v2, v84, v2
	v_mad_i64_i32 v[2:3], s[22:23], v2, 36, v[82:83]
	global_load_dword v2, v[2:3], off offset:4
	s_waitcnt vmcnt(0)
	ds_write_b32 v59, v2
.LBB189_8:                              ;   in Loop: Header=BB189_5 Depth=1
	s_or_b64 exec, exec, s[2:3]
	s_and_saveexec_b64 s[22:23], vcc
	s_cbranch_execz .LBB189_11
; %bb.9:                                ;   in Loop: Header=BB189_5 Depth=1
	v_or_b32_e32 v2, s33, v15
	v_cmp_gt_i32_e64 s[2:3], s5, v2
	s_and_b64 s[2:3], s[0:1], s[2:3]
	s_and_b64 exec, exec, s[2:3]
	s_cbranch_execz .LBB189_11
; %bb.10:                               ;   in Loop: Header=BB189_5 Depth=1
	v_add_u32_e32 v2, v84, v2
	v_mad_i64_i32 v[2:3], s[2:3], v2, 36, s[10:11]
	global_load_dword v2, v[2:3], off
	s_waitcnt vmcnt(0)
	v_cvt_f32_f16_e32 v2, v2
	ds_write_b32 v61, v2
.LBB189_11:                             ;   in Loop: Header=BB189_5 Depth=1
	s_or_b64 exec, exec, s[22:23]
	s_mov_b32 s22, -2
	s_mov_b32 s2, 0
	v_mov_b32_e32 v123, v101
	v_mov_b32_e32 v124, v100
	s_mov_b32 s3, 0
	s_waitcnt lgkmcnt(0)
	s_barrier
.LBB189_12:                             ;   Parent Loop BB189_5 Depth=1
                                        ; =>  This Inner Loop Header: Depth=2
	s_and_b32 s23, s3, -16
	v_add_u32_e32 v126, s23, v63
	s_add_i32 s23, s22, 2
	s_lshr_b32 s37, s23, 4
	s_and_b32 s36, s23, 0x3ffffff8
	s_lshl_b32 s35, s37, 3
	s_lshl_b32 s36, s36, 2
	v_add_lshl_u32 v133, v65, s35, 2
	v_add_u32_e32 v127, s36, v67
	v_add_u32_e32 v130, 0x4200, v133
	ds_read_b32 v125, v123
	ds_read_b128 v[6:9], v124
	ds_read_b128 v[2:5], v124 offset:16
	ds_read2_b32 v[128:129], v127 offset1:1
	ds_read2_b32 v[130:131], v130 offset1:1
	s_lshl_b32 s37, s37, 2
	s_add_i32 s3, s3, 2
	v_add_u32_e32 v124, 32, v124
	s_waitcnt lgkmcnt(1)
	v_ashrrev_i32_e32 v128, s23, v128
	s_waitcnt lgkmcnt(0)
	v_ashrrev_i32_e32 v130, s2, v130
	v_lshlrev_b32_e32 v130, 2, v130
	v_and_b32_e32 v132, 0x3030303, v128
	v_bfe_u32 v128, v128, 24, 2
	v_and_b32_e32 v130, 0x4040404, v130
	v_sub_u16_e32 v134, v132, v130
	v_sub_u16_sdwa v135, v132, v130 dst_sel:BYTE_1 dst_unused:UNUSED_PAD src0_sel:BYTE_1 src1_sel:BYTE_1
	v_sub_u16_sdwa v128, v128, v130 dst_sel:BYTE_1 dst_unused:UNUSED_PAD src0_sel:DWORD src1_sel:BYTE_3
	v_sub_u16_sdwa v130, v132, v130 dst_sel:DWORD dst_unused:UNUSED_PAD src0_sel:WORD_1 src1_sel:WORD_1
	v_or_b32_sdwa v134, v134, v135 dst_sel:DWORD dst_unused:UNUSED_PAD src0_sel:BYTE_0 src1_sel:DWORD
	v_or_b32_sdwa v128, v130, v128 dst_sel:WORD_1 dst_unused:UNUSED_PAD src0_sel:BYTE_0 src1_sel:DWORD
	v_ashrrev_i32_e32 v130, s2, v131
	v_or_b32_sdwa v132, v134, v128 dst_sel:DWORD dst_unused:UNUSED_PAD src0_sel:WORD_0 src1_sel:DWORD
	v_ashrrev_i32_e32 v128, s23, v129
	v_lshlrev_b32_e32 v130, 2, v130
	v_and_b32_e32 v129, 0x3030303, v128
	v_bfe_u32 v128, v128, 24, 2
	v_and_b32_e32 v130, 0x4040404, v130
	v_sub_u16_e32 v131, v129, v130
	v_sub_u16_sdwa v134, v129, v130 dst_sel:BYTE_1 dst_unused:UNUSED_PAD src0_sel:BYTE_1 src1_sel:BYTE_1
	v_sub_u16_sdwa v128, v128, v130 dst_sel:BYTE_1 dst_unused:UNUSED_PAD src0_sel:DWORD src1_sel:BYTE_3
	v_sub_u16_sdwa v129, v129, v130 dst_sel:DWORD dst_unused:UNUSED_PAD src0_sel:WORD_1 src1_sel:WORD_1
	v_or_b32_sdwa v131, v131, v134 dst_sel:DWORD dst_unused:UNUSED_PAD src0_sel:BYTE_0 src1_sel:DWORD
	v_or_b32_sdwa v128, v129, v128 dst_sel:WORD_1 dst_unused:UNUSED_PAD src0_sel:BYTE_0 src1_sel:DWORD
	v_add_u32_e32 v130, 0x4208, v133
	v_or_b32_sdwa v134, v131, v128 dst_sel:DWORD dst_unused:UNUSED_PAD src0_sel:WORD_0 src1_sel:DWORD
	ds_read2_b32 v[128:129], v127 offset0:2 offset1:3
	ds_read2_b32 v[130:131], v130 offset1:1
	v_add_u32_e32 v123, 4, v123
	s_waitcnt lgkmcnt(1)
	v_ashrrev_i32_e32 v128, s23, v128
	s_waitcnt lgkmcnt(0)
	v_ashrrev_i32_e32 v130, s2, v130
	v_lshlrev_b32_e32 v130, 2, v130
	v_and_b32_e32 v135, 0x3030303, v128
	v_bfe_u32 v128, v128, 24, 2
	v_and_b32_e32 v130, 0x4040404, v130
	v_sub_u16_e32 v136, v135, v130
	v_sub_u16_sdwa v137, v135, v130 dst_sel:BYTE_1 dst_unused:UNUSED_PAD src0_sel:BYTE_1 src1_sel:BYTE_1
	v_sub_u16_sdwa v128, v128, v130 dst_sel:BYTE_1 dst_unused:UNUSED_PAD src0_sel:DWORD src1_sel:BYTE_3
	v_sub_u16_sdwa v130, v135, v130 dst_sel:DWORD dst_unused:UNUSED_PAD src0_sel:WORD_1 src1_sel:WORD_1
	v_or_b32_sdwa v136, v136, v137 dst_sel:DWORD dst_unused:UNUSED_PAD src0_sel:BYTE_0 src1_sel:DWORD
	v_or_b32_sdwa v128, v130, v128 dst_sel:WORD_1 dst_unused:UNUSED_PAD src0_sel:BYTE_0 src1_sel:DWORD
	v_ashrrev_i32_e32 v130, s2, v131
	v_or_b32_sdwa v135, v136, v128 dst_sel:DWORD dst_unused:UNUSED_PAD src0_sel:WORD_0 src1_sel:DWORD
	v_ashrrev_i32_e32 v128, s23, v129
	v_lshlrev_b32_e32 v130, 2, v130
	v_and_b32_e32 v129, 0x3030303, v128
	v_bfe_u32 v128, v128, 24, 2
	v_and_b32_e32 v130, 0x4040404, v130
	v_sub_u16_e32 v131, v129, v130
	v_sub_u16_sdwa v136, v129, v130 dst_sel:BYTE_1 dst_unused:UNUSED_PAD src0_sel:BYTE_1 src1_sel:BYTE_1
	v_sub_u16_sdwa v128, v128, v130 dst_sel:BYTE_1 dst_unused:UNUSED_PAD src0_sel:DWORD src1_sel:BYTE_3
	v_sub_u16_sdwa v129, v129, v130 dst_sel:DWORD dst_unused:UNUSED_PAD src0_sel:WORD_1 src1_sel:WORD_1
	v_or_b32_sdwa v131, v131, v136 dst_sel:DWORD dst_unused:UNUSED_PAD src0_sel:BYTE_0 src1_sel:DWORD
	v_or_b32_sdwa v128, v129, v128 dst_sel:WORD_1 dst_unused:UNUSED_PAD src0_sel:BYTE_0 src1_sel:DWORD
	v_add_u32_e32 v130, 0x4210, v133
	v_or_b32_sdwa v136, v131, v128 dst_sel:DWORD dst_unused:UNUSED_PAD src0_sel:WORD_0 src1_sel:DWORD
	ds_read2_b32 v[128:129], v127 offset0:4 offset1:5
	ds_read2_b32 v[130:131], v130 offset1:1
	s_waitcnt lgkmcnt(1)
	v_ashrrev_i32_e32 v128, s23, v128
	s_waitcnt lgkmcnt(0)
	v_ashrrev_i32_e32 v130, s2, v130
	v_lshlrev_b32_e32 v130, 2, v130
	v_and_b32_e32 v137, 0x3030303, v128
	v_bfe_u32 v128, v128, 24, 2
	v_and_b32_e32 v130, 0x4040404, v130
	v_sub_u16_e32 v138, v137, v130
	v_sub_u16_sdwa v139, v137, v130 dst_sel:BYTE_1 dst_unused:UNUSED_PAD src0_sel:BYTE_1 src1_sel:BYTE_1
	v_sub_u16_sdwa v128, v128, v130 dst_sel:BYTE_1 dst_unused:UNUSED_PAD src0_sel:DWORD src1_sel:BYTE_3
	v_sub_u16_sdwa v130, v137, v130 dst_sel:DWORD dst_unused:UNUSED_PAD src0_sel:WORD_1 src1_sel:WORD_1
	v_or_b32_sdwa v138, v138, v139 dst_sel:DWORD dst_unused:UNUSED_PAD src0_sel:BYTE_0 src1_sel:DWORD
	v_or_b32_sdwa v128, v130, v128 dst_sel:WORD_1 dst_unused:UNUSED_PAD src0_sel:BYTE_0 src1_sel:DWORD
	v_ashrrev_i32_e32 v130, s2, v131
	v_or_b32_sdwa v137, v138, v128 dst_sel:DWORD dst_unused:UNUSED_PAD src0_sel:WORD_0 src1_sel:DWORD
	v_ashrrev_i32_e32 v128, s23, v129
	v_lshlrev_b32_e32 v130, 2, v130
	v_and_b32_e32 v129, 0x3030303, v128
	v_bfe_u32 v128, v128, 24, 2
	v_and_b32_e32 v130, 0x4040404, v130
	v_sub_u16_e32 v131, v129, v130
	v_sub_u16_sdwa v138, v129, v130 dst_sel:BYTE_1 dst_unused:UNUSED_PAD src0_sel:BYTE_1 src1_sel:BYTE_1
	v_sub_u16_sdwa v128, v128, v130 dst_sel:BYTE_1 dst_unused:UNUSED_PAD src0_sel:DWORD src1_sel:BYTE_3
	v_sub_u16_sdwa v129, v129, v130 dst_sel:DWORD dst_unused:UNUSED_PAD src0_sel:WORD_1 src1_sel:WORD_1
	v_or_b32_sdwa v131, v131, v138 dst_sel:DWORD dst_unused:UNUSED_PAD src0_sel:BYTE_0 src1_sel:DWORD
	v_or_b32_sdwa v128, v129, v128 dst_sel:WORD_1 dst_unused:UNUSED_PAD src0_sel:BYTE_0 src1_sel:DWORD
	v_add_u32_e32 v130, 0x4218, v133
	v_or_b32_sdwa v138, v131, v128 dst_sel:DWORD dst_unused:UNUSED_PAD src0_sel:WORD_0 src1_sel:DWORD
	ds_read2_b32 v[128:129], v127 offset0:6 offset1:7
	ds_read2_b32 v[130:131], v130 offset1:1
	s_waitcnt lgkmcnt(1)
	v_ashrrev_i32_e32 v127, s23, v128
	s_waitcnt lgkmcnt(0)
	v_ashrrev_i32_e32 v130, s2, v130
	v_lshlrev_b32_e32 v130, 2, v130
	v_and_b32_e32 v128, 0x3030303, v127
	v_bfe_u32 v127, v127, 24, 2
	v_and_b32_e32 v130, 0x4040404, v130
	v_sub_u16_e32 v133, v128, v130
	v_sub_u16_sdwa v139, v128, v130 dst_sel:BYTE_1 dst_unused:UNUSED_PAD src0_sel:BYTE_1 src1_sel:BYTE_1
	v_sub_u16_sdwa v127, v127, v130 dst_sel:BYTE_1 dst_unused:UNUSED_PAD src0_sel:DWORD src1_sel:BYTE_3
	v_sub_u16_sdwa v128, v128, v130 dst_sel:DWORD dst_unused:UNUSED_PAD src0_sel:WORD_1 src1_sel:WORD_1
	v_ashrrev_i32_e32 v130, s2, v131
	v_or_b32_sdwa v127, v128, v127 dst_sel:WORD_1 dst_unused:UNUSED_PAD src0_sel:BYTE_0 src1_sel:DWORD
	v_ashrrev_i32_e32 v128, s23, v129
	v_lshlrev_b32_e32 v130, 2, v130
	v_or_b32_sdwa v133, v133, v139 dst_sel:DWORD dst_unused:UNUSED_PAD src0_sel:BYTE_0 src1_sel:DWORD
	v_and_b32_e32 v129, 0x3030303, v128
	v_bfe_u32 v128, v128, 24, 2
	v_and_b32_e32 v130, 0x4040404, v130
	v_or_b32_sdwa v127, v133, v127 dst_sel:DWORD dst_unused:UNUSED_PAD src0_sel:WORD_0 src1_sel:DWORD
	v_sub_u16_e32 v131, v129, v130
	v_sub_u16_sdwa v133, v129, v130 dst_sel:BYTE_1 dst_unused:UNUSED_PAD src0_sel:BYTE_1 src1_sel:BYTE_1
	v_sub_u16_sdwa v128, v128, v130 dst_sel:BYTE_1 dst_unused:UNUSED_PAD src0_sel:DWORD src1_sel:BYTE_3
	v_sub_u16_sdwa v129, v129, v130 dst_sel:DWORD dst_unused:UNUSED_PAD src0_sel:WORD_1 src1_sel:WORD_1
	v_or_b32_sdwa v131, v131, v133 dst_sel:DWORD dst_unused:UNUSED_PAD src0_sel:BYTE_0 src1_sel:DWORD
	v_or_b32_sdwa v128, v129, v128 dst_sel:WORD_1 dst_unused:UNUSED_PAD src0_sel:BYTE_0 src1_sel:DWORD
	v_add_u32_e32 v130, s37, v69
	v_or_b32_sdwa v129, v131, v128 dst_sel:DWORD dst_unused:UNUSED_PAD src0_sel:WORD_0 src1_sel:DWORD
	v_add3_u32 v128, v99, s22, v126
	ds_read_b32 v130, v130
	ds_read_u16 v128, v128 offset:25346
	v_mov_b32_e32 v131, 0
	v_dot4c_i32_i8_e32 v131, v132, v6
	v_dot4c_i32_i8_e32 v131, v134, v7
	;; [unrolled: 1-line block ×4, first 2 shown]
	s_waitcnt lgkmcnt(0)
	v_lshrrev_b16_e32 v132, 8, v128
	v_bfe_i32 v128, v128, 0, 8
	v_add_lshl_u32 v133, v71, s35, 2
	v_mul_lo_u32 v128, v131, v128
	v_mov_b32_e32 v131, 0
	v_dot4c_i32_i8_e32 v131, v137, v2
	v_dot4c_i32_i8_e32 v131, v138, v3
	;; [unrolled: 1-line block ×4, first 2 shown]
	v_bfe_i32 v127, v132, 0, 8
	s_nop 1
	v_mad_u64_u32 v[128:129], s[38:39], v131, v127, v[128:129]
	v_cvt_f32_i32_e32 v128, v128
	v_mul_f32_e32 v127, v125, v130
	v_add_u32_e32 v130, 0x4200, v133
	ds_read2_b32 v[130:131], v130 offset1:1
	v_fmac_f32_e32 v95, v127, v128
	v_add_u32_e32 v127, s36, v75
	ds_read2_b32 v[128:129], v127 offset1:1
	s_waitcnt lgkmcnt(1)
	v_ashrrev_i32_e32 v130, s2, v130
	v_lshlrev_b32_e32 v130, 2, v130
	v_and_b32_e32 v130, 0x4040404, v130
	s_waitcnt lgkmcnt(0)
	v_ashrrev_i32_e32 v128, s23, v128
	v_and_b32_e32 v132, 0x3030303, v128
	v_bfe_u32 v128, v128, 24, 2
	v_sub_u16_e32 v134, v132, v130
	v_sub_u16_sdwa v135, v132, v130 dst_sel:BYTE_1 dst_unused:UNUSED_PAD src0_sel:BYTE_1 src1_sel:BYTE_1
	v_sub_u16_sdwa v128, v128, v130 dst_sel:BYTE_1 dst_unused:UNUSED_PAD src0_sel:DWORD src1_sel:BYTE_3
	v_sub_u16_sdwa v130, v132, v130 dst_sel:DWORD dst_unused:UNUSED_PAD src0_sel:WORD_1 src1_sel:WORD_1
	v_or_b32_sdwa v134, v134, v135 dst_sel:DWORD dst_unused:UNUSED_PAD src0_sel:BYTE_0 src1_sel:DWORD
	v_or_b32_sdwa v128, v130, v128 dst_sel:WORD_1 dst_unused:UNUSED_PAD src0_sel:BYTE_0 src1_sel:DWORD
	v_ashrrev_i32_e32 v130, s2, v131
	v_or_b32_sdwa v132, v134, v128 dst_sel:DWORD dst_unused:UNUSED_PAD src0_sel:WORD_0 src1_sel:DWORD
	v_ashrrev_i32_e32 v128, s23, v129
	v_lshlrev_b32_e32 v130, 2, v130
	v_and_b32_e32 v129, 0x3030303, v128
	v_bfe_u32 v128, v128, 24, 2
	v_and_b32_e32 v130, 0x4040404, v130
	v_sub_u16_e32 v131, v129, v130
	v_sub_u16_sdwa v134, v129, v130 dst_sel:BYTE_1 dst_unused:UNUSED_PAD src0_sel:BYTE_1 src1_sel:BYTE_1
	v_sub_u16_sdwa v128, v128, v130 dst_sel:BYTE_1 dst_unused:UNUSED_PAD src0_sel:DWORD src1_sel:BYTE_3
	v_sub_u16_sdwa v129, v129, v130 dst_sel:DWORD dst_unused:UNUSED_PAD src0_sel:WORD_1 src1_sel:WORD_1
	v_or_b32_sdwa v131, v131, v134 dst_sel:DWORD dst_unused:UNUSED_PAD src0_sel:BYTE_0 src1_sel:DWORD
	v_or_b32_sdwa v128, v129, v128 dst_sel:WORD_1 dst_unused:UNUSED_PAD src0_sel:BYTE_0 src1_sel:DWORD
	v_add_u32_e32 v130, 0x4208, v133
	v_or_b32_sdwa v134, v131, v128 dst_sel:DWORD dst_unused:UNUSED_PAD src0_sel:WORD_0 src1_sel:DWORD
	ds_read2_b32 v[128:129], v127 offset0:2 offset1:3
	ds_read2_b32 v[130:131], v130 offset1:1
	s_waitcnt lgkmcnt(1)
	v_ashrrev_i32_e32 v128, s23, v128
	s_waitcnt lgkmcnt(0)
	v_ashrrev_i32_e32 v130, s2, v130
	v_lshlrev_b32_e32 v130, 2, v130
	v_and_b32_e32 v135, 0x3030303, v128
	v_bfe_u32 v128, v128, 24, 2
	v_and_b32_e32 v130, 0x4040404, v130
	v_sub_u16_e32 v136, v135, v130
	v_sub_u16_sdwa v137, v135, v130 dst_sel:BYTE_1 dst_unused:UNUSED_PAD src0_sel:BYTE_1 src1_sel:BYTE_1
	v_sub_u16_sdwa v128, v128, v130 dst_sel:BYTE_1 dst_unused:UNUSED_PAD src0_sel:DWORD src1_sel:BYTE_3
	v_sub_u16_sdwa v130, v135, v130 dst_sel:DWORD dst_unused:UNUSED_PAD src0_sel:WORD_1 src1_sel:WORD_1
	v_or_b32_sdwa v136, v136, v137 dst_sel:DWORD dst_unused:UNUSED_PAD src0_sel:BYTE_0 src1_sel:DWORD
	v_or_b32_sdwa v128, v130, v128 dst_sel:WORD_1 dst_unused:UNUSED_PAD src0_sel:BYTE_0 src1_sel:DWORD
	v_ashrrev_i32_e32 v130, s2, v131
	v_or_b32_sdwa v135, v136, v128 dst_sel:DWORD dst_unused:UNUSED_PAD src0_sel:WORD_0 src1_sel:DWORD
	v_ashrrev_i32_e32 v128, s23, v129
	v_lshlrev_b32_e32 v130, 2, v130
	v_and_b32_e32 v129, 0x3030303, v128
	v_bfe_u32 v128, v128, 24, 2
	v_and_b32_e32 v130, 0x4040404, v130
	v_sub_u16_e32 v131, v129, v130
	v_sub_u16_sdwa v136, v129, v130 dst_sel:BYTE_1 dst_unused:UNUSED_PAD src0_sel:BYTE_1 src1_sel:BYTE_1
	v_sub_u16_sdwa v128, v128, v130 dst_sel:BYTE_1 dst_unused:UNUSED_PAD src0_sel:DWORD src1_sel:BYTE_3
	v_sub_u16_sdwa v129, v129, v130 dst_sel:DWORD dst_unused:UNUSED_PAD src0_sel:WORD_1 src1_sel:WORD_1
	v_or_b32_sdwa v131, v131, v136 dst_sel:DWORD dst_unused:UNUSED_PAD src0_sel:BYTE_0 src1_sel:DWORD
	v_or_b32_sdwa v128, v129, v128 dst_sel:WORD_1 dst_unused:UNUSED_PAD src0_sel:BYTE_0 src1_sel:DWORD
	v_add_u32_e32 v130, 0x4210, v133
	v_or_b32_sdwa v136, v131, v128 dst_sel:DWORD dst_unused:UNUSED_PAD src0_sel:WORD_0 src1_sel:DWORD
	ds_read2_b32 v[128:129], v127 offset0:4 offset1:5
	ds_read2_b32 v[130:131], v130 offset1:1
	s_waitcnt lgkmcnt(1)
	v_ashrrev_i32_e32 v128, s23, v128
	s_waitcnt lgkmcnt(0)
	v_ashrrev_i32_e32 v130, s2, v130
	v_lshlrev_b32_e32 v130, 2, v130
	v_and_b32_e32 v137, 0x3030303, v128
	v_bfe_u32 v128, v128, 24, 2
	v_and_b32_e32 v130, 0x4040404, v130
	;; [unrolled: 31-line block ×3, first 2 shown]
	v_sub_u16_e32 v133, v128, v130
	v_sub_u16_sdwa v139, v128, v130 dst_sel:BYTE_1 dst_unused:UNUSED_PAD src0_sel:BYTE_1 src1_sel:BYTE_1
	v_sub_u16_sdwa v127, v127, v130 dst_sel:BYTE_1 dst_unused:UNUSED_PAD src0_sel:DWORD src1_sel:BYTE_3
	v_sub_u16_sdwa v128, v128, v130 dst_sel:DWORD dst_unused:UNUSED_PAD src0_sel:WORD_1 src1_sel:WORD_1
	v_ashrrev_i32_e32 v130, s2, v131
	v_or_b32_sdwa v127, v128, v127 dst_sel:WORD_1 dst_unused:UNUSED_PAD src0_sel:BYTE_0 src1_sel:DWORD
	v_ashrrev_i32_e32 v128, s23, v129
	v_lshlrev_b32_e32 v130, 2, v130
	v_or_b32_sdwa v133, v133, v139 dst_sel:DWORD dst_unused:UNUSED_PAD src0_sel:BYTE_0 src1_sel:DWORD
	v_and_b32_e32 v129, 0x3030303, v128
	v_bfe_u32 v128, v128, 24, 2
	v_and_b32_e32 v130, 0x4040404, v130
	v_or_b32_sdwa v127, v133, v127 dst_sel:DWORD dst_unused:UNUSED_PAD src0_sel:WORD_0 src1_sel:DWORD
	v_sub_u16_e32 v131, v129, v130
	v_sub_u16_sdwa v133, v129, v130 dst_sel:BYTE_1 dst_unused:UNUSED_PAD src0_sel:BYTE_1 src1_sel:BYTE_1
	v_sub_u16_sdwa v128, v128, v130 dst_sel:BYTE_1 dst_unused:UNUSED_PAD src0_sel:DWORD src1_sel:BYTE_3
	v_sub_u16_sdwa v129, v129, v130 dst_sel:DWORD dst_unused:UNUSED_PAD src0_sel:WORD_1 src1_sel:WORD_1
	v_or_b32_sdwa v131, v131, v133 dst_sel:DWORD dst_unused:UNUSED_PAD src0_sel:BYTE_0 src1_sel:DWORD
	v_or_b32_sdwa v128, v129, v128 dst_sel:WORD_1 dst_unused:UNUSED_PAD src0_sel:BYTE_0 src1_sel:DWORD
	v_add_u32_e32 v130, s37, v77
	v_or_b32_sdwa v129, v131, v128 dst_sel:DWORD dst_unused:UNUSED_PAD src0_sel:WORD_0 src1_sel:DWORD
	v_add3_u32 v128, v98, s22, v126
	ds_read_b32 v130, v130
	ds_read_u16 v128, v128 offset:26370
	v_mov_b32_e32 v131, 0
	v_dot4c_i32_i8_e32 v131, v132, v6
	v_dot4c_i32_i8_e32 v131, v134, v7
	v_dot4c_i32_i8_e32 v131, v135, v8
	v_dot4c_i32_i8_e32 v131, v136, v9
	s_waitcnt lgkmcnt(0)
	v_lshrrev_b16_e32 v132, 8, v128
	v_bfe_i32 v128, v128, 0, 8
	v_add_lshl_u32 v133, v79, s35, 2
	v_mul_lo_u32 v128, v131, v128
	v_mov_b32_e32 v131, 0
	v_dot4c_i32_i8_e32 v131, v137, v2
	v_dot4c_i32_i8_e32 v131, v138, v3
	;; [unrolled: 1-line block ×4, first 2 shown]
	v_bfe_i32 v127, v132, 0, 8
	s_nop 1
	v_mad_u64_u32 v[128:129], s[38:39], v131, v127, v[128:129]
	v_cvt_f32_i32_e32 v128, v128
	v_mul_f32_e32 v127, v125, v130
	v_add_u32_e32 v130, 0x4200, v133
	ds_read2_b32 v[130:131], v130 offset1:1
	v_fmac_f32_e32 v94, v127, v128
	v_add_u32_e32 v127, s36, v81
	ds_read2_b32 v[128:129], v127 offset1:1
	s_waitcnt lgkmcnt(1)
	v_ashrrev_i32_e32 v130, s2, v130
	v_lshlrev_b32_e32 v130, 2, v130
	v_and_b32_e32 v130, 0x4040404, v130
	s_waitcnt lgkmcnt(0)
	v_ashrrev_i32_e32 v128, s23, v128
	v_and_b32_e32 v132, 0x3030303, v128
	v_bfe_u32 v128, v128, 24, 2
	v_sub_u16_e32 v134, v132, v130
	v_sub_u16_sdwa v135, v132, v130 dst_sel:BYTE_1 dst_unused:UNUSED_PAD src0_sel:BYTE_1 src1_sel:BYTE_1
	v_sub_u16_sdwa v128, v128, v130 dst_sel:BYTE_1 dst_unused:UNUSED_PAD src0_sel:DWORD src1_sel:BYTE_3
	v_sub_u16_sdwa v130, v132, v130 dst_sel:DWORD dst_unused:UNUSED_PAD src0_sel:WORD_1 src1_sel:WORD_1
	v_or_b32_sdwa v134, v134, v135 dst_sel:DWORD dst_unused:UNUSED_PAD src0_sel:BYTE_0 src1_sel:DWORD
	v_or_b32_sdwa v128, v130, v128 dst_sel:WORD_1 dst_unused:UNUSED_PAD src0_sel:BYTE_0 src1_sel:DWORD
	v_ashrrev_i32_e32 v130, s2, v131
	v_or_b32_sdwa v132, v134, v128 dst_sel:DWORD dst_unused:UNUSED_PAD src0_sel:WORD_0 src1_sel:DWORD
	v_ashrrev_i32_e32 v128, s23, v129
	v_lshlrev_b32_e32 v130, 2, v130
	v_and_b32_e32 v129, 0x3030303, v128
	v_bfe_u32 v128, v128, 24, 2
	v_and_b32_e32 v130, 0x4040404, v130
	v_sub_u16_e32 v131, v129, v130
	v_sub_u16_sdwa v134, v129, v130 dst_sel:BYTE_1 dst_unused:UNUSED_PAD src0_sel:BYTE_1 src1_sel:BYTE_1
	v_sub_u16_sdwa v128, v128, v130 dst_sel:BYTE_1 dst_unused:UNUSED_PAD src0_sel:DWORD src1_sel:BYTE_3
	v_sub_u16_sdwa v129, v129, v130 dst_sel:DWORD dst_unused:UNUSED_PAD src0_sel:WORD_1 src1_sel:WORD_1
	v_or_b32_sdwa v131, v131, v134 dst_sel:DWORD dst_unused:UNUSED_PAD src0_sel:BYTE_0 src1_sel:DWORD
	v_or_b32_sdwa v128, v129, v128 dst_sel:WORD_1 dst_unused:UNUSED_PAD src0_sel:BYTE_0 src1_sel:DWORD
	v_add_u32_e32 v130, 0x4208, v133
	v_or_b32_sdwa v134, v131, v128 dst_sel:DWORD dst_unused:UNUSED_PAD src0_sel:WORD_0 src1_sel:DWORD
	ds_read2_b32 v[128:129], v127 offset0:2 offset1:3
	ds_read2_b32 v[130:131], v130 offset1:1
	s_waitcnt lgkmcnt(1)
	v_ashrrev_i32_e32 v128, s23, v128
	s_waitcnt lgkmcnt(0)
	v_ashrrev_i32_e32 v130, s2, v130
	v_lshlrev_b32_e32 v130, 2, v130
	v_and_b32_e32 v135, 0x3030303, v128
	v_bfe_u32 v128, v128, 24, 2
	v_and_b32_e32 v130, 0x4040404, v130
	v_sub_u16_e32 v136, v135, v130
	v_sub_u16_sdwa v137, v135, v130 dst_sel:BYTE_1 dst_unused:UNUSED_PAD src0_sel:BYTE_1 src1_sel:BYTE_1
	v_sub_u16_sdwa v128, v128, v130 dst_sel:BYTE_1 dst_unused:UNUSED_PAD src0_sel:DWORD src1_sel:BYTE_3
	v_sub_u16_sdwa v130, v135, v130 dst_sel:DWORD dst_unused:UNUSED_PAD src0_sel:WORD_1 src1_sel:WORD_1
	v_or_b32_sdwa v136, v136, v137 dst_sel:DWORD dst_unused:UNUSED_PAD src0_sel:BYTE_0 src1_sel:DWORD
	v_or_b32_sdwa v128, v130, v128 dst_sel:WORD_1 dst_unused:UNUSED_PAD src0_sel:BYTE_0 src1_sel:DWORD
	v_ashrrev_i32_e32 v130, s2, v131
	v_or_b32_sdwa v135, v136, v128 dst_sel:DWORD dst_unused:UNUSED_PAD src0_sel:WORD_0 src1_sel:DWORD
	v_ashrrev_i32_e32 v128, s23, v129
	v_lshlrev_b32_e32 v130, 2, v130
	v_and_b32_e32 v129, 0x3030303, v128
	v_bfe_u32 v128, v128, 24, 2
	v_and_b32_e32 v130, 0x4040404, v130
	v_sub_u16_e32 v131, v129, v130
	v_sub_u16_sdwa v136, v129, v130 dst_sel:BYTE_1 dst_unused:UNUSED_PAD src0_sel:BYTE_1 src1_sel:BYTE_1
	v_sub_u16_sdwa v128, v128, v130 dst_sel:BYTE_1 dst_unused:UNUSED_PAD src0_sel:DWORD src1_sel:BYTE_3
	v_sub_u16_sdwa v129, v129, v130 dst_sel:DWORD dst_unused:UNUSED_PAD src0_sel:WORD_1 src1_sel:WORD_1
	v_or_b32_sdwa v131, v131, v136 dst_sel:DWORD dst_unused:UNUSED_PAD src0_sel:BYTE_0 src1_sel:DWORD
	v_or_b32_sdwa v128, v129, v128 dst_sel:WORD_1 dst_unused:UNUSED_PAD src0_sel:BYTE_0 src1_sel:DWORD
	v_add_u32_e32 v130, 0x4210, v133
	v_or_b32_sdwa v136, v131, v128 dst_sel:DWORD dst_unused:UNUSED_PAD src0_sel:WORD_0 src1_sel:DWORD
	ds_read2_b32 v[128:129], v127 offset0:4 offset1:5
	ds_read2_b32 v[130:131], v130 offset1:1
	s_waitcnt lgkmcnt(1)
	v_ashrrev_i32_e32 v128, s23, v128
	s_waitcnt lgkmcnt(0)
	v_ashrrev_i32_e32 v130, s2, v130
	v_lshlrev_b32_e32 v130, 2, v130
	v_and_b32_e32 v137, 0x3030303, v128
	v_bfe_u32 v128, v128, 24, 2
	v_and_b32_e32 v130, 0x4040404, v130
	;; [unrolled: 31-line block ×3, first 2 shown]
	v_sub_u16_e32 v133, v128, v130
	v_sub_u16_sdwa v139, v128, v130 dst_sel:BYTE_1 dst_unused:UNUSED_PAD src0_sel:BYTE_1 src1_sel:BYTE_1
	v_sub_u16_sdwa v127, v127, v130 dst_sel:BYTE_1 dst_unused:UNUSED_PAD src0_sel:DWORD src1_sel:BYTE_3
	v_sub_u16_sdwa v128, v128, v130 dst_sel:DWORD dst_unused:UNUSED_PAD src0_sel:WORD_1 src1_sel:WORD_1
	v_ashrrev_i32_e32 v130, s2, v131
	v_or_b32_sdwa v127, v128, v127 dst_sel:WORD_1 dst_unused:UNUSED_PAD src0_sel:BYTE_0 src1_sel:DWORD
	v_ashrrev_i32_e32 v128, s23, v129
	v_lshlrev_b32_e32 v130, 2, v130
	v_or_b32_sdwa v133, v133, v139 dst_sel:DWORD dst_unused:UNUSED_PAD src0_sel:BYTE_0 src1_sel:DWORD
	v_and_b32_e32 v129, 0x3030303, v128
	v_bfe_u32 v128, v128, 24, 2
	v_and_b32_e32 v130, 0x4040404, v130
	v_or_b32_sdwa v127, v133, v127 dst_sel:DWORD dst_unused:UNUSED_PAD src0_sel:WORD_0 src1_sel:DWORD
	v_sub_u16_e32 v131, v129, v130
	v_sub_u16_sdwa v133, v129, v130 dst_sel:BYTE_1 dst_unused:UNUSED_PAD src0_sel:BYTE_1 src1_sel:BYTE_1
	v_sub_u16_sdwa v128, v128, v130 dst_sel:BYTE_1 dst_unused:UNUSED_PAD src0_sel:DWORD src1_sel:BYTE_3
	v_sub_u16_sdwa v129, v129, v130 dst_sel:DWORD dst_unused:UNUSED_PAD src0_sel:WORD_1 src1_sel:WORD_1
	v_or_b32_sdwa v131, v131, v133 dst_sel:DWORD dst_unused:UNUSED_PAD src0_sel:BYTE_0 src1_sel:DWORD
	v_or_b32_sdwa v128, v129, v128 dst_sel:WORD_1 dst_unused:UNUSED_PAD src0_sel:BYTE_0 src1_sel:DWORD
	v_add_u32_e32 v130, s37, v86
	v_or_b32_sdwa v129, v131, v128 dst_sel:DWORD dst_unused:UNUSED_PAD src0_sel:WORD_0 src1_sel:DWORD
	v_add3_u32 v128, v97, s22, v126
	ds_read_b32 v130, v130
	ds_read_u16 v128, v128 offset:27394
	v_mov_b32_e32 v131, 0
	v_dot4c_i32_i8_e32 v131, v132, v6
	v_dot4c_i32_i8_e32 v131, v134, v7
	;; [unrolled: 1-line block ×4, first 2 shown]
	s_waitcnt lgkmcnt(0)
	v_lshrrev_b16_e32 v132, 8, v128
	v_bfe_i32 v128, v128, 0, 8
	v_add_lshl_u32 v133, v87, s35, 2
	v_mul_lo_u32 v128, v131, v128
	v_mov_b32_e32 v131, 0
	v_dot4c_i32_i8_e32 v131, v137, v2
	v_dot4c_i32_i8_e32 v131, v138, v3
	;; [unrolled: 1-line block ×4, first 2 shown]
	v_bfe_i32 v127, v132, 0, 8
	v_add3_u32 v126, v96, s22, v126
	s_mov_b32 s22, s23
	v_mad_u64_u32 v[128:129], s[38:39], v131, v127, v[128:129]
	v_cvt_f32_i32_e32 v128, v128
	v_mul_f32_e32 v127, v125, v130
	v_add_u32_e32 v130, 0x4200, v133
	ds_read2_b32 v[130:131], v130 offset1:1
	v_fmac_f32_e32 v93, v127, v128
	v_add_u32_e32 v127, s36, v88
	ds_read2_b32 v[128:129], v127 offset1:1
	s_waitcnt lgkmcnt(1)
	v_ashrrev_i32_e32 v130, s2, v130
	v_lshlrev_b32_e32 v130, 2, v130
	v_and_b32_e32 v130, 0x4040404, v130
	s_waitcnt lgkmcnt(0)
	v_ashrrev_i32_e32 v128, s23, v128
	v_and_b32_e32 v132, 0x3030303, v128
	v_bfe_u32 v128, v128, 24, 2
	v_sub_u16_e32 v134, v132, v130
	v_sub_u16_sdwa v135, v132, v130 dst_sel:BYTE_1 dst_unused:UNUSED_PAD src0_sel:BYTE_1 src1_sel:BYTE_1
	v_sub_u16_sdwa v128, v128, v130 dst_sel:BYTE_1 dst_unused:UNUSED_PAD src0_sel:DWORD src1_sel:BYTE_3
	v_sub_u16_sdwa v130, v132, v130 dst_sel:DWORD dst_unused:UNUSED_PAD src0_sel:WORD_1 src1_sel:WORD_1
	v_or_b32_sdwa v134, v134, v135 dst_sel:DWORD dst_unused:UNUSED_PAD src0_sel:BYTE_0 src1_sel:DWORD
	v_or_b32_sdwa v128, v130, v128 dst_sel:WORD_1 dst_unused:UNUSED_PAD src0_sel:BYTE_0 src1_sel:DWORD
	v_ashrrev_i32_e32 v130, s2, v131
	v_or_b32_sdwa v132, v134, v128 dst_sel:DWORD dst_unused:UNUSED_PAD src0_sel:WORD_0 src1_sel:DWORD
	v_ashrrev_i32_e32 v128, s23, v129
	v_lshlrev_b32_e32 v130, 2, v130
	v_and_b32_e32 v129, 0x3030303, v128
	v_bfe_u32 v128, v128, 24, 2
	v_and_b32_e32 v130, 0x4040404, v130
	v_sub_u16_e32 v131, v129, v130
	v_sub_u16_sdwa v134, v129, v130 dst_sel:BYTE_1 dst_unused:UNUSED_PAD src0_sel:BYTE_1 src1_sel:BYTE_1
	v_sub_u16_sdwa v128, v128, v130 dst_sel:BYTE_1 dst_unused:UNUSED_PAD src0_sel:DWORD src1_sel:BYTE_3
	v_sub_u16_sdwa v129, v129, v130 dst_sel:DWORD dst_unused:UNUSED_PAD src0_sel:WORD_1 src1_sel:WORD_1
	v_or_b32_sdwa v131, v131, v134 dst_sel:DWORD dst_unused:UNUSED_PAD src0_sel:BYTE_0 src1_sel:DWORD
	v_or_b32_sdwa v128, v129, v128 dst_sel:WORD_1 dst_unused:UNUSED_PAD src0_sel:BYTE_0 src1_sel:DWORD
	v_add_u32_e32 v130, 0x4208, v133
	v_or_b32_sdwa v134, v131, v128 dst_sel:DWORD dst_unused:UNUSED_PAD src0_sel:WORD_0 src1_sel:DWORD
	ds_read2_b32 v[128:129], v127 offset0:2 offset1:3
	ds_read2_b32 v[130:131], v130 offset1:1
	s_waitcnt lgkmcnt(1)
	v_ashrrev_i32_e32 v128, s23, v128
	s_waitcnt lgkmcnt(0)
	v_ashrrev_i32_e32 v130, s2, v130
	v_lshlrev_b32_e32 v130, 2, v130
	v_and_b32_e32 v135, 0x3030303, v128
	v_bfe_u32 v128, v128, 24, 2
	v_and_b32_e32 v130, 0x4040404, v130
	v_sub_u16_e32 v136, v135, v130
	v_sub_u16_sdwa v137, v135, v130 dst_sel:BYTE_1 dst_unused:UNUSED_PAD src0_sel:BYTE_1 src1_sel:BYTE_1
	v_sub_u16_sdwa v128, v128, v130 dst_sel:BYTE_1 dst_unused:UNUSED_PAD src0_sel:DWORD src1_sel:BYTE_3
	v_sub_u16_sdwa v130, v135, v130 dst_sel:DWORD dst_unused:UNUSED_PAD src0_sel:WORD_1 src1_sel:WORD_1
	v_or_b32_sdwa v136, v136, v137 dst_sel:DWORD dst_unused:UNUSED_PAD src0_sel:BYTE_0 src1_sel:DWORD
	v_or_b32_sdwa v128, v130, v128 dst_sel:WORD_1 dst_unused:UNUSED_PAD src0_sel:BYTE_0 src1_sel:DWORD
	v_ashrrev_i32_e32 v130, s2, v131
	v_or_b32_sdwa v135, v136, v128 dst_sel:DWORD dst_unused:UNUSED_PAD src0_sel:WORD_0 src1_sel:DWORD
	v_ashrrev_i32_e32 v128, s23, v129
	v_lshlrev_b32_e32 v130, 2, v130
	v_and_b32_e32 v129, 0x3030303, v128
	v_bfe_u32 v128, v128, 24, 2
	v_and_b32_e32 v130, 0x4040404, v130
	v_sub_u16_e32 v131, v129, v130
	v_sub_u16_sdwa v136, v129, v130 dst_sel:BYTE_1 dst_unused:UNUSED_PAD src0_sel:BYTE_1 src1_sel:BYTE_1
	v_sub_u16_sdwa v128, v128, v130 dst_sel:BYTE_1 dst_unused:UNUSED_PAD src0_sel:DWORD src1_sel:BYTE_3
	v_sub_u16_sdwa v129, v129, v130 dst_sel:DWORD dst_unused:UNUSED_PAD src0_sel:WORD_1 src1_sel:WORD_1
	v_or_b32_sdwa v131, v131, v136 dst_sel:DWORD dst_unused:UNUSED_PAD src0_sel:BYTE_0 src1_sel:DWORD
	v_or_b32_sdwa v128, v129, v128 dst_sel:WORD_1 dst_unused:UNUSED_PAD src0_sel:BYTE_0 src1_sel:DWORD
	v_add_u32_e32 v130, 0x4210, v133
	v_or_b32_sdwa v136, v131, v128 dst_sel:DWORD dst_unused:UNUSED_PAD src0_sel:WORD_0 src1_sel:DWORD
	ds_read2_b32 v[128:129], v127 offset0:4 offset1:5
	ds_read2_b32 v[130:131], v130 offset1:1
	s_waitcnt lgkmcnt(1)
	v_ashrrev_i32_e32 v128, s23, v128
	s_waitcnt lgkmcnt(0)
	v_ashrrev_i32_e32 v130, s2, v130
	v_lshlrev_b32_e32 v130, 2, v130
	v_and_b32_e32 v137, 0x3030303, v128
	v_bfe_u32 v128, v128, 24, 2
	v_and_b32_e32 v130, 0x4040404, v130
	;; [unrolled: 31-line block ×3, first 2 shown]
	v_sub_u16_e32 v133, v128, v130
	v_sub_u16_sdwa v139, v128, v130 dst_sel:BYTE_1 dst_unused:UNUSED_PAD src0_sel:BYTE_1 src1_sel:BYTE_1
	v_sub_u16_sdwa v127, v127, v130 dst_sel:BYTE_1 dst_unused:UNUSED_PAD src0_sel:DWORD src1_sel:BYTE_3
	v_sub_u16_sdwa v128, v128, v130 dst_sel:DWORD dst_unused:UNUSED_PAD src0_sel:WORD_1 src1_sel:WORD_1
	v_ashrrev_i32_e32 v130, s2, v131
	v_or_b32_sdwa v127, v128, v127 dst_sel:WORD_1 dst_unused:UNUSED_PAD src0_sel:BYTE_0 src1_sel:DWORD
	v_ashrrev_i32_e32 v128, s23, v129
	v_lshlrev_b32_e32 v130, 2, v130
	v_or_b32_sdwa v133, v133, v139 dst_sel:DWORD dst_unused:UNUSED_PAD src0_sel:BYTE_0 src1_sel:DWORD
	v_and_b32_e32 v129, 0x3030303, v128
	v_bfe_u32 v128, v128, 24, 2
	v_and_b32_e32 v130, 0x4040404, v130
	v_or_b32_sdwa v127, v133, v127 dst_sel:DWORD dst_unused:UNUSED_PAD src0_sel:WORD_0 src1_sel:DWORD
	v_sub_u16_e32 v131, v129, v130
	v_sub_u16_sdwa v133, v129, v130 dst_sel:BYTE_1 dst_unused:UNUSED_PAD src0_sel:BYTE_1 src1_sel:BYTE_1
	v_sub_u16_sdwa v128, v128, v130 dst_sel:BYTE_1 dst_unused:UNUSED_PAD src0_sel:DWORD src1_sel:BYTE_3
	v_sub_u16_sdwa v129, v129, v130 dst_sel:DWORD dst_unused:UNUSED_PAD src0_sel:WORD_1 src1_sel:WORD_1
	v_or_b32_sdwa v128, v129, v128 dst_sel:WORD_1 dst_unused:UNUSED_PAD src0_sel:BYTE_0 src1_sel:DWORD
	v_add_u32_e32 v129, s37, v89
	v_mov_b32_e32 v130, 0
	ds_read_b32 v129, v129
	v_dot4c_i32_i8_e32 v130, v132, v6
	ds_read_u16 v6, v126 offset:28418
	v_dot4c_i32_i8_e32 v130, v134, v7
	v_dot4c_i32_i8_e32 v130, v135, v8
	v_mov_b32_e32 v8, 0
	v_dot4c_i32_i8_e32 v8, v137, v2
	v_or_b32_sdwa v131, v131, v133 dst_sel:DWORD dst_unused:UNUSED_PAD src0_sel:BYTE_0 src1_sel:DWORD
	v_dot4c_i32_i8_e32 v8, v138, v3
	v_or_b32_sdwa v128, v131, v128 dst_sel:DWORD dst_unused:UNUSED_PAD src0_sel:WORD_0 src1_sel:DWORD
	v_dot4c_i32_i8_e32 v130, v136, v9
	s_waitcnt lgkmcnt(0)
	v_lshrrev_b16_e32 v7, 8, v6
	v_bfe_i32 v6, v6, 0, 8
	v_dot4c_i32_i8_e32 v8, v127, v4
	v_mul_lo_u32 v6, v130, v6
	v_dot4c_i32_i8_e32 v8, v128, v5
	v_bfe_i32 v2, v7, 0, 8
	s_add_i32 s2, s2, 1
	s_cmp_lt_u32 s23, 6
	v_mad_u64_u32 v[2:3], s[36:37], v8, v2, v[6:7]
	v_cvt_f32_i32_e32 v2, v2
	v_mul_f32_e32 v3, v125, v129
	v_fmac_f32_e32 v11, v3, v2
	s_cbranch_scc1 .LBB189_12
; %bb.13:                               ;   in Loop: Header=BB189_5 Depth=1
	s_or_b32 s2, s34, 0x80
	s_cmp_ge_i32 s2, s15
	s_barrier
	s_cbranch_scc1 .LBB189_4
; %bb.14:                               ;   in Loop: Header=BB189_5 Depth=1
	v_add_u32_e32 v2, s33, v90
	v_cmp_gt_i32_e64 s[2:3], s5, v2
	s_and_b64 s[22:23], s[0:1], s[2:3]
	s_and_saveexec_b64 s[2:3], s[22:23]
	s_cbranch_execz .LBB189_16
; %bb.15:                               ;   in Loop: Header=BB189_5 Depth=1
	v_add_u32_e32 v2, v84, v2
	v_mad_i64_i32 v[2:3], s[22:23], v2, 36, v[82:83]
	global_load_dword v2, v[2:3], off offset:4
	s_waitcnt vmcnt(0)
	ds_write_b32 v59, v2
.LBB189_16:                             ;   in Loop: Header=BB189_5 Depth=1
	s_or_b64 exec, exec, s[2:3]
	s_and_saveexec_b64 s[22:23], vcc
	s_cbranch_execz .LBB189_19
; %bb.17:                               ;   in Loop: Header=BB189_5 Depth=1
	v_or_b32_e32 v2, s33, v15
	v_or_b32_e32 v3, 4, v2
	v_cmp_gt_i32_e64 s[2:3], s5, v3
	s_and_b64 s[2:3], s[0:1], s[2:3]
	s_and_b64 exec, exec, s[2:3]
	s_cbranch_execz .LBB189_19
; %bb.18:                               ;   in Loop: Header=BB189_5 Depth=1
	v_ashrrev_i32_e32 v3, 31, v2
	v_lshl_add_u64 v[2:3], v[84:85], 0, v[2:3]
	v_mad_u64_u32 v[4:5], s[2:3], v2, 36, s[8:9]
	v_mad_i32_i24 v5, v3, 36, v5
	global_load_dword v2, v[4:5], off
	s_waitcnt vmcnt(0)
	v_cvt_f32_f16_e32 v2, v2
	ds_write_b32 v61, v2
.LBB189_19:                             ;   in Loop: Header=BB189_5 Depth=1
	s_or_b64 exec, exec, s[22:23]
	s_mov_b32 s2, 8
	s_mov_b32 s3, 0
	;; [unrolled: 1-line block ×3, first 2 shown]
	v_mov_b32_e32 v123, v100
	v_mov_b32_e32 v124, v101
	s_waitcnt lgkmcnt(0)
	s_barrier
.LBB189_20:                             ;   Parent Loop BB189_5 Depth=1
                                        ; =>  This Inner Loop Header: Depth=2
	s_add_i32 s23, s3, 8
	s_lshr_b32 s38, s23, 4
	s_and_b32 s37, s23, 0x3ffffff8
	s_lshl_b32 s36, s38, 3
	s_lshl_b32 s37, s37, 2
	v_add_lshl_u32 v132, v65, s36, 2
	v_add_u32_e32 v130, s37, v67
	v_add_u32_e32 v128, 0x4200, v132
	ds_read_b32 v125, v124
	ds_read_b128 v[6:9], v123
	ds_read_b128 v[2:5], v123 offset:16
	ds_read2_b32 v[126:127], v130 offset1:1
	ds_read2_b32 v[128:129], v128 offset1:1
	s_and_b32 s35, s2, -16
	s_lshl_b32 s38, s38, 2
	s_add_i32 s2, s2, 2
	s_waitcnt lgkmcnt(1)
	v_ashrrev_i32_e32 v126, s3, v126
	s_waitcnt lgkmcnt(0)
	v_ashrrev_i32_e32 v128, s22, v128
	v_lshlrev_b32_e32 v128, 2, v128
	v_and_b32_e32 v131, 0x3030303, v126
	v_bfe_u32 v126, v126, 24, 2
	v_and_b32_e32 v128, 0x4040404, v128
	v_sub_u16_e32 v133, v131, v128
	v_sub_u16_sdwa v134, v131, v128 dst_sel:BYTE_1 dst_unused:UNUSED_PAD src0_sel:BYTE_1 src1_sel:BYTE_1
	v_sub_u16_sdwa v126, v126, v128 dst_sel:BYTE_1 dst_unused:UNUSED_PAD src0_sel:DWORD src1_sel:BYTE_3
	v_sub_u16_sdwa v128, v131, v128 dst_sel:DWORD dst_unused:UNUSED_PAD src0_sel:WORD_1 src1_sel:WORD_1
	v_or_b32_sdwa v133, v133, v134 dst_sel:DWORD dst_unused:UNUSED_PAD src0_sel:BYTE_0 src1_sel:DWORD
	v_or_b32_sdwa v126, v128, v126 dst_sel:WORD_1 dst_unused:UNUSED_PAD src0_sel:BYTE_0 src1_sel:DWORD
	v_ashrrev_i32_e32 v128, s22, v129
	v_or_b32_sdwa v131, v133, v126 dst_sel:DWORD dst_unused:UNUSED_PAD src0_sel:WORD_0 src1_sel:DWORD
	v_ashrrev_i32_e32 v126, s3, v127
	v_lshlrev_b32_e32 v128, 2, v128
	v_and_b32_e32 v127, 0x3030303, v126
	v_bfe_u32 v126, v126, 24, 2
	v_and_b32_e32 v128, 0x4040404, v128
	v_sub_u16_e32 v129, v127, v128
	v_sub_u16_sdwa v133, v127, v128 dst_sel:BYTE_1 dst_unused:UNUSED_PAD src0_sel:BYTE_1 src1_sel:BYTE_1
	v_sub_u16_sdwa v126, v126, v128 dst_sel:BYTE_1 dst_unused:UNUSED_PAD src0_sel:DWORD src1_sel:BYTE_3
	v_sub_u16_sdwa v127, v127, v128 dst_sel:DWORD dst_unused:UNUSED_PAD src0_sel:WORD_1 src1_sel:WORD_1
	v_or_b32_sdwa v129, v129, v133 dst_sel:DWORD dst_unused:UNUSED_PAD src0_sel:BYTE_0 src1_sel:DWORD
	v_or_b32_sdwa v126, v127, v126 dst_sel:WORD_1 dst_unused:UNUSED_PAD src0_sel:BYTE_0 src1_sel:DWORD
	v_add_u32_e32 v128, 0x4208, v132
	v_or_b32_sdwa v133, v129, v126 dst_sel:DWORD dst_unused:UNUSED_PAD src0_sel:WORD_0 src1_sel:DWORD
	ds_read2_b32 v[126:127], v130 offset0:2 offset1:3
	ds_read2_b32 v[128:129], v128 offset1:1
	v_add_u32_e32 v124, 4, v124
	v_add_u32_e32 v123, 32, v123
	s_waitcnt lgkmcnt(1)
	v_ashrrev_i32_e32 v126, s3, v126
	s_waitcnt lgkmcnt(0)
	v_ashrrev_i32_e32 v128, s22, v128
	v_lshlrev_b32_e32 v128, 2, v128
	v_and_b32_e32 v134, 0x3030303, v126
	v_bfe_u32 v126, v126, 24, 2
	v_and_b32_e32 v128, 0x4040404, v128
	v_sub_u16_e32 v135, v134, v128
	v_sub_u16_sdwa v136, v134, v128 dst_sel:BYTE_1 dst_unused:UNUSED_PAD src0_sel:BYTE_1 src1_sel:BYTE_1
	v_sub_u16_sdwa v126, v126, v128 dst_sel:BYTE_1 dst_unused:UNUSED_PAD src0_sel:DWORD src1_sel:BYTE_3
	v_sub_u16_sdwa v128, v134, v128 dst_sel:DWORD dst_unused:UNUSED_PAD src0_sel:WORD_1 src1_sel:WORD_1
	v_or_b32_sdwa v135, v135, v136 dst_sel:DWORD dst_unused:UNUSED_PAD src0_sel:BYTE_0 src1_sel:DWORD
	v_or_b32_sdwa v126, v128, v126 dst_sel:WORD_1 dst_unused:UNUSED_PAD src0_sel:BYTE_0 src1_sel:DWORD
	v_ashrrev_i32_e32 v128, s22, v129
	v_or_b32_sdwa v134, v135, v126 dst_sel:DWORD dst_unused:UNUSED_PAD src0_sel:WORD_0 src1_sel:DWORD
	v_ashrrev_i32_e32 v126, s3, v127
	v_lshlrev_b32_e32 v128, 2, v128
	v_and_b32_e32 v127, 0x3030303, v126
	v_bfe_u32 v126, v126, 24, 2
	v_and_b32_e32 v128, 0x4040404, v128
	v_sub_u16_e32 v129, v127, v128
	v_sub_u16_sdwa v135, v127, v128 dst_sel:BYTE_1 dst_unused:UNUSED_PAD src0_sel:BYTE_1 src1_sel:BYTE_1
	v_sub_u16_sdwa v126, v126, v128 dst_sel:BYTE_1 dst_unused:UNUSED_PAD src0_sel:DWORD src1_sel:BYTE_3
	v_sub_u16_sdwa v127, v127, v128 dst_sel:DWORD dst_unused:UNUSED_PAD src0_sel:WORD_1 src1_sel:WORD_1
	v_or_b32_sdwa v129, v129, v135 dst_sel:DWORD dst_unused:UNUSED_PAD src0_sel:BYTE_0 src1_sel:DWORD
	v_or_b32_sdwa v126, v127, v126 dst_sel:WORD_1 dst_unused:UNUSED_PAD src0_sel:BYTE_0 src1_sel:DWORD
	v_add_u32_e32 v128, 0x4210, v132
	v_or_b32_sdwa v135, v129, v126 dst_sel:DWORD dst_unused:UNUSED_PAD src0_sel:WORD_0 src1_sel:DWORD
	ds_read2_b32 v[126:127], v130 offset0:4 offset1:5
	ds_read2_b32 v[128:129], v128 offset1:1
	s_waitcnt lgkmcnt(1)
	v_ashrrev_i32_e32 v126, s3, v126
	s_waitcnt lgkmcnt(0)
	v_ashrrev_i32_e32 v128, s22, v128
	v_lshlrev_b32_e32 v128, 2, v128
	v_and_b32_e32 v136, 0x3030303, v126
	v_bfe_u32 v126, v126, 24, 2
	v_and_b32_e32 v128, 0x4040404, v128
	v_sub_u16_e32 v137, v136, v128
	v_sub_u16_sdwa v138, v136, v128 dst_sel:BYTE_1 dst_unused:UNUSED_PAD src0_sel:BYTE_1 src1_sel:BYTE_1
	v_sub_u16_sdwa v126, v126, v128 dst_sel:BYTE_1 dst_unused:UNUSED_PAD src0_sel:DWORD src1_sel:BYTE_3
	v_sub_u16_sdwa v128, v136, v128 dst_sel:DWORD dst_unused:UNUSED_PAD src0_sel:WORD_1 src1_sel:WORD_1
	v_or_b32_sdwa v137, v137, v138 dst_sel:DWORD dst_unused:UNUSED_PAD src0_sel:BYTE_0 src1_sel:DWORD
	v_or_b32_sdwa v126, v128, v126 dst_sel:WORD_1 dst_unused:UNUSED_PAD src0_sel:BYTE_0 src1_sel:DWORD
	v_ashrrev_i32_e32 v128, s22, v129
	v_or_b32_sdwa v136, v137, v126 dst_sel:DWORD dst_unused:UNUSED_PAD src0_sel:WORD_0 src1_sel:DWORD
	v_ashrrev_i32_e32 v126, s3, v127
	v_lshlrev_b32_e32 v128, 2, v128
	v_and_b32_e32 v127, 0x3030303, v126
	v_bfe_u32 v126, v126, 24, 2
	v_and_b32_e32 v128, 0x4040404, v128
	v_sub_u16_e32 v129, v127, v128
	v_sub_u16_sdwa v137, v127, v128 dst_sel:BYTE_1 dst_unused:UNUSED_PAD src0_sel:BYTE_1 src1_sel:BYTE_1
	v_sub_u16_sdwa v126, v126, v128 dst_sel:BYTE_1 dst_unused:UNUSED_PAD src0_sel:DWORD src1_sel:BYTE_3
	v_sub_u16_sdwa v127, v127, v128 dst_sel:DWORD dst_unused:UNUSED_PAD src0_sel:WORD_1 src1_sel:WORD_1
	v_or_b32_sdwa v129, v129, v137 dst_sel:DWORD dst_unused:UNUSED_PAD src0_sel:BYTE_0 src1_sel:DWORD
	v_or_b32_sdwa v126, v127, v126 dst_sel:WORD_1 dst_unused:UNUSED_PAD src0_sel:BYTE_0 src1_sel:DWORD
	v_add_u32_e32 v128, 0x4218, v132
	v_or_b32_sdwa v137, v129, v126 dst_sel:DWORD dst_unused:UNUSED_PAD src0_sel:WORD_0 src1_sel:DWORD
	ds_read2_b32 v[126:127], v130 offset0:6 offset1:7
	ds_read2_b32 v[128:129], v128 offset1:1
	s_waitcnt lgkmcnt(1)
	v_ashrrev_i32_e32 v126, s3, v126
	s_waitcnt lgkmcnt(0)
	v_ashrrev_i32_e32 v128, s22, v128
	v_lshlrev_b32_e32 v128, 2, v128
	v_and_b32_e32 v130, 0x3030303, v126
	v_bfe_u32 v126, v126, 24, 2
	v_and_b32_e32 v128, 0x4040404, v128
	v_sub_u16_e32 v132, v130, v128
	v_sub_u16_sdwa v138, v130, v128 dst_sel:BYTE_1 dst_unused:UNUSED_PAD src0_sel:BYTE_1 src1_sel:BYTE_1
	v_sub_u16_sdwa v126, v126, v128 dst_sel:BYTE_1 dst_unused:UNUSED_PAD src0_sel:DWORD src1_sel:BYTE_3
	v_sub_u16_sdwa v128, v130, v128 dst_sel:DWORD dst_unused:UNUSED_PAD src0_sel:WORD_1 src1_sel:WORD_1
	v_or_b32_sdwa v132, v132, v138 dst_sel:DWORD dst_unused:UNUSED_PAD src0_sel:BYTE_0 src1_sel:DWORD
	v_or_b32_sdwa v126, v128, v126 dst_sel:WORD_1 dst_unused:UNUSED_PAD src0_sel:BYTE_0 src1_sel:DWORD
	v_ashrrev_i32_e32 v128, s22, v129
	v_or_b32_sdwa v130, v132, v126 dst_sel:DWORD dst_unused:UNUSED_PAD src0_sel:WORD_0 src1_sel:DWORD
	v_ashrrev_i32_e32 v126, s3, v127
	v_lshlrev_b32_e32 v128, 2, v128
	v_and_b32_e32 v127, 0x3030303, v126
	v_bfe_u32 v126, v126, 24, 2
	v_and_b32_e32 v128, 0x4040404, v128
	v_sub_u16_e32 v129, v127, v128
	v_sub_u16_sdwa v132, v127, v128 dst_sel:BYTE_1 dst_unused:UNUSED_PAD src0_sel:BYTE_1 src1_sel:BYTE_1
	v_sub_u16_sdwa v126, v126, v128 dst_sel:BYTE_1 dst_unused:UNUSED_PAD src0_sel:DWORD src1_sel:BYTE_3
	v_sub_u16_sdwa v127, v127, v128 dst_sel:DWORD dst_unused:UNUSED_PAD src0_sel:WORD_1 src1_sel:WORD_1
	v_or_b32_sdwa v129, v129, v132 dst_sel:DWORD dst_unused:UNUSED_PAD src0_sel:BYTE_0 src1_sel:DWORD
	v_or_b32_sdwa v126, v127, v126 dst_sel:WORD_1 dst_unused:UNUSED_PAD src0_sel:BYTE_0 src1_sel:DWORD
	s_nop 0
	v_or_b32_sdwa v127, v129, v126 dst_sel:DWORD dst_unused:UNUSED_PAD src0_sel:WORD_0 src1_sel:DWORD
	v_add_u32_e32 v126, s3, v63
	v_add3_u32 v128, v105, s35, v126
	v_add_u32_e32 v129, s38, v69
	ds_read_b32 v132, v129
	ds_read_u16 v128, v128
	v_mov_b32_e32 v129, 0
	v_dot4c_i32_i8_e32 v129, v131, v6
	v_dot4c_i32_i8_e32 v129, v133, v7
	;; [unrolled: 1-line block ×4, first 2 shown]
	s_waitcnt lgkmcnt(0)
	v_lshrrev_b16_e32 v131, 8, v128
	v_bfe_i32 v128, v128, 0, 8
	v_add_lshl_u32 v133, v71, s36, 2
	v_mul_lo_u32 v128, v129, v128
	v_mov_b32_e32 v129, 0
	v_dot4c_i32_i8_e32 v129, v136, v2
	v_dot4c_i32_i8_e32 v129, v137, v3
	;; [unrolled: 1-line block ×4, first 2 shown]
	v_bfe_i32 v127, v131, 0, 8
	v_add_u32_e32 v130, 0x4200, v133
	ds_read2_b32 v[130:131], v130 offset1:1
	v_mad_u64_u32 v[128:129], s[40:41], v129, v127, v[128:129]
	v_cvt_f32_i32_e32 v128, v128
	v_mul_f32_e32 v127, v125, v132
	s_waitcnt lgkmcnt(0)
	v_ashrrev_i32_e32 v130, s22, v130
	v_lshlrev_b32_e32 v130, 2, v130
	v_fmac_f32_e32 v95, v127, v128
	v_add_u32_e32 v127, s37, v75
	ds_read2_b32 v[128:129], v127 offset1:1
	v_and_b32_e32 v130, 0x4040404, v130
	s_waitcnt lgkmcnt(0)
	v_ashrrev_i32_e32 v128, s3, v128
	v_and_b32_e32 v132, 0x3030303, v128
	v_bfe_u32 v128, v128, 24, 2
	v_sub_u16_e32 v134, v132, v130
	v_sub_u16_sdwa v135, v132, v130 dst_sel:BYTE_1 dst_unused:UNUSED_PAD src0_sel:BYTE_1 src1_sel:BYTE_1
	v_sub_u16_sdwa v128, v128, v130 dst_sel:BYTE_1 dst_unused:UNUSED_PAD src0_sel:DWORD src1_sel:BYTE_3
	v_sub_u16_sdwa v130, v132, v130 dst_sel:DWORD dst_unused:UNUSED_PAD src0_sel:WORD_1 src1_sel:WORD_1
	v_or_b32_sdwa v134, v134, v135 dst_sel:DWORD dst_unused:UNUSED_PAD src0_sel:BYTE_0 src1_sel:DWORD
	v_or_b32_sdwa v128, v130, v128 dst_sel:WORD_1 dst_unused:UNUSED_PAD src0_sel:BYTE_0 src1_sel:DWORD
	v_ashrrev_i32_e32 v130, s22, v131
	v_or_b32_sdwa v132, v134, v128 dst_sel:DWORD dst_unused:UNUSED_PAD src0_sel:WORD_0 src1_sel:DWORD
	v_ashrrev_i32_e32 v128, s3, v129
	v_lshlrev_b32_e32 v130, 2, v130
	v_and_b32_e32 v129, 0x3030303, v128
	v_bfe_u32 v128, v128, 24, 2
	v_and_b32_e32 v130, 0x4040404, v130
	v_sub_u16_e32 v131, v129, v130
	v_sub_u16_sdwa v134, v129, v130 dst_sel:BYTE_1 dst_unused:UNUSED_PAD src0_sel:BYTE_1 src1_sel:BYTE_1
	v_sub_u16_sdwa v128, v128, v130 dst_sel:BYTE_1 dst_unused:UNUSED_PAD src0_sel:DWORD src1_sel:BYTE_3
	v_sub_u16_sdwa v129, v129, v130 dst_sel:DWORD dst_unused:UNUSED_PAD src0_sel:WORD_1 src1_sel:WORD_1
	v_or_b32_sdwa v131, v131, v134 dst_sel:DWORD dst_unused:UNUSED_PAD src0_sel:BYTE_0 src1_sel:DWORD
	v_or_b32_sdwa v128, v129, v128 dst_sel:WORD_1 dst_unused:UNUSED_PAD src0_sel:BYTE_0 src1_sel:DWORD
	v_add_u32_e32 v130, 0x4208, v133
	v_or_b32_sdwa v134, v131, v128 dst_sel:DWORD dst_unused:UNUSED_PAD src0_sel:WORD_0 src1_sel:DWORD
	ds_read2_b32 v[128:129], v127 offset0:2 offset1:3
	ds_read2_b32 v[130:131], v130 offset1:1
	s_waitcnt lgkmcnt(1)
	v_ashrrev_i32_e32 v128, s3, v128
	s_waitcnt lgkmcnt(0)
	v_ashrrev_i32_e32 v130, s22, v130
	v_lshlrev_b32_e32 v130, 2, v130
	v_and_b32_e32 v135, 0x3030303, v128
	v_bfe_u32 v128, v128, 24, 2
	v_and_b32_e32 v130, 0x4040404, v130
	v_sub_u16_e32 v136, v135, v130
	v_sub_u16_sdwa v137, v135, v130 dst_sel:BYTE_1 dst_unused:UNUSED_PAD src0_sel:BYTE_1 src1_sel:BYTE_1
	v_sub_u16_sdwa v128, v128, v130 dst_sel:BYTE_1 dst_unused:UNUSED_PAD src0_sel:DWORD src1_sel:BYTE_3
	v_sub_u16_sdwa v130, v135, v130 dst_sel:DWORD dst_unused:UNUSED_PAD src0_sel:WORD_1 src1_sel:WORD_1
	v_or_b32_sdwa v136, v136, v137 dst_sel:DWORD dst_unused:UNUSED_PAD src0_sel:BYTE_0 src1_sel:DWORD
	v_or_b32_sdwa v128, v130, v128 dst_sel:WORD_1 dst_unused:UNUSED_PAD src0_sel:BYTE_0 src1_sel:DWORD
	v_ashrrev_i32_e32 v130, s22, v131
	v_or_b32_sdwa v135, v136, v128 dst_sel:DWORD dst_unused:UNUSED_PAD src0_sel:WORD_0 src1_sel:DWORD
	v_ashrrev_i32_e32 v128, s3, v129
	v_lshlrev_b32_e32 v130, 2, v130
	v_and_b32_e32 v129, 0x3030303, v128
	v_bfe_u32 v128, v128, 24, 2
	v_and_b32_e32 v130, 0x4040404, v130
	v_sub_u16_e32 v131, v129, v130
	v_sub_u16_sdwa v136, v129, v130 dst_sel:BYTE_1 dst_unused:UNUSED_PAD src0_sel:BYTE_1 src1_sel:BYTE_1
	v_sub_u16_sdwa v128, v128, v130 dst_sel:BYTE_1 dst_unused:UNUSED_PAD src0_sel:DWORD src1_sel:BYTE_3
	v_sub_u16_sdwa v129, v129, v130 dst_sel:DWORD dst_unused:UNUSED_PAD src0_sel:WORD_1 src1_sel:WORD_1
	v_or_b32_sdwa v131, v131, v136 dst_sel:DWORD dst_unused:UNUSED_PAD src0_sel:BYTE_0 src1_sel:DWORD
	v_or_b32_sdwa v128, v129, v128 dst_sel:WORD_1 dst_unused:UNUSED_PAD src0_sel:BYTE_0 src1_sel:DWORD
	v_add_u32_e32 v130, 0x4210, v133
	v_or_b32_sdwa v136, v131, v128 dst_sel:DWORD dst_unused:UNUSED_PAD src0_sel:WORD_0 src1_sel:DWORD
	ds_read2_b32 v[128:129], v127 offset0:4 offset1:5
	ds_read2_b32 v[130:131], v130 offset1:1
	s_waitcnt lgkmcnt(1)
	v_ashrrev_i32_e32 v128, s3, v128
	s_waitcnt lgkmcnt(0)
	v_ashrrev_i32_e32 v130, s22, v130
	v_lshlrev_b32_e32 v130, 2, v130
	v_and_b32_e32 v137, 0x3030303, v128
	v_bfe_u32 v128, v128, 24, 2
	v_and_b32_e32 v130, 0x4040404, v130
	;; [unrolled: 31-line block ×3, first 2 shown]
	v_sub_u16_e32 v133, v128, v130
	v_sub_u16_sdwa v139, v128, v130 dst_sel:BYTE_1 dst_unused:UNUSED_PAD src0_sel:BYTE_1 src1_sel:BYTE_1
	v_sub_u16_sdwa v127, v127, v130 dst_sel:BYTE_1 dst_unused:UNUSED_PAD src0_sel:DWORD src1_sel:BYTE_3
	v_sub_u16_sdwa v128, v128, v130 dst_sel:DWORD dst_unused:UNUSED_PAD src0_sel:WORD_1 src1_sel:WORD_1
	v_ashrrev_i32_e32 v130, s22, v131
	v_or_b32_sdwa v127, v128, v127 dst_sel:WORD_1 dst_unused:UNUSED_PAD src0_sel:BYTE_0 src1_sel:DWORD
	v_ashrrev_i32_e32 v128, s3, v129
	v_lshlrev_b32_e32 v130, 2, v130
	v_or_b32_sdwa v133, v133, v139 dst_sel:DWORD dst_unused:UNUSED_PAD src0_sel:BYTE_0 src1_sel:DWORD
	v_and_b32_e32 v129, 0x3030303, v128
	v_bfe_u32 v128, v128, 24, 2
	v_and_b32_e32 v130, 0x4040404, v130
	v_or_b32_sdwa v127, v133, v127 dst_sel:DWORD dst_unused:UNUSED_PAD src0_sel:WORD_0 src1_sel:DWORD
	v_sub_u16_e32 v131, v129, v130
	v_sub_u16_sdwa v133, v129, v130 dst_sel:BYTE_1 dst_unused:UNUSED_PAD src0_sel:BYTE_1 src1_sel:BYTE_1
	v_sub_u16_sdwa v128, v128, v130 dst_sel:BYTE_1 dst_unused:UNUSED_PAD src0_sel:DWORD src1_sel:BYTE_3
	v_sub_u16_sdwa v129, v129, v130 dst_sel:DWORD dst_unused:UNUSED_PAD src0_sel:WORD_1 src1_sel:WORD_1
	v_or_b32_sdwa v131, v131, v133 dst_sel:DWORD dst_unused:UNUSED_PAD src0_sel:BYTE_0 src1_sel:DWORD
	v_or_b32_sdwa v128, v129, v128 dst_sel:WORD_1 dst_unused:UNUSED_PAD src0_sel:BYTE_0 src1_sel:DWORD
	v_add_u32_e32 v130, s38, v77
	v_or_b32_sdwa v129, v131, v128 dst_sel:DWORD dst_unused:UNUSED_PAD src0_sel:WORD_0 src1_sel:DWORD
	v_add3_u32 v128, v104, s35, v126
	ds_read_b32 v130, v130
	ds_read_u16 v128, v128
	v_mov_b32_e32 v131, 0
	v_dot4c_i32_i8_e32 v131, v132, v6
	v_dot4c_i32_i8_e32 v131, v134, v7
	;; [unrolled: 1-line block ×4, first 2 shown]
	s_waitcnt lgkmcnt(0)
	v_lshrrev_b16_e32 v132, 8, v128
	v_bfe_i32 v128, v128, 0, 8
	v_add_lshl_u32 v133, v79, s36, 2
	v_mul_lo_u32 v128, v131, v128
	v_mov_b32_e32 v131, 0
	v_dot4c_i32_i8_e32 v131, v137, v2
	v_dot4c_i32_i8_e32 v131, v138, v3
	;; [unrolled: 1-line block ×4, first 2 shown]
	v_bfe_i32 v127, v132, 0, 8
                                        ; kill: def $vgpr129 killed $sgpr0 killed $exec
	s_nop 1
	v_mad_u64_u32 v[128:129], s[40:41], v131, v127, v[128:129]
	v_cvt_f32_i32_e32 v128, v128
	v_mul_f32_e32 v127, v125, v130
	v_add_u32_e32 v130, 0x4200, v133
	ds_read2_b32 v[130:131], v130 offset1:1
	v_fmac_f32_e32 v94, v127, v128
	v_add_u32_e32 v127, s37, v81
	ds_read2_b32 v[128:129], v127 offset1:1
	s_waitcnt lgkmcnt(1)
	v_ashrrev_i32_e32 v130, s22, v130
	v_lshlrev_b32_e32 v130, 2, v130
	v_and_b32_e32 v130, 0x4040404, v130
	s_waitcnt lgkmcnt(0)
	v_ashrrev_i32_e32 v128, s3, v128
	v_and_b32_e32 v132, 0x3030303, v128
	v_bfe_u32 v128, v128, 24, 2
	v_sub_u16_e32 v134, v132, v130
	v_sub_u16_sdwa v135, v132, v130 dst_sel:BYTE_1 dst_unused:UNUSED_PAD src0_sel:BYTE_1 src1_sel:BYTE_1
	v_sub_u16_sdwa v128, v128, v130 dst_sel:BYTE_1 dst_unused:UNUSED_PAD src0_sel:DWORD src1_sel:BYTE_3
	v_sub_u16_sdwa v130, v132, v130 dst_sel:DWORD dst_unused:UNUSED_PAD src0_sel:WORD_1 src1_sel:WORD_1
	v_or_b32_sdwa v134, v134, v135 dst_sel:DWORD dst_unused:UNUSED_PAD src0_sel:BYTE_0 src1_sel:DWORD
	v_or_b32_sdwa v128, v130, v128 dst_sel:WORD_1 dst_unused:UNUSED_PAD src0_sel:BYTE_0 src1_sel:DWORD
	v_ashrrev_i32_e32 v130, s22, v131
	v_or_b32_sdwa v132, v134, v128 dst_sel:DWORD dst_unused:UNUSED_PAD src0_sel:WORD_0 src1_sel:DWORD
	v_ashrrev_i32_e32 v128, s3, v129
	v_lshlrev_b32_e32 v130, 2, v130
	v_and_b32_e32 v129, 0x3030303, v128
	v_bfe_u32 v128, v128, 24, 2
	v_and_b32_e32 v130, 0x4040404, v130
	v_sub_u16_e32 v131, v129, v130
	v_sub_u16_sdwa v134, v129, v130 dst_sel:BYTE_1 dst_unused:UNUSED_PAD src0_sel:BYTE_1 src1_sel:BYTE_1
	v_sub_u16_sdwa v128, v128, v130 dst_sel:BYTE_1 dst_unused:UNUSED_PAD src0_sel:DWORD src1_sel:BYTE_3
	v_sub_u16_sdwa v129, v129, v130 dst_sel:DWORD dst_unused:UNUSED_PAD src0_sel:WORD_1 src1_sel:WORD_1
	v_or_b32_sdwa v131, v131, v134 dst_sel:DWORD dst_unused:UNUSED_PAD src0_sel:BYTE_0 src1_sel:DWORD
	v_or_b32_sdwa v128, v129, v128 dst_sel:WORD_1 dst_unused:UNUSED_PAD src0_sel:BYTE_0 src1_sel:DWORD
	v_add_u32_e32 v130, 0x4208, v133
	v_or_b32_sdwa v134, v131, v128 dst_sel:DWORD dst_unused:UNUSED_PAD src0_sel:WORD_0 src1_sel:DWORD
	ds_read2_b32 v[128:129], v127 offset0:2 offset1:3
	ds_read2_b32 v[130:131], v130 offset1:1
	s_waitcnt lgkmcnt(1)
	v_ashrrev_i32_e32 v128, s3, v128
	s_waitcnt lgkmcnt(0)
	v_ashrrev_i32_e32 v130, s22, v130
	v_lshlrev_b32_e32 v130, 2, v130
	v_and_b32_e32 v135, 0x3030303, v128
	v_bfe_u32 v128, v128, 24, 2
	v_and_b32_e32 v130, 0x4040404, v130
	v_sub_u16_e32 v136, v135, v130
	v_sub_u16_sdwa v137, v135, v130 dst_sel:BYTE_1 dst_unused:UNUSED_PAD src0_sel:BYTE_1 src1_sel:BYTE_1
	v_sub_u16_sdwa v128, v128, v130 dst_sel:BYTE_1 dst_unused:UNUSED_PAD src0_sel:DWORD src1_sel:BYTE_3
	v_sub_u16_sdwa v130, v135, v130 dst_sel:DWORD dst_unused:UNUSED_PAD src0_sel:WORD_1 src1_sel:WORD_1
	v_or_b32_sdwa v136, v136, v137 dst_sel:DWORD dst_unused:UNUSED_PAD src0_sel:BYTE_0 src1_sel:DWORD
	v_or_b32_sdwa v128, v130, v128 dst_sel:WORD_1 dst_unused:UNUSED_PAD src0_sel:BYTE_0 src1_sel:DWORD
	v_ashrrev_i32_e32 v130, s22, v131
	v_or_b32_sdwa v135, v136, v128 dst_sel:DWORD dst_unused:UNUSED_PAD src0_sel:WORD_0 src1_sel:DWORD
	v_ashrrev_i32_e32 v128, s3, v129
	v_lshlrev_b32_e32 v130, 2, v130
	v_and_b32_e32 v129, 0x3030303, v128
	v_bfe_u32 v128, v128, 24, 2
	v_and_b32_e32 v130, 0x4040404, v130
	v_sub_u16_e32 v131, v129, v130
	v_sub_u16_sdwa v136, v129, v130 dst_sel:BYTE_1 dst_unused:UNUSED_PAD src0_sel:BYTE_1 src1_sel:BYTE_1
	v_sub_u16_sdwa v128, v128, v130 dst_sel:BYTE_1 dst_unused:UNUSED_PAD src0_sel:DWORD src1_sel:BYTE_3
	v_sub_u16_sdwa v129, v129, v130 dst_sel:DWORD dst_unused:UNUSED_PAD src0_sel:WORD_1 src1_sel:WORD_1
	v_or_b32_sdwa v131, v131, v136 dst_sel:DWORD dst_unused:UNUSED_PAD src0_sel:BYTE_0 src1_sel:DWORD
	v_or_b32_sdwa v128, v129, v128 dst_sel:WORD_1 dst_unused:UNUSED_PAD src0_sel:BYTE_0 src1_sel:DWORD
	v_add_u32_e32 v130, 0x4210, v133
	v_or_b32_sdwa v136, v131, v128 dst_sel:DWORD dst_unused:UNUSED_PAD src0_sel:WORD_0 src1_sel:DWORD
	ds_read2_b32 v[128:129], v127 offset0:4 offset1:5
	ds_read2_b32 v[130:131], v130 offset1:1
	s_waitcnt lgkmcnt(1)
	v_ashrrev_i32_e32 v128, s3, v128
	s_waitcnt lgkmcnt(0)
	v_ashrrev_i32_e32 v130, s22, v130
	v_lshlrev_b32_e32 v130, 2, v130
	v_and_b32_e32 v137, 0x3030303, v128
	v_bfe_u32 v128, v128, 24, 2
	v_and_b32_e32 v130, 0x4040404, v130
	;; [unrolled: 31-line block ×3, first 2 shown]
	v_sub_u16_e32 v133, v128, v130
	v_sub_u16_sdwa v139, v128, v130 dst_sel:BYTE_1 dst_unused:UNUSED_PAD src0_sel:BYTE_1 src1_sel:BYTE_1
	v_sub_u16_sdwa v127, v127, v130 dst_sel:BYTE_1 dst_unused:UNUSED_PAD src0_sel:DWORD src1_sel:BYTE_3
	v_sub_u16_sdwa v128, v128, v130 dst_sel:DWORD dst_unused:UNUSED_PAD src0_sel:WORD_1 src1_sel:WORD_1
	v_ashrrev_i32_e32 v130, s22, v131
	v_or_b32_sdwa v127, v128, v127 dst_sel:WORD_1 dst_unused:UNUSED_PAD src0_sel:BYTE_0 src1_sel:DWORD
	v_ashrrev_i32_e32 v128, s3, v129
	v_lshlrev_b32_e32 v130, 2, v130
	v_or_b32_sdwa v133, v133, v139 dst_sel:DWORD dst_unused:UNUSED_PAD src0_sel:BYTE_0 src1_sel:DWORD
	v_and_b32_e32 v129, 0x3030303, v128
	v_bfe_u32 v128, v128, 24, 2
	v_and_b32_e32 v130, 0x4040404, v130
	v_or_b32_sdwa v127, v133, v127 dst_sel:DWORD dst_unused:UNUSED_PAD src0_sel:WORD_0 src1_sel:DWORD
	v_sub_u16_e32 v131, v129, v130
	v_sub_u16_sdwa v133, v129, v130 dst_sel:BYTE_1 dst_unused:UNUSED_PAD src0_sel:BYTE_1 src1_sel:BYTE_1
	v_sub_u16_sdwa v128, v128, v130 dst_sel:BYTE_1 dst_unused:UNUSED_PAD src0_sel:DWORD src1_sel:BYTE_3
	v_sub_u16_sdwa v129, v129, v130 dst_sel:DWORD dst_unused:UNUSED_PAD src0_sel:WORD_1 src1_sel:WORD_1
	v_or_b32_sdwa v131, v131, v133 dst_sel:DWORD dst_unused:UNUSED_PAD src0_sel:BYTE_0 src1_sel:DWORD
	v_or_b32_sdwa v128, v129, v128 dst_sel:WORD_1 dst_unused:UNUSED_PAD src0_sel:BYTE_0 src1_sel:DWORD
	v_add_u32_e32 v130, s38, v86
	v_or_b32_sdwa v129, v131, v128 dst_sel:DWORD dst_unused:UNUSED_PAD src0_sel:WORD_0 src1_sel:DWORD
	v_add3_u32 v128, v103, s35, v126
	ds_read_b32 v130, v130
	ds_read_u16 v128, v128
	v_mov_b32_e32 v131, 0
	v_dot4c_i32_i8_e32 v131, v132, v6
	v_dot4c_i32_i8_e32 v131, v134, v7
	;; [unrolled: 1-line block ×4, first 2 shown]
	s_waitcnt lgkmcnt(0)
	v_lshrrev_b16_e32 v132, 8, v128
	v_bfe_i32 v128, v128, 0, 8
	v_add_lshl_u32 v133, v87, s36, 2
	v_mul_lo_u32 v128, v131, v128
	v_mov_b32_e32 v131, 0
	v_dot4c_i32_i8_e32 v131, v137, v2
	v_dot4c_i32_i8_e32 v131, v138, v3
	v_dot4c_i32_i8_e32 v131, v127, v4
	v_dot4c_i32_i8_e32 v131, v129, v5
	v_bfe_i32 v127, v132, 0, 8
                                        ; kill: def $vgpr129 killed $sgpr0 killed $exec
	v_add3_u32 v126, v102, s35, v126
	s_nop 0
	v_mad_u64_u32 v[128:129], s[40:41], v131, v127, v[128:129]
	v_cvt_f32_i32_e32 v128, v128
	v_mul_f32_e32 v127, v125, v130
	v_add_u32_e32 v130, 0x4200, v133
	ds_read2_b32 v[130:131], v130 offset1:1
	v_fmac_f32_e32 v93, v127, v128
	v_add_u32_e32 v127, s37, v88
	ds_read2_b32 v[128:129], v127 offset1:1
	s_waitcnt lgkmcnt(1)
	v_ashrrev_i32_e32 v130, s22, v130
	v_lshlrev_b32_e32 v130, 2, v130
	v_and_b32_e32 v130, 0x4040404, v130
	s_waitcnt lgkmcnt(0)
	v_ashrrev_i32_e32 v128, s3, v128
	v_and_b32_e32 v132, 0x3030303, v128
	v_bfe_u32 v128, v128, 24, 2
	v_sub_u16_e32 v134, v132, v130
	v_sub_u16_sdwa v135, v132, v130 dst_sel:BYTE_1 dst_unused:UNUSED_PAD src0_sel:BYTE_1 src1_sel:BYTE_1
	v_sub_u16_sdwa v128, v128, v130 dst_sel:BYTE_1 dst_unused:UNUSED_PAD src0_sel:DWORD src1_sel:BYTE_3
	v_sub_u16_sdwa v130, v132, v130 dst_sel:DWORD dst_unused:UNUSED_PAD src0_sel:WORD_1 src1_sel:WORD_1
	v_or_b32_sdwa v134, v134, v135 dst_sel:DWORD dst_unused:UNUSED_PAD src0_sel:BYTE_0 src1_sel:DWORD
	v_or_b32_sdwa v128, v130, v128 dst_sel:WORD_1 dst_unused:UNUSED_PAD src0_sel:BYTE_0 src1_sel:DWORD
	v_ashrrev_i32_e32 v130, s22, v131
	v_or_b32_sdwa v132, v134, v128 dst_sel:DWORD dst_unused:UNUSED_PAD src0_sel:WORD_0 src1_sel:DWORD
	v_ashrrev_i32_e32 v128, s3, v129
	v_lshlrev_b32_e32 v130, 2, v130
	v_and_b32_e32 v129, 0x3030303, v128
	v_bfe_u32 v128, v128, 24, 2
	v_and_b32_e32 v130, 0x4040404, v130
	v_sub_u16_e32 v131, v129, v130
	v_sub_u16_sdwa v134, v129, v130 dst_sel:BYTE_1 dst_unused:UNUSED_PAD src0_sel:BYTE_1 src1_sel:BYTE_1
	v_sub_u16_sdwa v128, v128, v130 dst_sel:BYTE_1 dst_unused:UNUSED_PAD src0_sel:DWORD src1_sel:BYTE_3
	v_sub_u16_sdwa v129, v129, v130 dst_sel:DWORD dst_unused:UNUSED_PAD src0_sel:WORD_1 src1_sel:WORD_1
	v_or_b32_sdwa v131, v131, v134 dst_sel:DWORD dst_unused:UNUSED_PAD src0_sel:BYTE_0 src1_sel:DWORD
	v_or_b32_sdwa v128, v129, v128 dst_sel:WORD_1 dst_unused:UNUSED_PAD src0_sel:BYTE_0 src1_sel:DWORD
	v_add_u32_e32 v130, 0x4208, v133
	v_or_b32_sdwa v134, v131, v128 dst_sel:DWORD dst_unused:UNUSED_PAD src0_sel:WORD_0 src1_sel:DWORD
	ds_read2_b32 v[128:129], v127 offset0:2 offset1:3
	ds_read2_b32 v[130:131], v130 offset1:1
	s_waitcnt lgkmcnt(1)
	v_ashrrev_i32_e32 v128, s3, v128
	s_waitcnt lgkmcnt(0)
	v_ashrrev_i32_e32 v130, s22, v130
	v_lshlrev_b32_e32 v130, 2, v130
	v_and_b32_e32 v135, 0x3030303, v128
	v_bfe_u32 v128, v128, 24, 2
	v_and_b32_e32 v130, 0x4040404, v130
	v_sub_u16_e32 v136, v135, v130
	v_sub_u16_sdwa v137, v135, v130 dst_sel:BYTE_1 dst_unused:UNUSED_PAD src0_sel:BYTE_1 src1_sel:BYTE_1
	v_sub_u16_sdwa v128, v128, v130 dst_sel:BYTE_1 dst_unused:UNUSED_PAD src0_sel:DWORD src1_sel:BYTE_3
	v_sub_u16_sdwa v130, v135, v130 dst_sel:DWORD dst_unused:UNUSED_PAD src0_sel:WORD_1 src1_sel:WORD_1
	v_or_b32_sdwa v136, v136, v137 dst_sel:DWORD dst_unused:UNUSED_PAD src0_sel:BYTE_0 src1_sel:DWORD
	v_or_b32_sdwa v128, v130, v128 dst_sel:WORD_1 dst_unused:UNUSED_PAD src0_sel:BYTE_0 src1_sel:DWORD
	v_ashrrev_i32_e32 v130, s22, v131
	v_or_b32_sdwa v135, v136, v128 dst_sel:DWORD dst_unused:UNUSED_PAD src0_sel:WORD_0 src1_sel:DWORD
	v_ashrrev_i32_e32 v128, s3, v129
	v_lshlrev_b32_e32 v130, 2, v130
	v_and_b32_e32 v129, 0x3030303, v128
	v_bfe_u32 v128, v128, 24, 2
	v_and_b32_e32 v130, 0x4040404, v130
	v_sub_u16_e32 v131, v129, v130
	v_sub_u16_sdwa v136, v129, v130 dst_sel:BYTE_1 dst_unused:UNUSED_PAD src0_sel:BYTE_1 src1_sel:BYTE_1
	v_sub_u16_sdwa v128, v128, v130 dst_sel:BYTE_1 dst_unused:UNUSED_PAD src0_sel:DWORD src1_sel:BYTE_3
	v_sub_u16_sdwa v129, v129, v130 dst_sel:DWORD dst_unused:UNUSED_PAD src0_sel:WORD_1 src1_sel:WORD_1
	v_or_b32_sdwa v131, v131, v136 dst_sel:DWORD dst_unused:UNUSED_PAD src0_sel:BYTE_0 src1_sel:DWORD
	v_or_b32_sdwa v128, v129, v128 dst_sel:WORD_1 dst_unused:UNUSED_PAD src0_sel:BYTE_0 src1_sel:DWORD
	v_add_u32_e32 v130, 0x4210, v133
	v_or_b32_sdwa v136, v131, v128 dst_sel:DWORD dst_unused:UNUSED_PAD src0_sel:WORD_0 src1_sel:DWORD
	ds_read2_b32 v[128:129], v127 offset0:4 offset1:5
	ds_read2_b32 v[130:131], v130 offset1:1
	s_waitcnt lgkmcnt(1)
	v_ashrrev_i32_e32 v128, s3, v128
	s_waitcnt lgkmcnt(0)
	v_ashrrev_i32_e32 v130, s22, v130
	v_lshlrev_b32_e32 v130, 2, v130
	v_and_b32_e32 v137, 0x3030303, v128
	v_bfe_u32 v128, v128, 24, 2
	v_and_b32_e32 v130, 0x4040404, v130
	;; [unrolled: 31-line block ×3, first 2 shown]
	v_sub_u16_e32 v133, v128, v130
	v_sub_u16_sdwa v139, v128, v130 dst_sel:BYTE_1 dst_unused:UNUSED_PAD src0_sel:BYTE_1 src1_sel:BYTE_1
	v_sub_u16_sdwa v127, v127, v130 dst_sel:BYTE_1 dst_unused:UNUSED_PAD src0_sel:DWORD src1_sel:BYTE_3
	v_sub_u16_sdwa v128, v128, v130 dst_sel:DWORD dst_unused:UNUSED_PAD src0_sel:WORD_1 src1_sel:WORD_1
	v_ashrrev_i32_e32 v130, s22, v131
	v_or_b32_sdwa v127, v128, v127 dst_sel:WORD_1 dst_unused:UNUSED_PAD src0_sel:BYTE_0 src1_sel:DWORD
	v_ashrrev_i32_e32 v128, s3, v129
	v_lshlrev_b32_e32 v130, 2, v130
	v_or_b32_sdwa v133, v133, v139 dst_sel:DWORD dst_unused:UNUSED_PAD src0_sel:BYTE_0 src1_sel:DWORD
	v_and_b32_e32 v129, 0x3030303, v128
	v_bfe_u32 v128, v128, 24, 2
	v_and_b32_e32 v130, 0x4040404, v130
	v_or_b32_sdwa v127, v133, v127 dst_sel:DWORD dst_unused:UNUSED_PAD src0_sel:WORD_0 src1_sel:DWORD
	v_sub_u16_e32 v131, v129, v130
	v_sub_u16_sdwa v133, v129, v130 dst_sel:BYTE_1 dst_unused:UNUSED_PAD src0_sel:BYTE_1 src1_sel:BYTE_1
	v_sub_u16_sdwa v128, v128, v130 dst_sel:BYTE_1 dst_unused:UNUSED_PAD src0_sel:DWORD src1_sel:BYTE_3
	v_sub_u16_sdwa v129, v129, v130 dst_sel:DWORD dst_unused:UNUSED_PAD src0_sel:WORD_1 src1_sel:WORD_1
	v_or_b32_sdwa v128, v129, v128 dst_sel:WORD_1 dst_unused:UNUSED_PAD src0_sel:BYTE_0 src1_sel:DWORD
	v_add_u32_e32 v129, s38, v89
	v_mov_b32_e32 v130, 0
	ds_read_b32 v129, v129
	v_dot4c_i32_i8_e32 v130, v132, v6
	ds_read_u16 v6, v126
	v_dot4c_i32_i8_e32 v130, v134, v7
	v_dot4c_i32_i8_e32 v130, v135, v8
	v_mov_b32_e32 v8, 0
	v_dot4c_i32_i8_e32 v8, v137, v2
	v_or_b32_sdwa v131, v131, v133 dst_sel:DWORD dst_unused:UNUSED_PAD src0_sel:BYTE_0 src1_sel:DWORD
	v_dot4c_i32_i8_e32 v8, v138, v3
	v_or_b32_sdwa v128, v131, v128 dst_sel:DWORD dst_unused:UNUSED_PAD src0_sel:WORD_0 src1_sel:DWORD
	v_dot4c_i32_i8_e32 v130, v136, v9
	s_waitcnt lgkmcnt(0)
	v_lshrrev_b16_e32 v7, 8, v6
	v_bfe_i32 v6, v6, 0, 8
	v_dot4c_i32_i8_e32 v8, v127, v4
	v_mul_lo_u32 v6, v130, v6
	v_dot4c_i32_i8_e32 v8, v128, v5
	v_bfe_i32 v2, v7, 0, 8
	s_add_i32 s3, s3, 2
	s_add_i32 s22, s22, 1
	v_mad_u64_u32 v[2:3], s[36:37], v8, v2, v[6:7]
	v_cvt_f32_i32_e32 v2, v2
	v_mul_f32_e32 v3, v125, v129
	s_cmp_lt_u32 s23, 14
	v_fmac_f32_e32 v11, v3, v2
	s_cbranch_scc1 .LBB189_20
; %bb.21:                               ;   in Loop: Header=BB189_5 Depth=1
	s_or_b32 s2, s34, 0x100
	s_cmp_ge_i32 s2, s15
	s_barrier
	s_cbranch_scc1 .LBB189_4
; %bb.22:                               ;   in Loop: Header=BB189_5 Depth=1
	v_add_u32_e32 v2, s33, v91
	v_cmp_gt_i32_e64 s[2:3], s5, v2
	s_and_b64 s[22:23], s[0:1], s[2:3]
	s_and_saveexec_b64 s[2:3], s[22:23]
	s_cbranch_execz .LBB189_24
; %bb.23:                               ;   in Loop: Header=BB189_5 Depth=1
	v_add_u32_e32 v2, v84, v2
	v_mad_i64_i32 v[2:3], s[22:23], v2, 36, v[82:83]
	global_load_dword v2, v[2:3], off offset:4
	s_waitcnt vmcnt(0)
	ds_write_b32 v59, v2
.LBB189_24:                             ;   in Loop: Header=BB189_5 Depth=1
	s_or_b64 exec, exec, s[2:3]
	s_and_saveexec_b64 s[22:23], vcc
	s_cbranch_execz .LBB189_27
; %bb.25:                               ;   in Loop: Header=BB189_5 Depth=1
	v_or_b32_e32 v2, s33, v15
	v_or_b32_e32 v3, 8, v2
	v_cmp_gt_i32_e64 s[2:3], s5, v3
	s_and_b64 s[2:3], s[0:1], s[2:3]
	s_and_b64 exec, exec, s[2:3]
	s_cbranch_execz .LBB189_27
; %bb.26:                               ;   in Loop: Header=BB189_5 Depth=1
	v_ashrrev_i32_e32 v3, 31, v2
	v_lshl_add_u64 v[2:3], v[84:85], 0, v[2:3]
	v_mad_u64_u32 v[4:5], s[2:3], v2, 36, s[16:17]
	v_mad_i32_i24 v5, v3, 36, v5
	global_load_dword v2, v[4:5], off
	s_waitcnt vmcnt(0)
	v_cvt_f32_f16_e32 v2, v2
	ds_write_b32 v61, v2
.LBB189_27:                             ;   in Loop: Header=BB189_5 Depth=1
	s_or_b64 exec, exec, s[22:23]
	s_mov_b32 s2, 16
	s_mov_b32 s36, 14
	;; [unrolled: 1-line block ×3, first 2 shown]
	v_mov_b32_e32 v123, v100
	v_mov_b32_e32 v124, v101
	s_waitcnt lgkmcnt(0)
	s_barrier
.LBB189_28:                             ;   Parent Loop BB189_5 Depth=1
                                        ; =>  This Inner Loop Header: Depth=2
	s_add_i32 s22, s36, 2
	s_lshr_b32 s39, s22, 4
	s_and_b32 s37, s22, 0x3ffffff8
	s_lshl_b32 s35, s39, 3
	s_lshl_b32 s37, s37, 2
	v_add_lshl_u32 v132, v65, s35, 2
	v_add_u32_e32 v130, s37, v67
	v_add_u32_e32 v128, 0x4200, v132
	ds_read_b32 v125, v124
	ds_read_b128 v[6:9], v123
	ds_read_b128 v[2:5], v123 offset:16
	ds_read2_b32 v[126:127], v130 offset1:1
	ds_read2_b32 v[128:129], v128 offset1:1
	s_add_i32 s23, s36, -14
	s_and_b32 s38, s2, -16
	s_add_i32 s36, s36, s38
	s_waitcnt lgkmcnt(1)
	v_ashrrev_i32_e32 v126, s23, v126
	s_waitcnt lgkmcnt(0)
	v_ashrrev_i32_e32 v128, s3, v128
	v_lshlrev_b32_e32 v128, 2, v128
	v_and_b32_e32 v131, 0x3030303, v126
	v_bfe_u32 v126, v126, 24, 2
	v_and_b32_e32 v128, 0x4040404, v128
	v_sub_u16_e32 v133, v131, v128
	v_sub_u16_sdwa v134, v131, v128 dst_sel:BYTE_1 dst_unused:UNUSED_PAD src0_sel:BYTE_1 src1_sel:BYTE_1
	v_sub_u16_sdwa v126, v126, v128 dst_sel:BYTE_1 dst_unused:UNUSED_PAD src0_sel:DWORD src1_sel:BYTE_3
	v_sub_u16_sdwa v128, v131, v128 dst_sel:DWORD dst_unused:UNUSED_PAD src0_sel:WORD_1 src1_sel:WORD_1
	v_or_b32_sdwa v133, v133, v134 dst_sel:DWORD dst_unused:UNUSED_PAD src0_sel:BYTE_0 src1_sel:DWORD
	v_or_b32_sdwa v126, v128, v126 dst_sel:WORD_1 dst_unused:UNUSED_PAD src0_sel:BYTE_0 src1_sel:DWORD
	v_ashrrev_i32_e32 v128, s3, v129
	v_or_b32_sdwa v131, v133, v126 dst_sel:DWORD dst_unused:UNUSED_PAD src0_sel:WORD_0 src1_sel:DWORD
	v_ashrrev_i32_e32 v126, s23, v127
	v_lshlrev_b32_e32 v128, 2, v128
	v_and_b32_e32 v127, 0x3030303, v126
	v_bfe_u32 v126, v126, 24, 2
	v_and_b32_e32 v128, 0x4040404, v128
	v_sub_u16_e32 v129, v127, v128
	v_sub_u16_sdwa v133, v127, v128 dst_sel:BYTE_1 dst_unused:UNUSED_PAD src0_sel:BYTE_1 src1_sel:BYTE_1
	v_sub_u16_sdwa v126, v126, v128 dst_sel:BYTE_1 dst_unused:UNUSED_PAD src0_sel:DWORD src1_sel:BYTE_3
	v_sub_u16_sdwa v127, v127, v128 dst_sel:DWORD dst_unused:UNUSED_PAD src0_sel:WORD_1 src1_sel:WORD_1
	v_or_b32_sdwa v129, v129, v133 dst_sel:DWORD dst_unused:UNUSED_PAD src0_sel:BYTE_0 src1_sel:DWORD
	v_or_b32_sdwa v126, v127, v126 dst_sel:WORD_1 dst_unused:UNUSED_PAD src0_sel:BYTE_0 src1_sel:DWORD
	v_add_u32_e32 v128, 0x4208, v132
	v_or_b32_sdwa v133, v129, v126 dst_sel:DWORD dst_unused:UNUSED_PAD src0_sel:WORD_0 src1_sel:DWORD
	ds_read2_b32 v[126:127], v130 offset0:2 offset1:3
	ds_read2_b32 v[128:129], v128 offset1:1
	s_lshl_b32 s38, s39, 2
	s_add_i32 s2, s2, 2
	v_add_u32_e32 v124, 4, v124
	s_waitcnt lgkmcnt(1)
	v_ashrrev_i32_e32 v126, s23, v126
	s_waitcnt lgkmcnt(0)
	v_ashrrev_i32_e32 v128, s3, v128
	v_lshlrev_b32_e32 v128, 2, v128
	v_and_b32_e32 v134, 0x3030303, v126
	v_bfe_u32 v126, v126, 24, 2
	v_and_b32_e32 v128, 0x4040404, v128
	v_sub_u16_e32 v135, v134, v128
	v_sub_u16_sdwa v136, v134, v128 dst_sel:BYTE_1 dst_unused:UNUSED_PAD src0_sel:BYTE_1 src1_sel:BYTE_1
	v_sub_u16_sdwa v126, v126, v128 dst_sel:BYTE_1 dst_unused:UNUSED_PAD src0_sel:DWORD src1_sel:BYTE_3
	v_sub_u16_sdwa v128, v134, v128 dst_sel:DWORD dst_unused:UNUSED_PAD src0_sel:WORD_1 src1_sel:WORD_1
	v_or_b32_sdwa v135, v135, v136 dst_sel:DWORD dst_unused:UNUSED_PAD src0_sel:BYTE_0 src1_sel:DWORD
	v_or_b32_sdwa v126, v128, v126 dst_sel:WORD_1 dst_unused:UNUSED_PAD src0_sel:BYTE_0 src1_sel:DWORD
	v_ashrrev_i32_e32 v128, s3, v129
	v_or_b32_sdwa v134, v135, v126 dst_sel:DWORD dst_unused:UNUSED_PAD src0_sel:WORD_0 src1_sel:DWORD
	v_ashrrev_i32_e32 v126, s23, v127
	v_lshlrev_b32_e32 v128, 2, v128
	v_and_b32_e32 v127, 0x3030303, v126
	v_bfe_u32 v126, v126, 24, 2
	v_and_b32_e32 v128, 0x4040404, v128
	v_sub_u16_e32 v129, v127, v128
	v_sub_u16_sdwa v135, v127, v128 dst_sel:BYTE_1 dst_unused:UNUSED_PAD src0_sel:BYTE_1 src1_sel:BYTE_1
	v_sub_u16_sdwa v126, v126, v128 dst_sel:BYTE_1 dst_unused:UNUSED_PAD src0_sel:DWORD src1_sel:BYTE_3
	v_sub_u16_sdwa v127, v127, v128 dst_sel:DWORD dst_unused:UNUSED_PAD src0_sel:WORD_1 src1_sel:WORD_1
	v_or_b32_sdwa v129, v129, v135 dst_sel:DWORD dst_unused:UNUSED_PAD src0_sel:BYTE_0 src1_sel:DWORD
	v_or_b32_sdwa v126, v127, v126 dst_sel:WORD_1 dst_unused:UNUSED_PAD src0_sel:BYTE_0 src1_sel:DWORD
	v_add_u32_e32 v128, 0x4210, v132
	v_or_b32_sdwa v135, v129, v126 dst_sel:DWORD dst_unused:UNUSED_PAD src0_sel:WORD_0 src1_sel:DWORD
	ds_read2_b32 v[126:127], v130 offset0:4 offset1:5
	ds_read2_b32 v[128:129], v128 offset1:1
	v_add_u32_e32 v123, 32, v123
	s_waitcnt lgkmcnt(1)
	v_ashrrev_i32_e32 v126, s23, v126
	s_waitcnt lgkmcnt(0)
	v_ashrrev_i32_e32 v128, s3, v128
	v_lshlrev_b32_e32 v128, 2, v128
	v_and_b32_e32 v136, 0x3030303, v126
	v_bfe_u32 v126, v126, 24, 2
	v_and_b32_e32 v128, 0x4040404, v128
	v_sub_u16_e32 v137, v136, v128
	v_sub_u16_sdwa v138, v136, v128 dst_sel:BYTE_1 dst_unused:UNUSED_PAD src0_sel:BYTE_1 src1_sel:BYTE_1
	v_sub_u16_sdwa v126, v126, v128 dst_sel:BYTE_1 dst_unused:UNUSED_PAD src0_sel:DWORD src1_sel:BYTE_3
	v_sub_u16_sdwa v128, v136, v128 dst_sel:DWORD dst_unused:UNUSED_PAD src0_sel:WORD_1 src1_sel:WORD_1
	v_or_b32_sdwa v137, v137, v138 dst_sel:DWORD dst_unused:UNUSED_PAD src0_sel:BYTE_0 src1_sel:DWORD
	v_or_b32_sdwa v126, v128, v126 dst_sel:WORD_1 dst_unused:UNUSED_PAD src0_sel:BYTE_0 src1_sel:DWORD
	v_ashrrev_i32_e32 v128, s3, v129
	v_or_b32_sdwa v136, v137, v126 dst_sel:DWORD dst_unused:UNUSED_PAD src0_sel:WORD_0 src1_sel:DWORD
	v_ashrrev_i32_e32 v126, s23, v127
	v_lshlrev_b32_e32 v128, 2, v128
	v_and_b32_e32 v127, 0x3030303, v126
	v_bfe_u32 v126, v126, 24, 2
	v_and_b32_e32 v128, 0x4040404, v128
	v_sub_u16_e32 v129, v127, v128
	v_sub_u16_sdwa v137, v127, v128 dst_sel:BYTE_1 dst_unused:UNUSED_PAD src0_sel:BYTE_1 src1_sel:BYTE_1
	v_sub_u16_sdwa v126, v126, v128 dst_sel:BYTE_1 dst_unused:UNUSED_PAD src0_sel:DWORD src1_sel:BYTE_3
	v_sub_u16_sdwa v127, v127, v128 dst_sel:DWORD dst_unused:UNUSED_PAD src0_sel:WORD_1 src1_sel:WORD_1
	v_or_b32_sdwa v129, v129, v137 dst_sel:DWORD dst_unused:UNUSED_PAD src0_sel:BYTE_0 src1_sel:DWORD
	v_or_b32_sdwa v126, v127, v126 dst_sel:WORD_1 dst_unused:UNUSED_PAD src0_sel:BYTE_0 src1_sel:DWORD
	v_add_u32_e32 v128, 0x4218, v132
	v_or_b32_sdwa v137, v129, v126 dst_sel:DWORD dst_unused:UNUSED_PAD src0_sel:WORD_0 src1_sel:DWORD
	ds_read2_b32 v[126:127], v130 offset0:6 offset1:7
	ds_read2_b32 v[128:129], v128 offset1:1
	s_waitcnt lgkmcnt(1)
	v_ashrrev_i32_e32 v126, s23, v126
	s_waitcnt lgkmcnt(0)
	v_ashrrev_i32_e32 v128, s3, v128
	v_lshlrev_b32_e32 v128, 2, v128
	v_and_b32_e32 v130, 0x3030303, v126
	v_bfe_u32 v126, v126, 24, 2
	v_and_b32_e32 v128, 0x4040404, v128
	v_sub_u16_e32 v132, v130, v128
	v_sub_u16_sdwa v138, v130, v128 dst_sel:BYTE_1 dst_unused:UNUSED_PAD src0_sel:BYTE_1 src1_sel:BYTE_1
	v_sub_u16_sdwa v126, v126, v128 dst_sel:BYTE_1 dst_unused:UNUSED_PAD src0_sel:DWORD src1_sel:BYTE_3
	v_sub_u16_sdwa v128, v130, v128 dst_sel:DWORD dst_unused:UNUSED_PAD src0_sel:WORD_1 src1_sel:WORD_1
	v_or_b32_sdwa v132, v132, v138 dst_sel:DWORD dst_unused:UNUSED_PAD src0_sel:BYTE_0 src1_sel:DWORD
	v_or_b32_sdwa v126, v128, v126 dst_sel:WORD_1 dst_unused:UNUSED_PAD src0_sel:BYTE_0 src1_sel:DWORD
	v_ashrrev_i32_e32 v129, s3, v129
	v_or_b32_sdwa v128, v132, v126 dst_sel:DWORD dst_unused:UNUSED_PAD src0_sel:WORD_0 src1_sel:DWORD
	v_ashrrev_i32_e32 v126, s23, v127
	v_lshlrev_b32_e32 v129, 2, v129
	v_and_b32_e32 v127, 0x3030303, v126
	v_bfe_u32 v126, v126, 24, 2
	v_and_b32_e32 v129, 0x4040404, v129
	v_sub_u16_e32 v130, v127, v129
	v_sub_u16_sdwa v132, v127, v129 dst_sel:BYTE_1 dst_unused:UNUSED_PAD src0_sel:BYTE_1 src1_sel:BYTE_1
	v_sub_u16_sdwa v126, v126, v129 dst_sel:BYTE_1 dst_unused:UNUSED_PAD src0_sel:DWORD src1_sel:BYTE_3
	v_sub_u16_sdwa v127, v127, v129 dst_sel:DWORD dst_unused:UNUSED_PAD src0_sel:WORD_1 src1_sel:WORD_1
	v_or_b32_sdwa v130, v130, v132 dst_sel:DWORD dst_unused:UNUSED_PAD src0_sel:BYTE_0 src1_sel:DWORD
	v_or_b32_sdwa v126, v127, v126 dst_sel:WORD_1 dst_unused:UNUSED_PAD src0_sel:BYTE_0 src1_sel:DWORD
	v_add_u32_e32 v129, s38, v69
	v_or_b32_sdwa v127, v130, v126 dst_sel:DWORD dst_unused:UNUSED_PAD src0_sel:WORD_0 src1_sel:DWORD
	v_add_u32_e32 v126, s36, v109
	ds_read_b32 v129, v129
	ds_read_u16 v126, v126 offset:25330
	v_mov_b32_e32 v130, 0
	v_dot4c_i32_i8_e32 v130, v131, v6
	v_dot4c_i32_i8_e32 v130, v133, v7
	v_dot4c_i32_i8_e32 v130, v134, v8
	v_dot4c_i32_i8_e32 v130, v135, v9
	s_waitcnt lgkmcnt(0)
	v_lshrrev_b16_e32 v131, 8, v126
	v_bfe_i32 v126, v126, 0, 8
	v_add_lshl_u32 v132, v71, s35, 2
	v_mul_lo_u32 v126, v130, v126
	v_mov_b32_e32 v130, 0
	v_dot4c_i32_i8_e32 v130, v136, v2
	v_dot4c_i32_i8_e32 v130, v137, v3
	;; [unrolled: 1-line block ×4, first 2 shown]
	v_bfe_i32 v127, v131, 0, 8
	v_add_u32_e32 v128, 0x4200, v132
	s_nop 0
	v_mad_u64_u32 v[126:127], s[40:41], v130, v127, v[126:127]
	v_cvt_f32_i32_e32 v126, v126
	v_mul_f32_e32 v127, v125, v129
	v_add_u32_e32 v130, s37, v75
	ds_read2_b32 v[128:129], v128 offset1:1
	v_fmac_f32_e32 v95, v127, v126
	ds_read2_b32 v[126:127], v130 offset1:1
	s_waitcnt lgkmcnt(1)
	v_ashrrev_i32_e32 v128, s3, v128
	v_lshlrev_b32_e32 v128, 2, v128
	s_waitcnt lgkmcnt(0)
	v_ashrrev_i32_e32 v126, s23, v126
	v_and_b32_e32 v131, 0x3030303, v126
	v_bfe_u32 v126, v126, 24, 2
	v_and_b32_e32 v128, 0x4040404, v128
	v_sub_u16_e32 v133, v131, v128
	v_sub_u16_sdwa v134, v131, v128 dst_sel:BYTE_1 dst_unused:UNUSED_PAD src0_sel:BYTE_1 src1_sel:BYTE_1
	v_sub_u16_sdwa v126, v126, v128 dst_sel:BYTE_1 dst_unused:UNUSED_PAD src0_sel:DWORD src1_sel:BYTE_3
	v_sub_u16_sdwa v128, v131, v128 dst_sel:DWORD dst_unused:UNUSED_PAD src0_sel:WORD_1 src1_sel:WORD_1
	v_or_b32_sdwa v133, v133, v134 dst_sel:DWORD dst_unused:UNUSED_PAD src0_sel:BYTE_0 src1_sel:DWORD
	v_or_b32_sdwa v126, v128, v126 dst_sel:WORD_1 dst_unused:UNUSED_PAD src0_sel:BYTE_0 src1_sel:DWORD
	v_ashrrev_i32_e32 v128, s3, v129
	v_or_b32_sdwa v131, v133, v126 dst_sel:DWORD dst_unused:UNUSED_PAD src0_sel:WORD_0 src1_sel:DWORD
	v_ashrrev_i32_e32 v126, s23, v127
	v_lshlrev_b32_e32 v128, 2, v128
	v_and_b32_e32 v127, 0x3030303, v126
	v_bfe_u32 v126, v126, 24, 2
	v_and_b32_e32 v128, 0x4040404, v128
	v_sub_u16_e32 v129, v127, v128
	v_sub_u16_sdwa v133, v127, v128 dst_sel:BYTE_1 dst_unused:UNUSED_PAD src0_sel:BYTE_1 src1_sel:BYTE_1
	v_sub_u16_sdwa v126, v126, v128 dst_sel:BYTE_1 dst_unused:UNUSED_PAD src0_sel:DWORD src1_sel:BYTE_3
	v_sub_u16_sdwa v127, v127, v128 dst_sel:DWORD dst_unused:UNUSED_PAD src0_sel:WORD_1 src1_sel:WORD_1
	v_or_b32_sdwa v129, v129, v133 dst_sel:DWORD dst_unused:UNUSED_PAD src0_sel:BYTE_0 src1_sel:DWORD
	v_or_b32_sdwa v126, v127, v126 dst_sel:WORD_1 dst_unused:UNUSED_PAD src0_sel:BYTE_0 src1_sel:DWORD
	v_add_u32_e32 v128, 0x4208, v132
	v_or_b32_sdwa v133, v129, v126 dst_sel:DWORD dst_unused:UNUSED_PAD src0_sel:WORD_0 src1_sel:DWORD
	ds_read2_b32 v[126:127], v130 offset0:2 offset1:3
	ds_read2_b32 v[128:129], v128 offset1:1
	s_waitcnt lgkmcnt(1)
	v_ashrrev_i32_e32 v126, s23, v126
	s_waitcnt lgkmcnt(0)
	v_ashrrev_i32_e32 v128, s3, v128
	v_lshlrev_b32_e32 v128, 2, v128
	v_and_b32_e32 v134, 0x3030303, v126
	v_bfe_u32 v126, v126, 24, 2
	v_and_b32_e32 v128, 0x4040404, v128
	v_sub_u16_e32 v135, v134, v128
	v_sub_u16_sdwa v136, v134, v128 dst_sel:BYTE_1 dst_unused:UNUSED_PAD src0_sel:BYTE_1 src1_sel:BYTE_1
	v_sub_u16_sdwa v126, v126, v128 dst_sel:BYTE_1 dst_unused:UNUSED_PAD src0_sel:DWORD src1_sel:BYTE_3
	v_sub_u16_sdwa v128, v134, v128 dst_sel:DWORD dst_unused:UNUSED_PAD src0_sel:WORD_1 src1_sel:WORD_1
	v_or_b32_sdwa v135, v135, v136 dst_sel:DWORD dst_unused:UNUSED_PAD src0_sel:BYTE_0 src1_sel:DWORD
	v_or_b32_sdwa v126, v128, v126 dst_sel:WORD_1 dst_unused:UNUSED_PAD src0_sel:BYTE_0 src1_sel:DWORD
	v_ashrrev_i32_e32 v128, s3, v129
	v_or_b32_sdwa v134, v135, v126 dst_sel:DWORD dst_unused:UNUSED_PAD src0_sel:WORD_0 src1_sel:DWORD
	v_ashrrev_i32_e32 v126, s23, v127
	v_lshlrev_b32_e32 v128, 2, v128
	v_and_b32_e32 v127, 0x3030303, v126
	v_bfe_u32 v126, v126, 24, 2
	v_and_b32_e32 v128, 0x4040404, v128
	v_sub_u16_e32 v129, v127, v128
	v_sub_u16_sdwa v135, v127, v128 dst_sel:BYTE_1 dst_unused:UNUSED_PAD src0_sel:BYTE_1 src1_sel:BYTE_1
	v_sub_u16_sdwa v126, v126, v128 dst_sel:BYTE_1 dst_unused:UNUSED_PAD src0_sel:DWORD src1_sel:BYTE_3
	v_sub_u16_sdwa v127, v127, v128 dst_sel:DWORD dst_unused:UNUSED_PAD src0_sel:WORD_1 src1_sel:WORD_1
	v_or_b32_sdwa v129, v129, v135 dst_sel:DWORD dst_unused:UNUSED_PAD src0_sel:BYTE_0 src1_sel:DWORD
	v_or_b32_sdwa v126, v127, v126 dst_sel:WORD_1 dst_unused:UNUSED_PAD src0_sel:BYTE_0 src1_sel:DWORD
	v_add_u32_e32 v128, 0x4210, v132
	v_or_b32_sdwa v135, v129, v126 dst_sel:DWORD dst_unused:UNUSED_PAD src0_sel:WORD_0 src1_sel:DWORD
	ds_read2_b32 v[126:127], v130 offset0:4 offset1:5
	ds_read2_b32 v[128:129], v128 offset1:1
	s_waitcnt lgkmcnt(1)
	v_ashrrev_i32_e32 v126, s23, v126
	s_waitcnt lgkmcnt(0)
	v_ashrrev_i32_e32 v128, s3, v128
	v_lshlrev_b32_e32 v128, 2, v128
	;; [unrolled: 31-line block ×3, first 2 shown]
	v_and_b32_e32 v130, 0x3030303, v126
	v_bfe_u32 v126, v126, 24, 2
	v_and_b32_e32 v128, 0x4040404, v128
	v_sub_u16_e32 v132, v130, v128
	v_sub_u16_sdwa v138, v130, v128 dst_sel:BYTE_1 dst_unused:UNUSED_PAD src0_sel:BYTE_1 src1_sel:BYTE_1
	v_sub_u16_sdwa v126, v126, v128 dst_sel:BYTE_1 dst_unused:UNUSED_PAD src0_sel:DWORD src1_sel:BYTE_3
	v_sub_u16_sdwa v128, v130, v128 dst_sel:DWORD dst_unused:UNUSED_PAD src0_sel:WORD_1 src1_sel:WORD_1
	v_or_b32_sdwa v132, v132, v138 dst_sel:DWORD dst_unused:UNUSED_PAD src0_sel:BYTE_0 src1_sel:DWORD
	v_or_b32_sdwa v126, v128, v126 dst_sel:WORD_1 dst_unused:UNUSED_PAD src0_sel:BYTE_0 src1_sel:DWORD
	v_ashrrev_i32_e32 v129, s3, v129
	v_or_b32_sdwa v128, v132, v126 dst_sel:DWORD dst_unused:UNUSED_PAD src0_sel:WORD_0 src1_sel:DWORD
	v_ashrrev_i32_e32 v126, s23, v127
	v_lshlrev_b32_e32 v129, 2, v129
	v_and_b32_e32 v127, 0x3030303, v126
	v_bfe_u32 v126, v126, 24, 2
	v_and_b32_e32 v129, 0x4040404, v129
	v_sub_u16_e32 v130, v127, v129
	v_sub_u16_sdwa v132, v127, v129 dst_sel:BYTE_1 dst_unused:UNUSED_PAD src0_sel:BYTE_1 src1_sel:BYTE_1
	v_sub_u16_sdwa v126, v126, v129 dst_sel:BYTE_1 dst_unused:UNUSED_PAD src0_sel:DWORD src1_sel:BYTE_3
	v_sub_u16_sdwa v127, v127, v129 dst_sel:DWORD dst_unused:UNUSED_PAD src0_sel:WORD_1 src1_sel:WORD_1
	v_or_b32_sdwa v130, v130, v132 dst_sel:DWORD dst_unused:UNUSED_PAD src0_sel:BYTE_0 src1_sel:DWORD
	v_or_b32_sdwa v126, v127, v126 dst_sel:WORD_1 dst_unused:UNUSED_PAD src0_sel:BYTE_0 src1_sel:DWORD
	v_add_u32_e32 v129, s38, v77
	v_or_b32_sdwa v127, v130, v126 dst_sel:DWORD dst_unused:UNUSED_PAD src0_sel:WORD_0 src1_sel:DWORD
	v_add_u32_e32 v126, s36, v108
	ds_read_b32 v129, v129
	ds_read_u16 v126, v126 offset:26354
	v_mov_b32_e32 v130, 0
	v_dot4c_i32_i8_e32 v130, v131, v6
	v_dot4c_i32_i8_e32 v130, v133, v7
	;; [unrolled: 1-line block ×4, first 2 shown]
	s_waitcnt lgkmcnt(0)
	v_lshrrev_b16_e32 v131, 8, v126
	v_bfe_i32 v126, v126, 0, 8
	v_add_lshl_u32 v132, v79, s35, 2
	v_mul_lo_u32 v126, v130, v126
	v_mov_b32_e32 v130, 0
	v_dot4c_i32_i8_e32 v130, v136, v2
	v_dot4c_i32_i8_e32 v130, v137, v3
	;; [unrolled: 1-line block ×4, first 2 shown]
	v_bfe_i32 v127, v131, 0, 8
	v_add_u32_e32 v128, 0x4200, v132
	s_nop 0
	v_mad_u64_u32 v[126:127], s[40:41], v130, v127, v[126:127]
	v_cvt_f32_i32_e32 v126, v126
	v_mul_f32_e32 v127, v125, v129
	v_add_u32_e32 v130, s37, v81
	ds_read2_b32 v[128:129], v128 offset1:1
	v_fmac_f32_e32 v94, v127, v126
	ds_read2_b32 v[126:127], v130 offset1:1
	s_waitcnt lgkmcnt(1)
	v_ashrrev_i32_e32 v128, s3, v128
	v_lshlrev_b32_e32 v128, 2, v128
	s_waitcnt lgkmcnt(0)
	v_ashrrev_i32_e32 v126, s23, v126
	v_and_b32_e32 v131, 0x3030303, v126
	v_bfe_u32 v126, v126, 24, 2
	v_and_b32_e32 v128, 0x4040404, v128
	v_sub_u16_e32 v133, v131, v128
	v_sub_u16_sdwa v134, v131, v128 dst_sel:BYTE_1 dst_unused:UNUSED_PAD src0_sel:BYTE_1 src1_sel:BYTE_1
	v_sub_u16_sdwa v126, v126, v128 dst_sel:BYTE_1 dst_unused:UNUSED_PAD src0_sel:DWORD src1_sel:BYTE_3
	v_sub_u16_sdwa v128, v131, v128 dst_sel:DWORD dst_unused:UNUSED_PAD src0_sel:WORD_1 src1_sel:WORD_1
	v_or_b32_sdwa v133, v133, v134 dst_sel:DWORD dst_unused:UNUSED_PAD src0_sel:BYTE_0 src1_sel:DWORD
	v_or_b32_sdwa v126, v128, v126 dst_sel:WORD_1 dst_unused:UNUSED_PAD src0_sel:BYTE_0 src1_sel:DWORD
	v_ashrrev_i32_e32 v128, s3, v129
	v_or_b32_sdwa v131, v133, v126 dst_sel:DWORD dst_unused:UNUSED_PAD src0_sel:WORD_0 src1_sel:DWORD
	v_ashrrev_i32_e32 v126, s23, v127
	v_lshlrev_b32_e32 v128, 2, v128
	v_and_b32_e32 v127, 0x3030303, v126
	v_bfe_u32 v126, v126, 24, 2
	v_and_b32_e32 v128, 0x4040404, v128
	v_sub_u16_e32 v129, v127, v128
	v_sub_u16_sdwa v133, v127, v128 dst_sel:BYTE_1 dst_unused:UNUSED_PAD src0_sel:BYTE_1 src1_sel:BYTE_1
	v_sub_u16_sdwa v126, v126, v128 dst_sel:BYTE_1 dst_unused:UNUSED_PAD src0_sel:DWORD src1_sel:BYTE_3
	v_sub_u16_sdwa v127, v127, v128 dst_sel:DWORD dst_unused:UNUSED_PAD src0_sel:WORD_1 src1_sel:WORD_1
	v_or_b32_sdwa v129, v129, v133 dst_sel:DWORD dst_unused:UNUSED_PAD src0_sel:BYTE_0 src1_sel:DWORD
	v_or_b32_sdwa v126, v127, v126 dst_sel:WORD_1 dst_unused:UNUSED_PAD src0_sel:BYTE_0 src1_sel:DWORD
	v_add_u32_e32 v128, 0x4208, v132
	v_or_b32_sdwa v133, v129, v126 dst_sel:DWORD dst_unused:UNUSED_PAD src0_sel:WORD_0 src1_sel:DWORD
	ds_read2_b32 v[126:127], v130 offset0:2 offset1:3
	ds_read2_b32 v[128:129], v128 offset1:1
	s_waitcnt lgkmcnt(1)
	v_ashrrev_i32_e32 v126, s23, v126
	s_waitcnt lgkmcnt(0)
	v_ashrrev_i32_e32 v128, s3, v128
	v_lshlrev_b32_e32 v128, 2, v128
	v_and_b32_e32 v134, 0x3030303, v126
	v_bfe_u32 v126, v126, 24, 2
	v_and_b32_e32 v128, 0x4040404, v128
	v_sub_u16_e32 v135, v134, v128
	v_sub_u16_sdwa v136, v134, v128 dst_sel:BYTE_1 dst_unused:UNUSED_PAD src0_sel:BYTE_1 src1_sel:BYTE_1
	v_sub_u16_sdwa v126, v126, v128 dst_sel:BYTE_1 dst_unused:UNUSED_PAD src0_sel:DWORD src1_sel:BYTE_3
	v_sub_u16_sdwa v128, v134, v128 dst_sel:DWORD dst_unused:UNUSED_PAD src0_sel:WORD_1 src1_sel:WORD_1
	v_or_b32_sdwa v135, v135, v136 dst_sel:DWORD dst_unused:UNUSED_PAD src0_sel:BYTE_0 src1_sel:DWORD
	v_or_b32_sdwa v126, v128, v126 dst_sel:WORD_1 dst_unused:UNUSED_PAD src0_sel:BYTE_0 src1_sel:DWORD
	v_ashrrev_i32_e32 v128, s3, v129
	v_or_b32_sdwa v134, v135, v126 dst_sel:DWORD dst_unused:UNUSED_PAD src0_sel:WORD_0 src1_sel:DWORD
	v_ashrrev_i32_e32 v126, s23, v127
	v_lshlrev_b32_e32 v128, 2, v128
	v_and_b32_e32 v127, 0x3030303, v126
	v_bfe_u32 v126, v126, 24, 2
	v_and_b32_e32 v128, 0x4040404, v128
	v_sub_u16_e32 v129, v127, v128
	v_sub_u16_sdwa v135, v127, v128 dst_sel:BYTE_1 dst_unused:UNUSED_PAD src0_sel:BYTE_1 src1_sel:BYTE_1
	v_sub_u16_sdwa v126, v126, v128 dst_sel:BYTE_1 dst_unused:UNUSED_PAD src0_sel:DWORD src1_sel:BYTE_3
	v_sub_u16_sdwa v127, v127, v128 dst_sel:DWORD dst_unused:UNUSED_PAD src0_sel:WORD_1 src1_sel:WORD_1
	v_or_b32_sdwa v129, v129, v135 dst_sel:DWORD dst_unused:UNUSED_PAD src0_sel:BYTE_0 src1_sel:DWORD
	v_or_b32_sdwa v126, v127, v126 dst_sel:WORD_1 dst_unused:UNUSED_PAD src0_sel:BYTE_0 src1_sel:DWORD
	v_add_u32_e32 v128, 0x4210, v132
	v_or_b32_sdwa v135, v129, v126 dst_sel:DWORD dst_unused:UNUSED_PAD src0_sel:WORD_0 src1_sel:DWORD
	ds_read2_b32 v[126:127], v130 offset0:4 offset1:5
	ds_read2_b32 v[128:129], v128 offset1:1
	s_waitcnt lgkmcnt(1)
	v_ashrrev_i32_e32 v126, s23, v126
	s_waitcnt lgkmcnt(0)
	v_ashrrev_i32_e32 v128, s3, v128
	v_lshlrev_b32_e32 v128, 2, v128
	;; [unrolled: 31-line block ×3, first 2 shown]
	v_and_b32_e32 v130, 0x3030303, v126
	v_bfe_u32 v126, v126, 24, 2
	v_and_b32_e32 v128, 0x4040404, v128
	v_sub_u16_e32 v132, v130, v128
	v_sub_u16_sdwa v138, v130, v128 dst_sel:BYTE_1 dst_unused:UNUSED_PAD src0_sel:BYTE_1 src1_sel:BYTE_1
	v_sub_u16_sdwa v126, v126, v128 dst_sel:BYTE_1 dst_unused:UNUSED_PAD src0_sel:DWORD src1_sel:BYTE_3
	v_sub_u16_sdwa v128, v130, v128 dst_sel:DWORD dst_unused:UNUSED_PAD src0_sel:WORD_1 src1_sel:WORD_1
	v_or_b32_sdwa v132, v132, v138 dst_sel:DWORD dst_unused:UNUSED_PAD src0_sel:BYTE_0 src1_sel:DWORD
	v_or_b32_sdwa v126, v128, v126 dst_sel:WORD_1 dst_unused:UNUSED_PAD src0_sel:BYTE_0 src1_sel:DWORD
	v_ashrrev_i32_e32 v129, s3, v129
	v_or_b32_sdwa v128, v132, v126 dst_sel:DWORD dst_unused:UNUSED_PAD src0_sel:WORD_0 src1_sel:DWORD
	v_ashrrev_i32_e32 v126, s23, v127
	v_lshlrev_b32_e32 v129, 2, v129
	v_and_b32_e32 v127, 0x3030303, v126
	v_bfe_u32 v126, v126, 24, 2
	v_and_b32_e32 v129, 0x4040404, v129
	v_sub_u16_e32 v130, v127, v129
	v_sub_u16_sdwa v132, v127, v129 dst_sel:BYTE_1 dst_unused:UNUSED_PAD src0_sel:BYTE_1 src1_sel:BYTE_1
	v_sub_u16_sdwa v126, v126, v129 dst_sel:BYTE_1 dst_unused:UNUSED_PAD src0_sel:DWORD src1_sel:BYTE_3
	v_sub_u16_sdwa v127, v127, v129 dst_sel:DWORD dst_unused:UNUSED_PAD src0_sel:WORD_1 src1_sel:WORD_1
	v_or_b32_sdwa v130, v130, v132 dst_sel:DWORD dst_unused:UNUSED_PAD src0_sel:BYTE_0 src1_sel:DWORD
	v_or_b32_sdwa v126, v127, v126 dst_sel:WORD_1 dst_unused:UNUSED_PAD src0_sel:BYTE_0 src1_sel:DWORD
	v_add_u32_e32 v129, s38, v86
	v_or_b32_sdwa v127, v130, v126 dst_sel:DWORD dst_unused:UNUSED_PAD src0_sel:WORD_0 src1_sel:DWORD
	v_add_u32_e32 v126, s36, v107
	ds_read_b32 v129, v129
	ds_read_u16 v126, v126 offset:27378
	v_mov_b32_e32 v130, 0
	v_dot4c_i32_i8_e32 v130, v131, v6
	v_dot4c_i32_i8_e32 v130, v133, v7
	;; [unrolled: 1-line block ×4, first 2 shown]
	s_waitcnt lgkmcnt(0)
	v_lshrrev_b16_e32 v131, 8, v126
	v_bfe_i32 v126, v126, 0, 8
	v_add_lshl_u32 v132, v87, s35, 2
	v_mul_lo_u32 v126, v130, v126
	v_mov_b32_e32 v130, 0
	v_dot4c_i32_i8_e32 v130, v136, v2
	v_dot4c_i32_i8_e32 v130, v137, v3
	;; [unrolled: 1-line block ×4, first 2 shown]
	v_bfe_i32 v127, v131, 0, 8
	v_add_u32_e32 v128, 0x4200, v132
	s_nop 0
	v_mad_u64_u32 v[126:127], s[40:41], v130, v127, v[126:127]
	v_cvt_f32_i32_e32 v126, v126
	v_mul_f32_e32 v127, v125, v129
	v_add_u32_e32 v130, s37, v88
	ds_read2_b32 v[128:129], v128 offset1:1
	v_fmac_f32_e32 v93, v127, v126
	ds_read2_b32 v[126:127], v130 offset1:1
	s_waitcnt lgkmcnt(1)
	v_ashrrev_i32_e32 v128, s3, v128
	v_lshlrev_b32_e32 v128, 2, v128
	s_waitcnt lgkmcnt(0)
	v_ashrrev_i32_e32 v126, s23, v126
	v_and_b32_e32 v131, 0x3030303, v126
	v_bfe_u32 v126, v126, 24, 2
	v_and_b32_e32 v128, 0x4040404, v128
	v_sub_u16_e32 v133, v131, v128
	v_sub_u16_sdwa v134, v131, v128 dst_sel:BYTE_1 dst_unused:UNUSED_PAD src0_sel:BYTE_1 src1_sel:BYTE_1
	v_sub_u16_sdwa v126, v126, v128 dst_sel:BYTE_1 dst_unused:UNUSED_PAD src0_sel:DWORD src1_sel:BYTE_3
	v_sub_u16_sdwa v128, v131, v128 dst_sel:DWORD dst_unused:UNUSED_PAD src0_sel:WORD_1 src1_sel:WORD_1
	v_or_b32_sdwa v133, v133, v134 dst_sel:DWORD dst_unused:UNUSED_PAD src0_sel:BYTE_0 src1_sel:DWORD
	v_or_b32_sdwa v126, v128, v126 dst_sel:WORD_1 dst_unused:UNUSED_PAD src0_sel:BYTE_0 src1_sel:DWORD
	v_ashrrev_i32_e32 v128, s3, v129
	v_or_b32_sdwa v131, v133, v126 dst_sel:DWORD dst_unused:UNUSED_PAD src0_sel:WORD_0 src1_sel:DWORD
	v_ashrrev_i32_e32 v126, s23, v127
	v_lshlrev_b32_e32 v128, 2, v128
	v_and_b32_e32 v127, 0x3030303, v126
	v_bfe_u32 v126, v126, 24, 2
	v_and_b32_e32 v128, 0x4040404, v128
	v_sub_u16_e32 v129, v127, v128
	v_sub_u16_sdwa v133, v127, v128 dst_sel:BYTE_1 dst_unused:UNUSED_PAD src0_sel:BYTE_1 src1_sel:BYTE_1
	v_sub_u16_sdwa v126, v126, v128 dst_sel:BYTE_1 dst_unused:UNUSED_PAD src0_sel:DWORD src1_sel:BYTE_3
	v_sub_u16_sdwa v127, v127, v128 dst_sel:DWORD dst_unused:UNUSED_PAD src0_sel:WORD_1 src1_sel:WORD_1
	v_or_b32_sdwa v129, v129, v133 dst_sel:DWORD dst_unused:UNUSED_PAD src0_sel:BYTE_0 src1_sel:DWORD
	v_or_b32_sdwa v126, v127, v126 dst_sel:WORD_1 dst_unused:UNUSED_PAD src0_sel:BYTE_0 src1_sel:DWORD
	v_add_u32_e32 v128, 0x4208, v132
	v_or_b32_sdwa v133, v129, v126 dst_sel:DWORD dst_unused:UNUSED_PAD src0_sel:WORD_0 src1_sel:DWORD
	ds_read2_b32 v[126:127], v130 offset0:2 offset1:3
	ds_read2_b32 v[128:129], v128 offset1:1
	s_waitcnt lgkmcnt(1)
	v_ashrrev_i32_e32 v126, s23, v126
	s_waitcnt lgkmcnt(0)
	v_ashrrev_i32_e32 v128, s3, v128
	v_lshlrev_b32_e32 v128, 2, v128
	v_and_b32_e32 v134, 0x3030303, v126
	v_bfe_u32 v126, v126, 24, 2
	v_and_b32_e32 v128, 0x4040404, v128
	v_sub_u16_e32 v135, v134, v128
	v_sub_u16_sdwa v136, v134, v128 dst_sel:BYTE_1 dst_unused:UNUSED_PAD src0_sel:BYTE_1 src1_sel:BYTE_1
	v_sub_u16_sdwa v126, v126, v128 dst_sel:BYTE_1 dst_unused:UNUSED_PAD src0_sel:DWORD src1_sel:BYTE_3
	v_sub_u16_sdwa v128, v134, v128 dst_sel:DWORD dst_unused:UNUSED_PAD src0_sel:WORD_1 src1_sel:WORD_1
	v_or_b32_sdwa v135, v135, v136 dst_sel:DWORD dst_unused:UNUSED_PAD src0_sel:BYTE_0 src1_sel:DWORD
	v_or_b32_sdwa v126, v128, v126 dst_sel:WORD_1 dst_unused:UNUSED_PAD src0_sel:BYTE_0 src1_sel:DWORD
	v_ashrrev_i32_e32 v128, s3, v129
	v_or_b32_sdwa v134, v135, v126 dst_sel:DWORD dst_unused:UNUSED_PAD src0_sel:WORD_0 src1_sel:DWORD
	v_ashrrev_i32_e32 v126, s23, v127
	v_lshlrev_b32_e32 v128, 2, v128
	v_and_b32_e32 v127, 0x3030303, v126
	v_bfe_u32 v126, v126, 24, 2
	v_and_b32_e32 v128, 0x4040404, v128
	v_sub_u16_e32 v129, v127, v128
	v_sub_u16_sdwa v135, v127, v128 dst_sel:BYTE_1 dst_unused:UNUSED_PAD src0_sel:BYTE_1 src1_sel:BYTE_1
	v_sub_u16_sdwa v126, v126, v128 dst_sel:BYTE_1 dst_unused:UNUSED_PAD src0_sel:DWORD src1_sel:BYTE_3
	v_sub_u16_sdwa v127, v127, v128 dst_sel:DWORD dst_unused:UNUSED_PAD src0_sel:WORD_1 src1_sel:WORD_1
	v_or_b32_sdwa v129, v129, v135 dst_sel:DWORD dst_unused:UNUSED_PAD src0_sel:BYTE_0 src1_sel:DWORD
	v_or_b32_sdwa v126, v127, v126 dst_sel:WORD_1 dst_unused:UNUSED_PAD src0_sel:BYTE_0 src1_sel:DWORD
	v_add_u32_e32 v128, 0x4210, v132
	v_or_b32_sdwa v135, v129, v126 dst_sel:DWORD dst_unused:UNUSED_PAD src0_sel:WORD_0 src1_sel:DWORD
	ds_read2_b32 v[126:127], v130 offset0:4 offset1:5
	ds_read2_b32 v[128:129], v128 offset1:1
	s_waitcnt lgkmcnt(1)
	v_ashrrev_i32_e32 v126, s23, v126
	s_waitcnt lgkmcnt(0)
	v_ashrrev_i32_e32 v128, s3, v128
	v_lshlrev_b32_e32 v128, 2, v128
	v_and_b32_e32 v136, 0x3030303, v126
	v_bfe_u32 v126, v126, 24, 2
	v_and_b32_e32 v128, 0x4040404, v128
	v_sub_u16_e32 v137, v136, v128
	v_sub_u16_sdwa v138, v136, v128 dst_sel:BYTE_1 dst_unused:UNUSED_PAD src0_sel:BYTE_1 src1_sel:BYTE_1
	v_sub_u16_sdwa v126, v126, v128 dst_sel:BYTE_1 dst_unused:UNUSED_PAD src0_sel:DWORD src1_sel:BYTE_3
	v_sub_u16_sdwa v128, v136, v128 dst_sel:DWORD dst_unused:UNUSED_PAD src0_sel:WORD_1 src1_sel:WORD_1
	v_or_b32_sdwa v137, v137, v138 dst_sel:DWORD dst_unused:UNUSED_PAD src0_sel:BYTE_0 src1_sel:DWORD
	v_or_b32_sdwa v126, v128, v126 dst_sel:WORD_1 dst_unused:UNUSED_PAD src0_sel:BYTE_0 src1_sel:DWORD
	v_ashrrev_i32_e32 v128, s3, v129
	v_or_b32_sdwa v136, v137, v126 dst_sel:DWORD dst_unused:UNUSED_PAD src0_sel:WORD_0 src1_sel:DWORD
	v_ashrrev_i32_e32 v126, s23, v127
	v_lshlrev_b32_e32 v128, 2, v128
	v_and_b32_e32 v127, 0x3030303, v126
	v_bfe_u32 v126, v126, 24, 2
	v_and_b32_e32 v128, 0x4040404, v128
	v_sub_u16_e32 v129, v127, v128
	v_sub_u16_sdwa v137, v127, v128 dst_sel:BYTE_1 dst_unused:UNUSED_PAD src0_sel:BYTE_1 src1_sel:BYTE_1
	v_sub_u16_sdwa v126, v126, v128 dst_sel:BYTE_1 dst_unused:UNUSED_PAD src0_sel:DWORD src1_sel:BYTE_3
	v_sub_u16_sdwa v127, v127, v128 dst_sel:DWORD dst_unused:UNUSED_PAD src0_sel:WORD_1 src1_sel:WORD_1
	v_or_b32_sdwa v129, v129, v137 dst_sel:DWORD dst_unused:UNUSED_PAD src0_sel:BYTE_0 src1_sel:DWORD
	v_or_b32_sdwa v126, v127, v126 dst_sel:WORD_1 dst_unused:UNUSED_PAD src0_sel:BYTE_0 src1_sel:DWORD
	v_add_u32_e32 v128, 0x4218, v132
	v_or_b32_sdwa v137, v129, v126 dst_sel:DWORD dst_unused:UNUSED_PAD src0_sel:WORD_0 src1_sel:DWORD
	ds_read2_b32 v[126:127], v130 offset0:6 offset1:7
	ds_read2_b32 v[128:129], v128 offset1:1
	s_waitcnt lgkmcnt(1)
	v_ashrrev_i32_e32 v126, s23, v126
	s_waitcnt lgkmcnt(0)
	v_ashrrev_i32_e32 v128, s3, v128
	v_lshlrev_b32_e32 v128, 2, v128
	v_and_b32_e32 v130, 0x3030303, v126
	v_bfe_u32 v126, v126, 24, 2
	v_and_b32_e32 v128, 0x4040404, v128
	v_ashrrev_i32_e32 v129, s3, v129
	v_sub_u16_e32 v132, v130, v128
	v_sub_u16_sdwa v138, v130, v128 dst_sel:BYTE_1 dst_unused:UNUSED_PAD src0_sel:BYTE_1 src1_sel:BYTE_1
	v_sub_u16_sdwa v126, v126, v128 dst_sel:BYTE_1 dst_unused:UNUSED_PAD src0_sel:DWORD src1_sel:BYTE_3
	v_sub_u16_sdwa v128, v130, v128 dst_sel:DWORD dst_unused:UNUSED_PAD src0_sel:WORD_1 src1_sel:WORD_1
	v_ashrrev_i32_e32 v127, s23, v127
	v_lshlrev_b32_e32 v129, 2, v129
	v_or_b32_sdwa v132, v132, v138 dst_sel:DWORD dst_unused:UNUSED_PAD src0_sel:BYTE_0 src1_sel:DWORD
	v_or_b32_sdwa v126, v128, v126 dst_sel:WORD_1 dst_unused:UNUSED_PAD src0_sel:BYTE_0 src1_sel:DWORD
	v_and_b32_e32 v128, 0x3030303, v127
	v_bfe_u32 v127, v127, 24, 2
	v_and_b32_e32 v129, 0x4040404, v129
	v_or_b32_sdwa v126, v132, v126 dst_sel:DWORD dst_unused:UNUSED_PAD src0_sel:WORD_0 src1_sel:DWORD
	v_sub_u16_e32 v130, v128, v129
	v_sub_u16_sdwa v132, v128, v129 dst_sel:BYTE_1 dst_unused:UNUSED_PAD src0_sel:BYTE_1 src1_sel:BYTE_1
	v_sub_u16_sdwa v127, v127, v129 dst_sel:BYTE_1 dst_unused:UNUSED_PAD src0_sel:DWORD src1_sel:BYTE_3
	v_sub_u16_sdwa v128, v128, v129 dst_sel:DWORD dst_unused:UNUSED_PAD src0_sel:WORD_1 src1_sel:WORD_1
	v_or_b32_sdwa v130, v130, v132 dst_sel:DWORD dst_unused:UNUSED_PAD src0_sel:BYTE_0 src1_sel:DWORD
	v_or_b32_sdwa v127, v128, v127 dst_sel:WORD_1 dst_unused:UNUSED_PAD src0_sel:BYTE_0 src1_sel:DWORD
	v_add_u32_e32 v128, s36, v106
	v_or_b32_sdwa v127, v130, v127 dst_sel:DWORD dst_unused:UNUSED_PAD src0_sel:WORD_0 src1_sel:DWORD
	v_add_u32_e32 v129, s38, v89
	v_mov_b32_e32 v130, 0
	ds_read_b32 v129, v129
	v_dot4c_i32_i8_e32 v130, v131, v6
	ds_read_u16 v6, v128 offset:28402
	v_dot4c_i32_i8_e32 v130, v133, v7
	v_dot4c_i32_i8_e32 v130, v134, v8
	v_mov_b32_e32 v8, 0
	v_dot4c_i32_i8_e32 v8, v136, v2
	v_dot4c_i32_i8_e32 v8, v137, v3
	;; [unrolled: 1-line block ×3, first 2 shown]
	s_waitcnt lgkmcnt(0)
	v_lshrrev_b16_e32 v7, 8, v6
	v_bfe_i32 v6, v6, 0, 8
	v_dot4c_i32_i8_e32 v8, v126, v4
	v_mul_lo_u32 v6, v130, v6
	v_dot4c_i32_i8_e32 v8, v127, v5
	v_bfe_i32 v2, v7, 0, 8
	s_add_i32 s3, s3, 1
	s_cmp_lt_u32 s22, 22
	v_mad_u64_u32 v[2:3], s[36:37], v8, v2, v[6:7]
	v_cvt_f32_i32_e32 v2, v2
	v_mul_f32_e32 v3, v125, v129
	s_mov_b32 s36, s22
	v_fmac_f32_e32 v11, v3, v2
	s_cbranch_scc1 .LBB189_28
; %bb.29:                               ;   in Loop: Header=BB189_5 Depth=1
	s_or_b32 s2, s34, 0x180
	s_cmp_ge_i32 s2, s15
	s_barrier
	s_cbranch_scc1 .LBB189_4
; %bb.30:                               ;   in Loop: Header=BB189_5 Depth=1
	v_add_u32_e32 v2, s33, v92
	v_cmp_gt_i32_e64 s[2:3], s5, v2
	s_and_b64 s[22:23], s[0:1], s[2:3]
	s_and_saveexec_b64 s[2:3], s[22:23]
	s_cbranch_execz .LBB189_32
; %bb.31:                               ;   in Loop: Header=BB189_5 Depth=1
	v_add_u32_e32 v2, v84, v2
	v_mad_i64_i32 v[2:3], s[22:23], v2, 36, v[82:83]
	global_load_dword v2, v[2:3], off offset:4
	s_waitcnt vmcnt(0)
	ds_write_b32 v59, v2
.LBB189_32:                             ;   in Loop: Header=BB189_5 Depth=1
	s_or_b64 exec, exec, s[2:3]
	s_and_saveexec_b64 s[22:23], vcc
	s_cbranch_execz .LBB189_35
; %bb.33:                               ;   in Loop: Header=BB189_5 Depth=1
	v_or_b32_e32 v2, s33, v15
	v_or_b32_e32 v3, 12, v2
	v_cmp_gt_i32_e64 s[2:3], s5, v3
	s_and_b64 s[2:3], s[0:1], s[2:3]
	s_and_b64 exec, exec, s[2:3]
	s_cbranch_execz .LBB189_35
; %bb.34:                               ;   in Loop: Header=BB189_5 Depth=1
	v_ashrrev_i32_e32 v3, 31, v2
	v_lshl_add_u64 v[2:3], v[84:85], 0, v[2:3]
	v_mad_u64_u32 v[4:5], s[2:3], v2, 36, s[18:19]
	v_mad_i32_i24 v5, v3, 36, v5
	global_load_dword v2, v[4:5], off
	s_waitcnt vmcnt(0)
	v_cvt_f32_f16_e32 v2, v2
	ds_write_b32 v61, v2
.LBB189_35:                             ;   in Loop: Header=BB189_5 Depth=1
	s_or_b64 exec, exec, s[22:23]
	s_mov_b32 s2, 24
	s_mov_b32 s34, 22
	s_mov_b32 s3, 4
	v_mov_b32_e32 v123, v100
	v_mov_b32_e32 v124, v101
	s_waitcnt lgkmcnt(0)
	s_barrier
.LBB189_36:                             ;   Parent Loop BB189_5 Depth=1
                                        ; =>  This Inner Loop Header: Depth=2
	s_add_i32 s22, s34, 2
	s_lshr_b32 s37, s22, 4
	s_and_b32 s35, s22, 0x3ffffff8
	s_lshl_b32 s33, s37, 3
	s_lshl_b32 s35, s35, 2
	v_add_lshl_u32 v132, v65, s33, 2
	v_add_u32_e32 v130, s35, v67
	v_add_u32_e32 v128, 0x4200, v132
	ds_read_b32 v125, v124
	ds_read_b128 v[6:9], v123
	ds_read_b128 v[2:5], v123 offset:16
	ds_read2_b32 v[126:127], v130 offset1:1
	ds_read2_b32 v[128:129], v128 offset1:1
	s_sub_i32 s23, s34, 22
	s_and_b32 s36, s2, -16
	s_add_i32 s34, s34, s36
	s_waitcnt lgkmcnt(1)
	v_ashrrev_i32_e32 v126, s23, v126
	s_waitcnt lgkmcnt(0)
	v_ashrrev_i32_e32 v128, s3, v128
	v_lshlrev_b32_e32 v128, 2, v128
	v_and_b32_e32 v131, 0x3030303, v126
	v_bfe_u32 v126, v126, 24, 2
	v_and_b32_e32 v128, 0x4040404, v128
	v_sub_u16_e32 v133, v131, v128
	v_sub_u16_sdwa v134, v131, v128 dst_sel:BYTE_1 dst_unused:UNUSED_PAD src0_sel:BYTE_1 src1_sel:BYTE_1
	v_sub_u16_sdwa v126, v126, v128 dst_sel:BYTE_1 dst_unused:UNUSED_PAD src0_sel:DWORD src1_sel:BYTE_3
	v_sub_u16_sdwa v128, v131, v128 dst_sel:DWORD dst_unused:UNUSED_PAD src0_sel:WORD_1 src1_sel:WORD_1
	v_or_b32_sdwa v133, v133, v134 dst_sel:DWORD dst_unused:UNUSED_PAD src0_sel:BYTE_0 src1_sel:DWORD
	v_or_b32_sdwa v126, v128, v126 dst_sel:WORD_1 dst_unused:UNUSED_PAD src0_sel:BYTE_0 src1_sel:DWORD
	v_ashrrev_i32_e32 v128, s3, v129
	v_or_b32_sdwa v131, v133, v126 dst_sel:DWORD dst_unused:UNUSED_PAD src0_sel:WORD_0 src1_sel:DWORD
	v_ashrrev_i32_e32 v126, s23, v127
	v_lshlrev_b32_e32 v128, 2, v128
	v_and_b32_e32 v127, 0x3030303, v126
	v_bfe_u32 v126, v126, 24, 2
	v_and_b32_e32 v128, 0x4040404, v128
	v_sub_u16_e32 v129, v127, v128
	v_sub_u16_sdwa v133, v127, v128 dst_sel:BYTE_1 dst_unused:UNUSED_PAD src0_sel:BYTE_1 src1_sel:BYTE_1
	v_sub_u16_sdwa v126, v126, v128 dst_sel:BYTE_1 dst_unused:UNUSED_PAD src0_sel:DWORD src1_sel:BYTE_3
	v_sub_u16_sdwa v127, v127, v128 dst_sel:DWORD dst_unused:UNUSED_PAD src0_sel:WORD_1 src1_sel:WORD_1
	v_or_b32_sdwa v129, v129, v133 dst_sel:DWORD dst_unused:UNUSED_PAD src0_sel:BYTE_0 src1_sel:DWORD
	v_or_b32_sdwa v126, v127, v126 dst_sel:WORD_1 dst_unused:UNUSED_PAD src0_sel:BYTE_0 src1_sel:DWORD
	v_add_u32_e32 v128, 0x4208, v132
	v_or_b32_sdwa v133, v129, v126 dst_sel:DWORD dst_unused:UNUSED_PAD src0_sel:WORD_0 src1_sel:DWORD
	ds_read2_b32 v[126:127], v130 offset0:2 offset1:3
	ds_read2_b32 v[128:129], v128 offset1:1
	s_lshl_b32 s36, s37, 2
	s_add_i32 s2, s2, 2
	v_add_u32_e32 v124, 4, v124
	s_waitcnt lgkmcnt(1)
	v_ashrrev_i32_e32 v126, s23, v126
	s_waitcnt lgkmcnt(0)
	v_ashrrev_i32_e32 v128, s3, v128
	v_lshlrev_b32_e32 v128, 2, v128
	v_and_b32_e32 v134, 0x3030303, v126
	v_bfe_u32 v126, v126, 24, 2
	v_and_b32_e32 v128, 0x4040404, v128
	v_sub_u16_e32 v135, v134, v128
	v_sub_u16_sdwa v136, v134, v128 dst_sel:BYTE_1 dst_unused:UNUSED_PAD src0_sel:BYTE_1 src1_sel:BYTE_1
	v_sub_u16_sdwa v126, v126, v128 dst_sel:BYTE_1 dst_unused:UNUSED_PAD src0_sel:DWORD src1_sel:BYTE_3
	v_sub_u16_sdwa v128, v134, v128 dst_sel:DWORD dst_unused:UNUSED_PAD src0_sel:WORD_1 src1_sel:WORD_1
	v_or_b32_sdwa v135, v135, v136 dst_sel:DWORD dst_unused:UNUSED_PAD src0_sel:BYTE_0 src1_sel:DWORD
	v_or_b32_sdwa v126, v128, v126 dst_sel:WORD_1 dst_unused:UNUSED_PAD src0_sel:BYTE_0 src1_sel:DWORD
	v_ashrrev_i32_e32 v128, s3, v129
	v_or_b32_sdwa v134, v135, v126 dst_sel:DWORD dst_unused:UNUSED_PAD src0_sel:WORD_0 src1_sel:DWORD
	v_ashrrev_i32_e32 v126, s23, v127
	v_lshlrev_b32_e32 v128, 2, v128
	v_and_b32_e32 v127, 0x3030303, v126
	v_bfe_u32 v126, v126, 24, 2
	v_and_b32_e32 v128, 0x4040404, v128
	v_sub_u16_e32 v129, v127, v128
	v_sub_u16_sdwa v135, v127, v128 dst_sel:BYTE_1 dst_unused:UNUSED_PAD src0_sel:BYTE_1 src1_sel:BYTE_1
	v_sub_u16_sdwa v126, v126, v128 dst_sel:BYTE_1 dst_unused:UNUSED_PAD src0_sel:DWORD src1_sel:BYTE_3
	v_sub_u16_sdwa v127, v127, v128 dst_sel:DWORD dst_unused:UNUSED_PAD src0_sel:WORD_1 src1_sel:WORD_1
	v_or_b32_sdwa v129, v129, v135 dst_sel:DWORD dst_unused:UNUSED_PAD src0_sel:BYTE_0 src1_sel:DWORD
	v_or_b32_sdwa v126, v127, v126 dst_sel:WORD_1 dst_unused:UNUSED_PAD src0_sel:BYTE_0 src1_sel:DWORD
	v_add_u32_e32 v128, 0x4210, v132
	v_or_b32_sdwa v135, v129, v126 dst_sel:DWORD dst_unused:UNUSED_PAD src0_sel:WORD_0 src1_sel:DWORD
	ds_read2_b32 v[126:127], v130 offset0:4 offset1:5
	ds_read2_b32 v[128:129], v128 offset1:1
	v_add_u32_e32 v123, 32, v123
	s_waitcnt lgkmcnt(1)
	v_ashrrev_i32_e32 v126, s23, v126
	s_waitcnt lgkmcnt(0)
	v_ashrrev_i32_e32 v128, s3, v128
	v_lshlrev_b32_e32 v128, 2, v128
	v_and_b32_e32 v136, 0x3030303, v126
	v_bfe_u32 v126, v126, 24, 2
	v_and_b32_e32 v128, 0x4040404, v128
	v_sub_u16_e32 v137, v136, v128
	v_sub_u16_sdwa v138, v136, v128 dst_sel:BYTE_1 dst_unused:UNUSED_PAD src0_sel:BYTE_1 src1_sel:BYTE_1
	v_sub_u16_sdwa v126, v126, v128 dst_sel:BYTE_1 dst_unused:UNUSED_PAD src0_sel:DWORD src1_sel:BYTE_3
	v_sub_u16_sdwa v128, v136, v128 dst_sel:DWORD dst_unused:UNUSED_PAD src0_sel:WORD_1 src1_sel:WORD_1
	v_or_b32_sdwa v137, v137, v138 dst_sel:DWORD dst_unused:UNUSED_PAD src0_sel:BYTE_0 src1_sel:DWORD
	v_or_b32_sdwa v126, v128, v126 dst_sel:WORD_1 dst_unused:UNUSED_PAD src0_sel:BYTE_0 src1_sel:DWORD
	v_ashrrev_i32_e32 v128, s3, v129
	v_or_b32_sdwa v136, v137, v126 dst_sel:DWORD dst_unused:UNUSED_PAD src0_sel:WORD_0 src1_sel:DWORD
	v_ashrrev_i32_e32 v126, s23, v127
	v_lshlrev_b32_e32 v128, 2, v128
	v_and_b32_e32 v127, 0x3030303, v126
	v_bfe_u32 v126, v126, 24, 2
	v_and_b32_e32 v128, 0x4040404, v128
	v_sub_u16_e32 v129, v127, v128
	v_sub_u16_sdwa v137, v127, v128 dst_sel:BYTE_1 dst_unused:UNUSED_PAD src0_sel:BYTE_1 src1_sel:BYTE_1
	v_sub_u16_sdwa v126, v126, v128 dst_sel:BYTE_1 dst_unused:UNUSED_PAD src0_sel:DWORD src1_sel:BYTE_3
	v_sub_u16_sdwa v127, v127, v128 dst_sel:DWORD dst_unused:UNUSED_PAD src0_sel:WORD_1 src1_sel:WORD_1
	v_or_b32_sdwa v129, v129, v137 dst_sel:DWORD dst_unused:UNUSED_PAD src0_sel:BYTE_0 src1_sel:DWORD
	v_or_b32_sdwa v126, v127, v126 dst_sel:WORD_1 dst_unused:UNUSED_PAD src0_sel:BYTE_0 src1_sel:DWORD
	v_add_u32_e32 v128, 0x4218, v132
	v_or_b32_sdwa v137, v129, v126 dst_sel:DWORD dst_unused:UNUSED_PAD src0_sel:WORD_0 src1_sel:DWORD
	ds_read2_b32 v[126:127], v130 offset0:6 offset1:7
	ds_read2_b32 v[128:129], v128 offset1:1
	s_waitcnt lgkmcnt(1)
	v_ashrrev_i32_e32 v126, s23, v126
	s_waitcnt lgkmcnt(0)
	v_ashrrev_i32_e32 v128, s3, v128
	v_lshlrev_b32_e32 v128, 2, v128
	v_and_b32_e32 v130, 0x3030303, v126
	v_bfe_u32 v126, v126, 24, 2
	v_and_b32_e32 v128, 0x4040404, v128
	v_sub_u16_e32 v132, v130, v128
	v_sub_u16_sdwa v138, v130, v128 dst_sel:BYTE_1 dst_unused:UNUSED_PAD src0_sel:BYTE_1 src1_sel:BYTE_1
	v_sub_u16_sdwa v126, v126, v128 dst_sel:BYTE_1 dst_unused:UNUSED_PAD src0_sel:DWORD src1_sel:BYTE_3
	v_sub_u16_sdwa v128, v130, v128 dst_sel:DWORD dst_unused:UNUSED_PAD src0_sel:WORD_1 src1_sel:WORD_1
	v_or_b32_sdwa v132, v132, v138 dst_sel:DWORD dst_unused:UNUSED_PAD src0_sel:BYTE_0 src1_sel:DWORD
	v_or_b32_sdwa v126, v128, v126 dst_sel:WORD_1 dst_unused:UNUSED_PAD src0_sel:BYTE_0 src1_sel:DWORD
	v_ashrrev_i32_e32 v129, s3, v129
	v_or_b32_sdwa v128, v132, v126 dst_sel:DWORD dst_unused:UNUSED_PAD src0_sel:WORD_0 src1_sel:DWORD
	v_ashrrev_i32_e32 v126, s23, v127
	v_lshlrev_b32_e32 v129, 2, v129
	v_and_b32_e32 v127, 0x3030303, v126
	v_bfe_u32 v126, v126, 24, 2
	v_and_b32_e32 v129, 0x4040404, v129
	v_sub_u16_e32 v130, v127, v129
	v_sub_u16_sdwa v132, v127, v129 dst_sel:BYTE_1 dst_unused:UNUSED_PAD src0_sel:BYTE_1 src1_sel:BYTE_1
	v_sub_u16_sdwa v126, v126, v129 dst_sel:BYTE_1 dst_unused:UNUSED_PAD src0_sel:DWORD src1_sel:BYTE_3
	v_sub_u16_sdwa v127, v127, v129 dst_sel:DWORD dst_unused:UNUSED_PAD src0_sel:WORD_1 src1_sel:WORD_1
	v_or_b32_sdwa v130, v130, v132 dst_sel:DWORD dst_unused:UNUSED_PAD src0_sel:BYTE_0 src1_sel:DWORD
	v_or_b32_sdwa v126, v127, v126 dst_sel:WORD_1 dst_unused:UNUSED_PAD src0_sel:BYTE_0 src1_sel:DWORD
	v_add_u32_e32 v129, s36, v69
	v_or_b32_sdwa v127, v130, v126 dst_sel:DWORD dst_unused:UNUSED_PAD src0_sel:WORD_0 src1_sel:DWORD
	v_add_u32_e32 v126, s34, v109
	ds_read_b32 v129, v129
	ds_read_u16 v126, v126 offset:25330
	v_mov_b32_e32 v130, 0
	v_dot4c_i32_i8_e32 v130, v131, v6
	v_dot4c_i32_i8_e32 v130, v133, v7
	;; [unrolled: 1-line block ×4, first 2 shown]
	s_waitcnt lgkmcnt(0)
	v_lshrrev_b16_e32 v131, 8, v126
	v_bfe_i32 v126, v126, 0, 8
	v_add_lshl_u32 v132, v71, s33, 2
	v_mul_lo_u32 v126, v130, v126
	v_mov_b32_e32 v130, 0
	v_dot4c_i32_i8_e32 v130, v136, v2
	v_dot4c_i32_i8_e32 v130, v137, v3
	v_dot4c_i32_i8_e32 v130, v128, v4
	v_dot4c_i32_i8_e32 v130, v127, v5
	v_bfe_i32 v127, v131, 0, 8
	v_add_u32_e32 v128, 0x4200, v132
	s_nop 0
	v_mad_u64_u32 v[126:127], s[38:39], v130, v127, v[126:127]
	v_cvt_f32_i32_e32 v126, v126
	v_mul_f32_e32 v127, v125, v129
	v_add_u32_e32 v130, s35, v75
	ds_read2_b32 v[128:129], v128 offset1:1
	v_fmac_f32_e32 v95, v127, v126
	ds_read2_b32 v[126:127], v130 offset1:1
	s_waitcnt lgkmcnt(1)
	v_ashrrev_i32_e32 v128, s3, v128
	v_lshlrev_b32_e32 v128, 2, v128
	s_waitcnt lgkmcnt(0)
	v_ashrrev_i32_e32 v126, s23, v126
	v_and_b32_e32 v131, 0x3030303, v126
	v_bfe_u32 v126, v126, 24, 2
	v_and_b32_e32 v128, 0x4040404, v128
	v_sub_u16_e32 v133, v131, v128
	v_sub_u16_sdwa v134, v131, v128 dst_sel:BYTE_1 dst_unused:UNUSED_PAD src0_sel:BYTE_1 src1_sel:BYTE_1
	v_sub_u16_sdwa v126, v126, v128 dst_sel:BYTE_1 dst_unused:UNUSED_PAD src0_sel:DWORD src1_sel:BYTE_3
	v_sub_u16_sdwa v128, v131, v128 dst_sel:DWORD dst_unused:UNUSED_PAD src0_sel:WORD_1 src1_sel:WORD_1
	v_or_b32_sdwa v133, v133, v134 dst_sel:DWORD dst_unused:UNUSED_PAD src0_sel:BYTE_0 src1_sel:DWORD
	v_or_b32_sdwa v126, v128, v126 dst_sel:WORD_1 dst_unused:UNUSED_PAD src0_sel:BYTE_0 src1_sel:DWORD
	v_ashrrev_i32_e32 v128, s3, v129
	v_or_b32_sdwa v131, v133, v126 dst_sel:DWORD dst_unused:UNUSED_PAD src0_sel:WORD_0 src1_sel:DWORD
	v_ashrrev_i32_e32 v126, s23, v127
	v_lshlrev_b32_e32 v128, 2, v128
	v_and_b32_e32 v127, 0x3030303, v126
	v_bfe_u32 v126, v126, 24, 2
	v_and_b32_e32 v128, 0x4040404, v128
	v_sub_u16_e32 v129, v127, v128
	v_sub_u16_sdwa v133, v127, v128 dst_sel:BYTE_1 dst_unused:UNUSED_PAD src0_sel:BYTE_1 src1_sel:BYTE_1
	v_sub_u16_sdwa v126, v126, v128 dst_sel:BYTE_1 dst_unused:UNUSED_PAD src0_sel:DWORD src1_sel:BYTE_3
	v_sub_u16_sdwa v127, v127, v128 dst_sel:DWORD dst_unused:UNUSED_PAD src0_sel:WORD_1 src1_sel:WORD_1
	v_or_b32_sdwa v129, v129, v133 dst_sel:DWORD dst_unused:UNUSED_PAD src0_sel:BYTE_0 src1_sel:DWORD
	v_or_b32_sdwa v126, v127, v126 dst_sel:WORD_1 dst_unused:UNUSED_PAD src0_sel:BYTE_0 src1_sel:DWORD
	v_add_u32_e32 v128, 0x4208, v132
	v_or_b32_sdwa v133, v129, v126 dst_sel:DWORD dst_unused:UNUSED_PAD src0_sel:WORD_0 src1_sel:DWORD
	ds_read2_b32 v[126:127], v130 offset0:2 offset1:3
	ds_read2_b32 v[128:129], v128 offset1:1
	s_waitcnt lgkmcnt(1)
	v_ashrrev_i32_e32 v126, s23, v126
	s_waitcnt lgkmcnt(0)
	v_ashrrev_i32_e32 v128, s3, v128
	v_lshlrev_b32_e32 v128, 2, v128
	v_and_b32_e32 v134, 0x3030303, v126
	v_bfe_u32 v126, v126, 24, 2
	v_and_b32_e32 v128, 0x4040404, v128
	v_sub_u16_e32 v135, v134, v128
	v_sub_u16_sdwa v136, v134, v128 dst_sel:BYTE_1 dst_unused:UNUSED_PAD src0_sel:BYTE_1 src1_sel:BYTE_1
	v_sub_u16_sdwa v126, v126, v128 dst_sel:BYTE_1 dst_unused:UNUSED_PAD src0_sel:DWORD src1_sel:BYTE_3
	v_sub_u16_sdwa v128, v134, v128 dst_sel:DWORD dst_unused:UNUSED_PAD src0_sel:WORD_1 src1_sel:WORD_1
	v_or_b32_sdwa v135, v135, v136 dst_sel:DWORD dst_unused:UNUSED_PAD src0_sel:BYTE_0 src1_sel:DWORD
	v_or_b32_sdwa v126, v128, v126 dst_sel:WORD_1 dst_unused:UNUSED_PAD src0_sel:BYTE_0 src1_sel:DWORD
	v_ashrrev_i32_e32 v128, s3, v129
	v_or_b32_sdwa v134, v135, v126 dst_sel:DWORD dst_unused:UNUSED_PAD src0_sel:WORD_0 src1_sel:DWORD
	v_ashrrev_i32_e32 v126, s23, v127
	v_lshlrev_b32_e32 v128, 2, v128
	v_and_b32_e32 v127, 0x3030303, v126
	v_bfe_u32 v126, v126, 24, 2
	v_and_b32_e32 v128, 0x4040404, v128
	v_sub_u16_e32 v129, v127, v128
	v_sub_u16_sdwa v135, v127, v128 dst_sel:BYTE_1 dst_unused:UNUSED_PAD src0_sel:BYTE_1 src1_sel:BYTE_1
	v_sub_u16_sdwa v126, v126, v128 dst_sel:BYTE_1 dst_unused:UNUSED_PAD src0_sel:DWORD src1_sel:BYTE_3
	v_sub_u16_sdwa v127, v127, v128 dst_sel:DWORD dst_unused:UNUSED_PAD src0_sel:WORD_1 src1_sel:WORD_1
	v_or_b32_sdwa v129, v129, v135 dst_sel:DWORD dst_unused:UNUSED_PAD src0_sel:BYTE_0 src1_sel:DWORD
	v_or_b32_sdwa v126, v127, v126 dst_sel:WORD_1 dst_unused:UNUSED_PAD src0_sel:BYTE_0 src1_sel:DWORD
	v_add_u32_e32 v128, 0x4210, v132
	v_or_b32_sdwa v135, v129, v126 dst_sel:DWORD dst_unused:UNUSED_PAD src0_sel:WORD_0 src1_sel:DWORD
	ds_read2_b32 v[126:127], v130 offset0:4 offset1:5
	ds_read2_b32 v[128:129], v128 offset1:1
	s_waitcnt lgkmcnt(1)
	v_ashrrev_i32_e32 v126, s23, v126
	s_waitcnt lgkmcnt(0)
	v_ashrrev_i32_e32 v128, s3, v128
	v_lshlrev_b32_e32 v128, 2, v128
	;; [unrolled: 31-line block ×3, first 2 shown]
	v_and_b32_e32 v130, 0x3030303, v126
	v_bfe_u32 v126, v126, 24, 2
	v_and_b32_e32 v128, 0x4040404, v128
	v_sub_u16_e32 v132, v130, v128
	v_sub_u16_sdwa v138, v130, v128 dst_sel:BYTE_1 dst_unused:UNUSED_PAD src0_sel:BYTE_1 src1_sel:BYTE_1
	v_sub_u16_sdwa v126, v126, v128 dst_sel:BYTE_1 dst_unused:UNUSED_PAD src0_sel:DWORD src1_sel:BYTE_3
	v_sub_u16_sdwa v128, v130, v128 dst_sel:DWORD dst_unused:UNUSED_PAD src0_sel:WORD_1 src1_sel:WORD_1
	v_or_b32_sdwa v132, v132, v138 dst_sel:DWORD dst_unused:UNUSED_PAD src0_sel:BYTE_0 src1_sel:DWORD
	v_or_b32_sdwa v126, v128, v126 dst_sel:WORD_1 dst_unused:UNUSED_PAD src0_sel:BYTE_0 src1_sel:DWORD
	v_ashrrev_i32_e32 v129, s3, v129
	v_or_b32_sdwa v128, v132, v126 dst_sel:DWORD dst_unused:UNUSED_PAD src0_sel:WORD_0 src1_sel:DWORD
	v_ashrrev_i32_e32 v126, s23, v127
	v_lshlrev_b32_e32 v129, 2, v129
	v_and_b32_e32 v127, 0x3030303, v126
	v_bfe_u32 v126, v126, 24, 2
	v_and_b32_e32 v129, 0x4040404, v129
	v_sub_u16_e32 v130, v127, v129
	v_sub_u16_sdwa v132, v127, v129 dst_sel:BYTE_1 dst_unused:UNUSED_PAD src0_sel:BYTE_1 src1_sel:BYTE_1
	v_sub_u16_sdwa v126, v126, v129 dst_sel:BYTE_1 dst_unused:UNUSED_PAD src0_sel:DWORD src1_sel:BYTE_3
	v_sub_u16_sdwa v127, v127, v129 dst_sel:DWORD dst_unused:UNUSED_PAD src0_sel:WORD_1 src1_sel:WORD_1
	v_or_b32_sdwa v130, v130, v132 dst_sel:DWORD dst_unused:UNUSED_PAD src0_sel:BYTE_0 src1_sel:DWORD
	v_or_b32_sdwa v126, v127, v126 dst_sel:WORD_1 dst_unused:UNUSED_PAD src0_sel:BYTE_0 src1_sel:DWORD
	v_add_u32_e32 v129, s36, v77
	v_or_b32_sdwa v127, v130, v126 dst_sel:DWORD dst_unused:UNUSED_PAD src0_sel:WORD_0 src1_sel:DWORD
	v_add_u32_e32 v126, s34, v108
	ds_read_b32 v129, v129
	ds_read_u16 v126, v126 offset:26354
	v_mov_b32_e32 v130, 0
	v_dot4c_i32_i8_e32 v130, v131, v6
	v_dot4c_i32_i8_e32 v130, v133, v7
	;; [unrolled: 1-line block ×4, first 2 shown]
	s_waitcnt lgkmcnt(0)
	v_lshrrev_b16_e32 v131, 8, v126
	v_bfe_i32 v126, v126, 0, 8
	v_add_lshl_u32 v132, v79, s33, 2
	v_mul_lo_u32 v126, v130, v126
	v_mov_b32_e32 v130, 0
	v_dot4c_i32_i8_e32 v130, v136, v2
	v_dot4c_i32_i8_e32 v130, v137, v3
	;; [unrolled: 1-line block ×4, first 2 shown]
	v_bfe_i32 v127, v131, 0, 8
	v_add_u32_e32 v128, 0x4200, v132
	s_nop 0
	v_mad_u64_u32 v[126:127], s[38:39], v130, v127, v[126:127]
	v_cvt_f32_i32_e32 v126, v126
	v_mul_f32_e32 v127, v125, v129
	v_add_u32_e32 v130, s35, v81
	ds_read2_b32 v[128:129], v128 offset1:1
	v_fmac_f32_e32 v94, v127, v126
	ds_read2_b32 v[126:127], v130 offset1:1
	s_waitcnt lgkmcnt(1)
	v_ashrrev_i32_e32 v128, s3, v128
	v_lshlrev_b32_e32 v128, 2, v128
	s_waitcnt lgkmcnt(0)
	v_ashrrev_i32_e32 v126, s23, v126
	v_and_b32_e32 v131, 0x3030303, v126
	v_bfe_u32 v126, v126, 24, 2
	v_and_b32_e32 v128, 0x4040404, v128
	v_sub_u16_e32 v133, v131, v128
	v_sub_u16_sdwa v134, v131, v128 dst_sel:BYTE_1 dst_unused:UNUSED_PAD src0_sel:BYTE_1 src1_sel:BYTE_1
	v_sub_u16_sdwa v126, v126, v128 dst_sel:BYTE_1 dst_unused:UNUSED_PAD src0_sel:DWORD src1_sel:BYTE_3
	v_sub_u16_sdwa v128, v131, v128 dst_sel:DWORD dst_unused:UNUSED_PAD src0_sel:WORD_1 src1_sel:WORD_1
	v_or_b32_sdwa v133, v133, v134 dst_sel:DWORD dst_unused:UNUSED_PAD src0_sel:BYTE_0 src1_sel:DWORD
	v_or_b32_sdwa v126, v128, v126 dst_sel:WORD_1 dst_unused:UNUSED_PAD src0_sel:BYTE_0 src1_sel:DWORD
	v_ashrrev_i32_e32 v128, s3, v129
	v_or_b32_sdwa v131, v133, v126 dst_sel:DWORD dst_unused:UNUSED_PAD src0_sel:WORD_0 src1_sel:DWORD
	v_ashrrev_i32_e32 v126, s23, v127
	v_lshlrev_b32_e32 v128, 2, v128
	v_and_b32_e32 v127, 0x3030303, v126
	v_bfe_u32 v126, v126, 24, 2
	v_and_b32_e32 v128, 0x4040404, v128
	v_sub_u16_e32 v129, v127, v128
	v_sub_u16_sdwa v133, v127, v128 dst_sel:BYTE_1 dst_unused:UNUSED_PAD src0_sel:BYTE_1 src1_sel:BYTE_1
	v_sub_u16_sdwa v126, v126, v128 dst_sel:BYTE_1 dst_unused:UNUSED_PAD src0_sel:DWORD src1_sel:BYTE_3
	v_sub_u16_sdwa v127, v127, v128 dst_sel:DWORD dst_unused:UNUSED_PAD src0_sel:WORD_1 src1_sel:WORD_1
	v_or_b32_sdwa v129, v129, v133 dst_sel:DWORD dst_unused:UNUSED_PAD src0_sel:BYTE_0 src1_sel:DWORD
	v_or_b32_sdwa v126, v127, v126 dst_sel:WORD_1 dst_unused:UNUSED_PAD src0_sel:BYTE_0 src1_sel:DWORD
	v_add_u32_e32 v128, 0x4208, v132
	v_or_b32_sdwa v133, v129, v126 dst_sel:DWORD dst_unused:UNUSED_PAD src0_sel:WORD_0 src1_sel:DWORD
	ds_read2_b32 v[126:127], v130 offset0:2 offset1:3
	ds_read2_b32 v[128:129], v128 offset1:1
	s_waitcnt lgkmcnt(1)
	v_ashrrev_i32_e32 v126, s23, v126
	s_waitcnt lgkmcnt(0)
	v_ashrrev_i32_e32 v128, s3, v128
	v_lshlrev_b32_e32 v128, 2, v128
	v_and_b32_e32 v134, 0x3030303, v126
	v_bfe_u32 v126, v126, 24, 2
	v_and_b32_e32 v128, 0x4040404, v128
	v_sub_u16_e32 v135, v134, v128
	v_sub_u16_sdwa v136, v134, v128 dst_sel:BYTE_1 dst_unused:UNUSED_PAD src0_sel:BYTE_1 src1_sel:BYTE_1
	v_sub_u16_sdwa v126, v126, v128 dst_sel:BYTE_1 dst_unused:UNUSED_PAD src0_sel:DWORD src1_sel:BYTE_3
	v_sub_u16_sdwa v128, v134, v128 dst_sel:DWORD dst_unused:UNUSED_PAD src0_sel:WORD_1 src1_sel:WORD_1
	v_or_b32_sdwa v135, v135, v136 dst_sel:DWORD dst_unused:UNUSED_PAD src0_sel:BYTE_0 src1_sel:DWORD
	v_or_b32_sdwa v126, v128, v126 dst_sel:WORD_1 dst_unused:UNUSED_PAD src0_sel:BYTE_0 src1_sel:DWORD
	v_ashrrev_i32_e32 v128, s3, v129
	v_or_b32_sdwa v134, v135, v126 dst_sel:DWORD dst_unused:UNUSED_PAD src0_sel:WORD_0 src1_sel:DWORD
	v_ashrrev_i32_e32 v126, s23, v127
	v_lshlrev_b32_e32 v128, 2, v128
	v_and_b32_e32 v127, 0x3030303, v126
	v_bfe_u32 v126, v126, 24, 2
	v_and_b32_e32 v128, 0x4040404, v128
	v_sub_u16_e32 v129, v127, v128
	v_sub_u16_sdwa v135, v127, v128 dst_sel:BYTE_1 dst_unused:UNUSED_PAD src0_sel:BYTE_1 src1_sel:BYTE_1
	v_sub_u16_sdwa v126, v126, v128 dst_sel:BYTE_1 dst_unused:UNUSED_PAD src0_sel:DWORD src1_sel:BYTE_3
	v_sub_u16_sdwa v127, v127, v128 dst_sel:DWORD dst_unused:UNUSED_PAD src0_sel:WORD_1 src1_sel:WORD_1
	v_or_b32_sdwa v129, v129, v135 dst_sel:DWORD dst_unused:UNUSED_PAD src0_sel:BYTE_0 src1_sel:DWORD
	v_or_b32_sdwa v126, v127, v126 dst_sel:WORD_1 dst_unused:UNUSED_PAD src0_sel:BYTE_0 src1_sel:DWORD
	v_add_u32_e32 v128, 0x4210, v132
	v_or_b32_sdwa v135, v129, v126 dst_sel:DWORD dst_unused:UNUSED_PAD src0_sel:WORD_0 src1_sel:DWORD
	ds_read2_b32 v[126:127], v130 offset0:4 offset1:5
	ds_read2_b32 v[128:129], v128 offset1:1
	s_waitcnt lgkmcnt(1)
	v_ashrrev_i32_e32 v126, s23, v126
	s_waitcnt lgkmcnt(0)
	v_ashrrev_i32_e32 v128, s3, v128
	v_lshlrev_b32_e32 v128, 2, v128
	;; [unrolled: 31-line block ×3, first 2 shown]
	v_and_b32_e32 v130, 0x3030303, v126
	v_bfe_u32 v126, v126, 24, 2
	v_and_b32_e32 v128, 0x4040404, v128
	v_sub_u16_e32 v132, v130, v128
	v_sub_u16_sdwa v138, v130, v128 dst_sel:BYTE_1 dst_unused:UNUSED_PAD src0_sel:BYTE_1 src1_sel:BYTE_1
	v_sub_u16_sdwa v126, v126, v128 dst_sel:BYTE_1 dst_unused:UNUSED_PAD src0_sel:DWORD src1_sel:BYTE_3
	v_sub_u16_sdwa v128, v130, v128 dst_sel:DWORD dst_unused:UNUSED_PAD src0_sel:WORD_1 src1_sel:WORD_1
	v_or_b32_sdwa v132, v132, v138 dst_sel:DWORD dst_unused:UNUSED_PAD src0_sel:BYTE_0 src1_sel:DWORD
	v_or_b32_sdwa v126, v128, v126 dst_sel:WORD_1 dst_unused:UNUSED_PAD src0_sel:BYTE_0 src1_sel:DWORD
	v_ashrrev_i32_e32 v129, s3, v129
	v_or_b32_sdwa v128, v132, v126 dst_sel:DWORD dst_unused:UNUSED_PAD src0_sel:WORD_0 src1_sel:DWORD
	v_ashrrev_i32_e32 v126, s23, v127
	v_lshlrev_b32_e32 v129, 2, v129
	v_and_b32_e32 v127, 0x3030303, v126
	v_bfe_u32 v126, v126, 24, 2
	v_and_b32_e32 v129, 0x4040404, v129
	v_sub_u16_e32 v130, v127, v129
	v_sub_u16_sdwa v132, v127, v129 dst_sel:BYTE_1 dst_unused:UNUSED_PAD src0_sel:BYTE_1 src1_sel:BYTE_1
	v_sub_u16_sdwa v126, v126, v129 dst_sel:BYTE_1 dst_unused:UNUSED_PAD src0_sel:DWORD src1_sel:BYTE_3
	v_sub_u16_sdwa v127, v127, v129 dst_sel:DWORD dst_unused:UNUSED_PAD src0_sel:WORD_1 src1_sel:WORD_1
	v_or_b32_sdwa v130, v130, v132 dst_sel:DWORD dst_unused:UNUSED_PAD src0_sel:BYTE_0 src1_sel:DWORD
	v_or_b32_sdwa v126, v127, v126 dst_sel:WORD_1 dst_unused:UNUSED_PAD src0_sel:BYTE_0 src1_sel:DWORD
	v_add_u32_e32 v129, s36, v86
	v_or_b32_sdwa v127, v130, v126 dst_sel:DWORD dst_unused:UNUSED_PAD src0_sel:WORD_0 src1_sel:DWORD
	v_add_u32_e32 v126, s34, v107
	ds_read_b32 v129, v129
	ds_read_u16 v126, v126 offset:27378
	v_mov_b32_e32 v130, 0
	v_dot4c_i32_i8_e32 v130, v131, v6
	v_dot4c_i32_i8_e32 v130, v133, v7
	;; [unrolled: 1-line block ×4, first 2 shown]
	s_waitcnt lgkmcnt(0)
	v_lshrrev_b16_e32 v131, 8, v126
	v_bfe_i32 v126, v126, 0, 8
	v_add_lshl_u32 v132, v87, s33, 2
	v_mul_lo_u32 v126, v130, v126
	v_mov_b32_e32 v130, 0
	v_dot4c_i32_i8_e32 v130, v136, v2
	v_dot4c_i32_i8_e32 v130, v137, v3
	;; [unrolled: 1-line block ×4, first 2 shown]
	v_bfe_i32 v127, v131, 0, 8
	v_add_u32_e32 v128, 0x4200, v132
	s_nop 0
	v_mad_u64_u32 v[126:127], s[38:39], v130, v127, v[126:127]
	v_cvt_f32_i32_e32 v126, v126
	v_mul_f32_e32 v127, v125, v129
	v_add_u32_e32 v130, s35, v88
	ds_read2_b32 v[128:129], v128 offset1:1
	v_fmac_f32_e32 v93, v127, v126
	ds_read2_b32 v[126:127], v130 offset1:1
	s_waitcnt lgkmcnt(1)
	v_ashrrev_i32_e32 v128, s3, v128
	v_lshlrev_b32_e32 v128, 2, v128
	s_waitcnt lgkmcnt(0)
	v_ashrrev_i32_e32 v126, s23, v126
	v_and_b32_e32 v131, 0x3030303, v126
	v_bfe_u32 v126, v126, 24, 2
	v_and_b32_e32 v128, 0x4040404, v128
	v_sub_u16_e32 v133, v131, v128
	v_sub_u16_sdwa v134, v131, v128 dst_sel:BYTE_1 dst_unused:UNUSED_PAD src0_sel:BYTE_1 src1_sel:BYTE_1
	v_sub_u16_sdwa v126, v126, v128 dst_sel:BYTE_1 dst_unused:UNUSED_PAD src0_sel:DWORD src1_sel:BYTE_3
	v_sub_u16_sdwa v128, v131, v128 dst_sel:DWORD dst_unused:UNUSED_PAD src0_sel:WORD_1 src1_sel:WORD_1
	v_or_b32_sdwa v133, v133, v134 dst_sel:DWORD dst_unused:UNUSED_PAD src0_sel:BYTE_0 src1_sel:DWORD
	v_or_b32_sdwa v126, v128, v126 dst_sel:WORD_1 dst_unused:UNUSED_PAD src0_sel:BYTE_0 src1_sel:DWORD
	v_ashrrev_i32_e32 v128, s3, v129
	v_or_b32_sdwa v131, v133, v126 dst_sel:DWORD dst_unused:UNUSED_PAD src0_sel:WORD_0 src1_sel:DWORD
	v_ashrrev_i32_e32 v126, s23, v127
	v_lshlrev_b32_e32 v128, 2, v128
	v_and_b32_e32 v127, 0x3030303, v126
	v_bfe_u32 v126, v126, 24, 2
	v_and_b32_e32 v128, 0x4040404, v128
	v_sub_u16_e32 v129, v127, v128
	v_sub_u16_sdwa v133, v127, v128 dst_sel:BYTE_1 dst_unused:UNUSED_PAD src0_sel:BYTE_1 src1_sel:BYTE_1
	v_sub_u16_sdwa v126, v126, v128 dst_sel:BYTE_1 dst_unused:UNUSED_PAD src0_sel:DWORD src1_sel:BYTE_3
	v_sub_u16_sdwa v127, v127, v128 dst_sel:DWORD dst_unused:UNUSED_PAD src0_sel:WORD_1 src1_sel:WORD_1
	v_or_b32_sdwa v129, v129, v133 dst_sel:DWORD dst_unused:UNUSED_PAD src0_sel:BYTE_0 src1_sel:DWORD
	v_or_b32_sdwa v126, v127, v126 dst_sel:WORD_1 dst_unused:UNUSED_PAD src0_sel:BYTE_0 src1_sel:DWORD
	v_add_u32_e32 v128, 0x4208, v132
	v_or_b32_sdwa v133, v129, v126 dst_sel:DWORD dst_unused:UNUSED_PAD src0_sel:WORD_0 src1_sel:DWORD
	ds_read2_b32 v[126:127], v130 offset0:2 offset1:3
	ds_read2_b32 v[128:129], v128 offset1:1
	s_waitcnt lgkmcnt(1)
	v_ashrrev_i32_e32 v126, s23, v126
	s_waitcnt lgkmcnt(0)
	v_ashrrev_i32_e32 v128, s3, v128
	v_lshlrev_b32_e32 v128, 2, v128
	v_and_b32_e32 v134, 0x3030303, v126
	v_bfe_u32 v126, v126, 24, 2
	v_and_b32_e32 v128, 0x4040404, v128
	v_sub_u16_e32 v135, v134, v128
	v_sub_u16_sdwa v136, v134, v128 dst_sel:BYTE_1 dst_unused:UNUSED_PAD src0_sel:BYTE_1 src1_sel:BYTE_1
	v_sub_u16_sdwa v126, v126, v128 dst_sel:BYTE_1 dst_unused:UNUSED_PAD src0_sel:DWORD src1_sel:BYTE_3
	v_sub_u16_sdwa v128, v134, v128 dst_sel:DWORD dst_unused:UNUSED_PAD src0_sel:WORD_1 src1_sel:WORD_1
	v_or_b32_sdwa v135, v135, v136 dst_sel:DWORD dst_unused:UNUSED_PAD src0_sel:BYTE_0 src1_sel:DWORD
	v_or_b32_sdwa v126, v128, v126 dst_sel:WORD_1 dst_unused:UNUSED_PAD src0_sel:BYTE_0 src1_sel:DWORD
	v_ashrrev_i32_e32 v128, s3, v129
	v_or_b32_sdwa v134, v135, v126 dst_sel:DWORD dst_unused:UNUSED_PAD src0_sel:WORD_0 src1_sel:DWORD
	v_ashrrev_i32_e32 v126, s23, v127
	v_lshlrev_b32_e32 v128, 2, v128
	v_and_b32_e32 v127, 0x3030303, v126
	v_bfe_u32 v126, v126, 24, 2
	v_and_b32_e32 v128, 0x4040404, v128
	v_sub_u16_e32 v129, v127, v128
	v_sub_u16_sdwa v135, v127, v128 dst_sel:BYTE_1 dst_unused:UNUSED_PAD src0_sel:BYTE_1 src1_sel:BYTE_1
	v_sub_u16_sdwa v126, v126, v128 dst_sel:BYTE_1 dst_unused:UNUSED_PAD src0_sel:DWORD src1_sel:BYTE_3
	v_sub_u16_sdwa v127, v127, v128 dst_sel:DWORD dst_unused:UNUSED_PAD src0_sel:WORD_1 src1_sel:WORD_1
	v_or_b32_sdwa v129, v129, v135 dst_sel:DWORD dst_unused:UNUSED_PAD src0_sel:BYTE_0 src1_sel:DWORD
	v_or_b32_sdwa v126, v127, v126 dst_sel:WORD_1 dst_unused:UNUSED_PAD src0_sel:BYTE_0 src1_sel:DWORD
	v_add_u32_e32 v128, 0x4210, v132
	v_or_b32_sdwa v135, v129, v126 dst_sel:DWORD dst_unused:UNUSED_PAD src0_sel:WORD_0 src1_sel:DWORD
	ds_read2_b32 v[126:127], v130 offset0:4 offset1:5
	ds_read2_b32 v[128:129], v128 offset1:1
	s_waitcnt lgkmcnt(1)
	v_ashrrev_i32_e32 v126, s23, v126
	s_waitcnt lgkmcnt(0)
	v_ashrrev_i32_e32 v128, s3, v128
	v_lshlrev_b32_e32 v128, 2, v128
	;; [unrolled: 31-line block ×3, first 2 shown]
	v_and_b32_e32 v130, 0x3030303, v126
	v_bfe_u32 v126, v126, 24, 2
	v_and_b32_e32 v128, 0x4040404, v128
	v_ashrrev_i32_e32 v129, s3, v129
	v_sub_u16_e32 v132, v130, v128
	v_sub_u16_sdwa v138, v130, v128 dst_sel:BYTE_1 dst_unused:UNUSED_PAD src0_sel:BYTE_1 src1_sel:BYTE_1
	v_sub_u16_sdwa v126, v126, v128 dst_sel:BYTE_1 dst_unused:UNUSED_PAD src0_sel:DWORD src1_sel:BYTE_3
	v_sub_u16_sdwa v128, v130, v128 dst_sel:DWORD dst_unused:UNUSED_PAD src0_sel:WORD_1 src1_sel:WORD_1
	v_ashrrev_i32_e32 v127, s23, v127
	v_lshlrev_b32_e32 v129, 2, v129
	v_or_b32_sdwa v132, v132, v138 dst_sel:DWORD dst_unused:UNUSED_PAD src0_sel:BYTE_0 src1_sel:DWORD
	v_or_b32_sdwa v126, v128, v126 dst_sel:WORD_1 dst_unused:UNUSED_PAD src0_sel:BYTE_0 src1_sel:DWORD
	v_and_b32_e32 v128, 0x3030303, v127
	v_bfe_u32 v127, v127, 24, 2
	v_and_b32_e32 v129, 0x4040404, v129
	v_or_b32_sdwa v126, v132, v126 dst_sel:DWORD dst_unused:UNUSED_PAD src0_sel:WORD_0 src1_sel:DWORD
	v_sub_u16_e32 v130, v128, v129
	v_sub_u16_sdwa v132, v128, v129 dst_sel:BYTE_1 dst_unused:UNUSED_PAD src0_sel:BYTE_1 src1_sel:BYTE_1
	v_sub_u16_sdwa v127, v127, v129 dst_sel:BYTE_1 dst_unused:UNUSED_PAD src0_sel:DWORD src1_sel:BYTE_3
	v_sub_u16_sdwa v128, v128, v129 dst_sel:DWORD dst_unused:UNUSED_PAD src0_sel:WORD_1 src1_sel:WORD_1
	v_or_b32_sdwa v130, v130, v132 dst_sel:DWORD dst_unused:UNUSED_PAD src0_sel:BYTE_0 src1_sel:DWORD
	v_or_b32_sdwa v127, v128, v127 dst_sel:WORD_1 dst_unused:UNUSED_PAD src0_sel:BYTE_0 src1_sel:DWORD
	v_add_u32_e32 v128, s34, v106
	v_or_b32_sdwa v127, v130, v127 dst_sel:DWORD dst_unused:UNUSED_PAD src0_sel:WORD_0 src1_sel:DWORD
	v_add_u32_e32 v129, s36, v89
	v_mov_b32_e32 v130, 0
	ds_read_b32 v129, v129
	v_dot4c_i32_i8_e32 v130, v131, v6
	ds_read_u16 v6, v128 offset:28402
	v_dot4c_i32_i8_e32 v130, v133, v7
	v_dot4c_i32_i8_e32 v130, v134, v8
	v_mov_b32_e32 v8, 0
	v_dot4c_i32_i8_e32 v8, v136, v2
	v_dot4c_i32_i8_e32 v8, v137, v3
	;; [unrolled: 1-line block ×3, first 2 shown]
	s_waitcnt lgkmcnt(0)
	v_lshrrev_b16_e32 v7, 8, v6
	v_bfe_i32 v6, v6, 0, 8
	v_dot4c_i32_i8_e32 v8, v126, v4
	v_mul_lo_u32 v6, v130, v6
	v_dot4c_i32_i8_e32 v8, v127, v5
	v_bfe_i32 v2, v7, 0, 8
	s_add_i32 s3, s3, 1
	s_cmp_lt_u32 s22, 30
	v_mad_u64_u32 v[2:3], s[34:35], v8, v2, v[6:7]
	v_cvt_f32_i32_e32 v2, v2
	v_mul_f32_e32 v3, v125, v129
	s_mov_b32 s34, s22
	v_fmac_f32_e32 v11, v3, v2
	s_cbranch_scc1 .LBB189_36
; %bb.37:                               ;   in Loop: Header=BB189_5 Depth=1
	s_barrier
	s_branch .LBB189_4
.LBB189_38:
	v_mov_b32_e32 v93, 0
	v_mov_b32_e32 v94, 0
	;; [unrolled: 1-line block ×3, first 2 shown]
.LBB189_39:
	s_mul_i32 s0, s7, s4
	s_waitcnt vmcnt(0)
	v_cmp_gt_i32_e32 vcc, s0, v1
	s_and_saveexec_b64 s[0:1], vcc
	s_cbranch_execz .LBB189_48
; %bb.40:
	v_and_b32_e32 v0, 0x3ff, v0
	v_add_u32_e32 v2, s24, v0
	v_mul_lo_u32 v0, v1, s6
	v_cmp_gt_u32_e32 vcc, s6, v2
	s_and_saveexec_b64 s[0:1], vcc
	s_cbranch_execz .LBB189_42
; %bb.41:
	v_add_u32_e32 v4, v0, v2
	v_mov_b32_e32 v5, 0
	v_lshl_add_u64 v[4:5], v[4:5], 2, s[12:13]
	global_store_dword v[4:5], v95, off
.LBB189_42:
	s_or_b64 exec, exec, s[0:1]
	v_add_u32_e32 v1, 32, v2
	v_cmp_gt_u32_e32 vcc, s6, v1
	s_and_saveexec_b64 s[0:1], vcc
	s_cbranch_execz .LBB189_44
; %bb.43:
	v_add_u32_e32 v4, v0, v1
	v_mov_b32_e32 v5, 0
	v_lshl_add_u64 v[4:5], v[4:5], 2, s[12:13]
	global_store_dword v[4:5], v94, off
.LBB189_44:
	s_or_b64 exec, exec, s[0:1]
	v_add_u32_e32 v1, 64, v2
	;; [unrolled: 11-line block ×3, first 2 shown]
	v_cmp_gt_u32_e32 vcc, s6, v1
	s_and_b64 exec, exec, vcc
	s_cbranch_execz .LBB189_48
; %bb.47:
	v_add_u32_e32 v0, v0, v1
	v_mov_b32_e32 v1, 0
	v_lshl_add_u64 v[0:1], v[0:1], 2, s[12:13]
	global_store_dword v[0:1], v11, off
.LBB189_48:
	s_endpgm
	.section	.rodata,"a",@progbits
	.p2align	6, 0x0
	.amdhsa_kernel _ZL8moe_q3_KIfLb0EEvPKvS1_PT_PKiS5_S5_iiiiiii
		.amdhsa_group_segment_fixed_size 31776
		.amdhsa_private_segment_fixed_size 0
		.amdhsa_kernarg_size 76
		.amdhsa_user_sgpr_count 2
		.amdhsa_user_sgpr_dispatch_ptr 0
		.amdhsa_user_sgpr_queue_ptr 0
		.amdhsa_user_sgpr_kernarg_segment_ptr 1
		.amdhsa_user_sgpr_dispatch_id 0
		.amdhsa_user_sgpr_kernarg_preload_length 0
		.amdhsa_user_sgpr_kernarg_preload_offset 0
		.amdhsa_user_sgpr_private_segment_size 0
		.amdhsa_uses_dynamic_stack 0
		.amdhsa_enable_private_segment 0
		.amdhsa_system_sgpr_workgroup_id_x 1
		.amdhsa_system_sgpr_workgroup_id_y 1
		.amdhsa_system_sgpr_workgroup_id_z 0
		.amdhsa_system_sgpr_workgroup_info 0
		.amdhsa_system_vgpr_workitem_id 1
		.amdhsa_next_free_vgpr 153
		.amdhsa_next_free_sgpr 42
		.amdhsa_accum_offset 156
		.amdhsa_reserve_vcc 1
		.amdhsa_float_round_mode_32 0
		.amdhsa_float_round_mode_16_64 0
		.amdhsa_float_denorm_mode_32 3
		.amdhsa_float_denorm_mode_16_64 3
		.amdhsa_dx10_clamp 1
		.amdhsa_ieee_mode 1
		.amdhsa_fp16_overflow 0
		.amdhsa_tg_split 0
		.amdhsa_exception_fp_ieee_invalid_op 0
		.amdhsa_exception_fp_denorm_src 0
		.amdhsa_exception_fp_ieee_div_zero 0
		.amdhsa_exception_fp_ieee_overflow 0
		.amdhsa_exception_fp_ieee_underflow 0
		.amdhsa_exception_fp_ieee_inexact 0
		.amdhsa_exception_int_div_zero 0
	.end_amdhsa_kernel
	.section	.text._ZL8moe_q3_KIfLb0EEvPKvS1_PT_PKiS5_S5_iiiiiii,"axG",@progbits,_ZL8moe_q3_KIfLb0EEvPKvS1_PT_PKiS5_S5_iiiiiii,comdat
.Lfunc_end189:
	.size	_ZL8moe_q3_KIfLb0EEvPKvS1_PT_PKiS5_S5_iiiiiii, .Lfunc_end189-_ZL8moe_q3_KIfLb0EEvPKvS1_PT_PKiS5_S5_iiiiiii
                                        ; -- End function
	.section	.AMDGPU.csdata,"",@progbits
; Kernel info:
; codeLenInByte = 20016
; NumSgprs: 48
; NumVgprs: 153
; NumAgprs: 0
; TotalNumVgprs: 153
; ScratchSize: 0
; MemoryBound: 0
; FloatMode: 240
; IeeeMode: 1
; LDSByteSize: 31776 bytes/workgroup (compile time only)
; SGPRBlocks: 5
; VGPRBlocks: 19
; NumSGPRsForWavesPerEU: 48
; NumVGPRsForWavesPerEU: 153
; AccumOffset: 156
; Occupancy: 2
; WaveLimiterHint : 1
; COMPUTE_PGM_RSRC2:SCRATCH_EN: 0
; COMPUTE_PGM_RSRC2:USER_SGPR: 2
; COMPUTE_PGM_RSRC2:TRAP_HANDLER: 0
; COMPUTE_PGM_RSRC2:TGID_X_EN: 1
; COMPUTE_PGM_RSRC2:TGID_Y_EN: 1
; COMPUTE_PGM_RSRC2:TGID_Z_EN: 0
; COMPUTE_PGM_RSRC2:TIDIG_COMP_CNT: 1
; COMPUTE_PGM_RSRC3_GFX90A:ACCUM_OFFSET: 38
; COMPUTE_PGM_RSRC3_GFX90A:TG_SPLIT: 0
	.section	.text._ZL8moe_q3_KIfLb1EEvPKvS1_PT_PKiS5_S5_iiiiiii,"axG",@progbits,_ZL8moe_q3_KIfLb1EEvPKvS1_PT_PKiS5_S5_iiiiiii,comdat
	.globl	_ZL8moe_q3_KIfLb1EEvPKvS1_PT_PKiS5_S5_iiiiiii ; -- Begin function _ZL8moe_q3_KIfLb1EEvPKvS1_PT_PKiS5_S5_iiiiiii
	.p2align	8
	.type	_ZL8moe_q3_KIfLb1EEvPKvS1_PT_PKiS5_S5_iiiiiii,@function
_ZL8moe_q3_KIfLb1EEvPKvS1_PT_PKiS5_S5_iiiiiii: ; @_ZL8moe_q3_KIfLb1EEvPKvS1_PT_PKiS5_S5_iiiiiii
; %bb.0:
	s_load_dwordx4 s[4:7], s[0:1], 0x18
	s_mov_b32 s8, s3
	s_mov_b32 s9, 0
	s_lshl_b64 s[10:11], s[8:9], 2
	s_waitcnt lgkmcnt(0)
	s_add_u32 s6, s6, s10
	s_addc_u32 s7, s7, s11
	s_load_dword s3, s[6:7], 0x0
	s_waitcnt lgkmcnt(0)
	s_cmpk_gt_u32 s3, 0xff
	s_cbranch_scc1 .LBB190_48
; %bb.1:
	s_load_dwordx2 s[6:7], s[0:1], 0x28
	s_waitcnt lgkmcnt(0)
	s_load_dword s7, s[6:7], 0x0
	s_lshl_b32 s6, s8, 3
	s_waitcnt lgkmcnt(0)
	s_cmp_gt_u32 s6, s7
	s_cbranch_scc1 .LBB190_48
; %bb.2:
	v_bfe_u32 v2, v0, 10, 10
	v_mov_b32_e32 v4, s4
	v_mov_b32_e32 v5, s5
	v_add_u32_e32 v10, s6, v2
	v_mov_b32_e32 v11, 0
	v_lshl_add_u64 v[4:5], v[10:11], 2, v[4:5]
	global_load_dword v1, v[4:5], off
	s_load_dwordx8 s[4:11], s[0:1], 0x30
	s_load_dwordx2 s[16:17], s[0:1], 0x10
	s_waitcnt lgkmcnt(0)
	s_lshl_b32 s11, s2, 7
	s_mov_b32 s26, 0
	s_cmpk_lt_i32 s5, 0x100
	s_cbranch_scc1 .LBB190_38
; %bb.3:
	s_load_dwordx4 s[12:15], s[0:1], 0x0
	s_ashr_i32 s0, s5, 31
	s_lshr_b32 s0, s0, 24
	s_add_i32 s0, s5, s0
	s_ashr_i32 s27, s0, 8
	s_ashr_i32 s0, s8, 31
	s_lshr_b32 s0, s0, 27
	s_add_i32 s0, s8, s0
	s_mul_i32 s3, s3, s4
	s_ashr_i32 s8, s0, 5
	s_ashr_i32 s0, s3, 31
	s_waitcnt lgkmcnt(0)
	s_add_u32 s1, s12, s3
	s_mul_i32 s2, s27, s11
	s_addc_u32 s0, s13, s0
	s_mul_hi_i32 s3, s2, 0x6e
	s_mulk_i32 s2, 0x6e
	s_add_u32 s28, s1, s2
	s_addc_u32 s29, s0, s3
	s_not_b32 s1, s11
	s_add_i32 s1, s1, s6
	v_and_b32_e32 v15, 0x3ff, v0
	v_min_i32_e32 v5, s1, v2
	v_lshlrev_b32_e32 v4, 2, v15
	s_movk_i32 s0, 0x84
	v_mul_lo_u32 v14, v5, s27
	v_mad_u64_u32 v[16:17], s[2:3], v5, s0, v[4:5]
	v_add_u32_e32 v5, 8, v2
	v_min_i32_e32 v5, s1, v5
	v_mul_lo_u32 v18, v5, s27
	v_mad_u64_u32 v[20:21], s[2:3], v5, s0, v[4:5]
	v_add_u32_e32 v5, 16, v2
	v_min_i32_e32 v5, s1, v5
	;; [unrolled: 4-line block ×15, first 2 shown]
	v_lshlrev_b32_e32 v6, 4, v2
	v_lshrrev_b32_e32 v7, 1, v15
	v_mul_lo_u32 v74, v5, s27
	v_mad_u64_u32 v[76:77], s[2:3], v5, s0, v[4:5]
	v_add_u32_e32 v5, v7, v6
	v_and_b32_e32 v5, 0x7f, v5
	v_min_i32_e32 v5, s1, v5
	v_ashrrev_i32_e32 v8, 31, v5
	v_lshrrev_b32_e32 v8, 28, v8
	v_add_u32_e32 v8, v5, v8
	v_and_b32_e32 v78, 1, v15
	v_ashrrev_i32_e32 v8, 4, v8
	v_lshrrev_b32_e32 v10, 4, v15
	v_lshlrev_b32_e32 v8, 2, v8
	v_lshlrev_b32_e32 v9, 2, v78
	s_movk_i32 s2, 0x7380
	v_mul_lo_u32 v80, v5, s27
	v_add3_u32 v8, v8, v9, s2
	v_lshlrev_b32_e32 v9, 3, v5
	v_lshl_add_u32 v5, v2, 1, v10
	v_min_i32_e32 v11, s1, v5
	v_lshrrev_b32_e32 v17, 31, v11
	v_and_b32_e32 v3, 15, v15
	v_add_lshl_u32 v17, v11, v17, 1
	v_lshlrev_b32_e32 v12, 2, v3
	v_and_b32_e32 v17, -4, v17
	s_movk_i32 s3, 0x4200
	v_add3_u32 v59, v17, v12, s3
	v_add_u32_e32 v17, 16, v5
	v_min_i32_e32 v17, s1, v17
	v_lshrrev_b32_e32 v19, 31, v17
	v_mul_lo_u32 v88, v17, s27
	v_add_lshl_u32 v19, v17, v19, 1
	v_lshlrev_b32_e32 v65, 6, v17
	v_add_u32_e32 v17, 32, v5
	v_and_b32_e32 v19, -4, v19
	v_min_i32_e32 v17, s1, v17
	v_add3_u32 v61, v19, v12, s3
	v_lshrrev_b32_e32 v19, 31, v17
	v_mul_lo_u32 v90, v17, s27
	v_add_lshl_u32 v19, v17, v19, 1
	v_lshlrev_b32_e32 v103, 6, v17
	v_add_u32_e32 v17, 48, v5
	v_and_b32_e32 v19, -4, v19
	v_min_i32_e32 v17, s1, v17
	v_add3_u32 v101, v19, v12, s3
	;; [unrolled: 8-line block ×4, first 2 shown]
	v_lshrrev_b32_e32 v19, 31, v17
	v_mul_lo_u32 v96, v17, s27
	v_add_lshl_u32 v19, v17, v19, 1
	v_lshlrev_b32_e32 v119, 6, v17
	v_add_u32_e32 v17, 0x60, v5
	v_and_b32_e32 v19, -4, v19
	v_min_i32_e32 v17, s1, v17
	v_add_u32_e32 v5, 0x70, v5
	v_add3_u32 v118, v19, v12, s3
	v_lshrrev_b32_e32 v19, 31, v17
	v_min_i32_e32 v5, s1, v5
	v_mul_lo_u32 v98, v17, s27
	v_add_lshl_u32 v19, v17, v19, 1
	v_lshlrev_b32_e32 v121, 6, v17
	v_lshrrev_b32_e32 v17, 31, v5
	v_cmp_lt_u32_e32 vcc, 7, v3
	v_and_b32_e32 v3, 7, v15
	v_add_lshl_u32 v17, v5, v17, 1
	v_cndmask_b32_e64 v82, 0, 1, vcc
	v_lshlrev_b32_e32 v84, 2, v3
	v_and_b32_e32 v19, -4, v19
	v_and_b32_e32 v17, -4, v17
	v_cmp_lt_u32_e32 vcc, 3, v3
	v_and_b32_e32 v3, 3, v15
	v_add3_u32 v120, v19, v12, s3
	v_add3_u32 v122, v17, v12, s3
	v_lshlrev_b32_e32 v25, 2, v2
	v_lshrrev_b32_e32 v17, 3, v15
	v_cndmask_b32_e64 v102, 0, 1, vcc
	v_add_u16_e32 v19, -2, v3
	v_cmp_gt_u32_e32 vcc, 2, v3
	v_mul_lo_u32 v100, v5, s27
	v_lshlrev_b32_e32 v123, 6, v5
	v_add_u32_e32 v5, v17, v25
	v_cndmask_b32_e32 v21, v19, v3, vcc
	v_mov_b32_e32 v23, 2
	v_cmp_lt_u32_e32 vcc, 1, v3
	v_lshlrev_b32_sdwa v104, v23, v21 dst_sel:DWORD dst_unused:UNUSED_PAD src0_sel:DWORD src1_sel:BYTE_0
	v_lshlrev_b32_e32 v21, 1, v3
	v_min_i32_e32 v3, s1, v5
	v_ashrrev_i32_e32 v23, 31, v3
	v_lshrrev_b32_e32 v23, 30, v23
	v_add_u32_e32 v23, v3, v23
	v_and_b32_e32 v23, -4, v23
	s_movk_i32 s3, 0x6300
	v_add3_u32 v124, v23, v84, s3
	v_add_u32_e32 v23, 32, v5
	v_min_i32_e32 v23, s1, v23
	v_ashrrev_i32_e32 v27, 31, v23
	v_lshrrev_b32_e32 v27, 30, v27
	v_mul_lo_u32 v108, v23, s27
	v_add_u32_e32 v27, v23, v27
	v_lshlrev_b32_e32 v126, 5, v23
	v_add_u32_e32 v23, 64, v5
	v_and_b32_e32 v27, -4, v27
	v_min_i32_e32 v23, s1, v23
	v_add3_u32 v125, v27, v84, s3
	v_ashrrev_i32_e32 v27, 31, v23
	v_add_u32_e32 v5, 0x60, v5
	v_lshrrev_b32_e32 v27, 30, v27
	v_min_i32_e32 v5, s1, v5
	v_mul_lo_u32 v110, v23, s27
	v_add_u32_e32 v27, v23, v27
	v_lshlrev_b32_e32 v128, 5, v23
	v_ashrrev_i32_e32 v23, 31, v5
	v_lshrrev_b32_e32 v23, 30, v23
	v_add_u32_e32 v23, v5, v23
	v_mov_b32_e32 v13, 0
	v_and_b32_e32 v23, -4, v23
	v_mul_lo_u32 v112, v5, s27
	v_add3_u32 v129, v23, v84, s3
	v_lshlrev_b32_e32 v130, 5, v5
	v_and_b32_e32 v23, 31, v15
	v_and_b32_e32 v4, 28, v4
	v_mov_b32_e32 v5, v13
	v_lshlrev_b32_e32 v2, 7, v2
	v_lshl_add_u64 v[114:115], s[14:15], 0, v[4:5]
	v_lshl_or_b32 v4, v23, 2, v2
	v_add_u32_e32 v23, 0x77a0, v4
	v_or_b32_e32 v4, v25, v15
	v_mov_b32_e32 v5, 0x7ba0
	v_lshl_add_u32 v25, v4, 2, v5
	v_add_u32_e32 v4, 32, v15
	v_lshrrev_b32_e32 v5, 1, v4
	v_lshl_add_u32 v35, v4, 4, v5
	v_mov_b32_e32 v5, 0x1080
	v_lshl_add_u32 v29, v15, 4, v7
	v_lshlrev_b32_e32 v7, 2, v10
	v_lshlrev_b32_e32 v33, 3, v15
	v_mad_u32_u24 v37, v15, s0, v5
	v_lshrrev_b32_e32 v5, 2, v4
	v_add3_u32 v33, v7, v33, s2
	v_and_b32_e32 v5, 0x7c, v5
	v_lshlrev_b32_e32 v7, 3, v4
	v_and_b32_e32 v27, -4, v27
	v_add_u32_e32 v67, 64, v15
	v_add3_u32 v39, v7, v5, s2
	v_mov_b32_e32 v5, 0x2100
	v_add3_u32 v127, v27, v84, s3
	v_mad_u32_u24 v43, v15, s0, v5
	v_lshrrev_b32_e32 v5, 2, v67
	s_abs_i32 s3, s10
	v_and_b32_e32 v5, 0x7c, v5
	v_lshlrev_b32_e32 v7, 3, v67
	v_cvt_f32_u32_e32 v57, s3
	v_add_u32_e32 v63, 0x60, v15
	v_add3_u32 v45, v7, v5, s2
	v_mov_b32_e32 v5, 0x3180
	v_mad_u32_u24 v49, v15, s0, v5
	v_lshrrev_b32_e32 v5, 2, v63
	v_and_b32_e32 v5, 0x7c, v5
	v_lshlrev_b32_e32 v7, 3, v63
	v_add3_u32 v51, v7, v5, s2
	v_rcp_iflag_f32_e32 v5, v57
	s_sub_i32 s0, 0, s3
	s_waitcnt vmcnt(0)
	v_sub_u32_e32 v69, 0, v1
	v_max_i32_e32 v69, v1, v69
	v_mul_f32_e32 v5, 0x4f7ffffe, v5
	v_cvt_u32_f32_e32 v5, v5
	v_xor_b32_e32 v7, s10, v1
	s_add_u32 s12, s14, 0x90
	v_ashrrev_i32_e32 v7, 31, v7
	v_mul_lo_u32 v71, s0, v5
	v_mul_hi_u32 v71, v5, v71
	v_add_u32_e32 v5, v5, v71
	v_mul_hi_u32 v5, v69, v5
	v_mul_lo_u32 v71, v5, s3
	v_sub_u32_e32 v69, v69, v71
	v_add_u32_e32 v71, 1, v5
	v_cmp_le_u32_e64 s[0:1], s3, v69
	s_addc_u32 s13, s15, 0
	s_add_u32 s18, s14, 0x120
	v_cndmask_b32_e64 v5, v5, v71, s[0:1]
	v_subrev_u32_e32 v71, s3, v69
	v_cndmask_b32_e64 v69, v69, v71, s[0:1]
	v_add_u32_e32 v71, 1, v5
	v_cmp_le_u32_e64 s[0:1], s3, v69
	v_lshrrev_b32_e32 v41, 1, v67
	v_lshrrev_b32_e32 v47, 1, v63
	v_cndmask_b32_e64 v5, v5, v71, s[0:1]
	v_xor_b32_e32 v5, v5, v7
	v_sub_u32_e32 v5, v5, v7
	s_addc_u32 s19, s15, 0
	v_mul_lo_u32 v86, v11, s27
	v_lshlrev_b32_e32 v11, 6, v11
	v_cndmask_b32_e64 v19, 0, 1, vcc
	v_mul_lo_u32 v106, v3, s27
	v_lshlrev_b32_e32 v3, 5, v3
	v_lshlrev_b32_e32 v27, 5, v15
	v_lshl_add_u32 v41, v67, 4, v41
	v_lshl_add_u32 v47, v63, 4, v47
	v_lshrrev_b32_e32 v55, 3, v67
	v_lshrrev_b32_e32 v57, 3, v63
	v_mul_lo_u32 v116, v5, s8
	s_add_u32 s20, s14, 0x1b0
	v_and_b32_e32 v63, 0x1fc, v63
	v_and_b32_e32 v67, 0x1fc, v67
	;; [unrolled: 1-line block ×4, first 2 shown]
	s_movk_i32 s4, 0x6e
	v_mov_b32_e32 v85, v13
	v_lshlrev_b32_e32 v19, 2, v19
	v_mov_b32_e32 v105, v13
	v_cmp_gt_u32_e32 vcc, 4, v15
	v_mul_u32_u24_e32 v31, 0x84, v15
	v_lshrrev_b32_e32 v53, 3, v4
	v_cmp_gt_i32_e64 s[0:1], s7, v5
	v_ashrrev_i32_e32 v117, 31, v116
	s_addc_u32 s21, s15, 0
	v_add_u32_e32 v73, 0x77a0, v2
	v_add_u32_e32 v75, 0x7ba0, v6
	;; [unrolled: 1-line block ×19, first 2 shown]
	s_mov_b64 s[22:23], 0x60
	s_mov_b32 s6, 0x30303030
	s_movk_i32 s30, 0x3f00
	s_movk_i32 s31, 0xe000
	v_add_u32_e32 v118, v124, v3
	v_add_u32_e32 v119, v125, v126
	;; [unrolled: 1-line block ×4, first 2 shown]
	v_mov_b32_e32 v122, 8
	v_mov_b32_e32 v65, v13
	;; [unrolled: 1-line block ×5, first 2 shown]
	s_branch .LBB190_5
.LBB190_4:                              ;   in Loop: Header=BB190_5 Depth=1
	s_add_i32 s26, s26, 2
	s_cmp_ge_i32 s26, s27
	s_cbranch_scc1 .LBB190_39
.LBB190_5:                              ; =>This Loop Header: Depth=1
                                        ;     Child Loop BB190_12 Depth 2
                                        ;     Child Loop BB190_20 Depth 2
	;; [unrolled: 1-line block ×4, first 2 shown]
	s_mul_i32 s2, s26, 0x6e
	s_mul_hi_u32 s3, s26, 0x6e
	s_add_u32 s2, s28, s2
	s_addc_u32 s3, s29, s3
	v_mov_b64_e32 v[2:3], s[2:3]
	v_mad_u64_u32 v[4:5], s[2:3], v10, s4, v[2:3]
	v_lshl_add_u64 v[4:5], v[4:5], 0, v[12:13]
	v_lshl_add_u64 v[4:5], v[4:5], 0, 32
	v_mad_i64_i32 v[6:7], s[2:3], v14, s4, v[4:5]
	v_mad_i64_i32 v[8:9], s[2:3], v18, s4, v[4:5]
	;; [unrolled: 1-line block ×8, first 2 shown]
	global_load_dword v123, v[6:7], off
	global_load_dword v136, v[8:9], off
	;; [unrolled: 1-line block ×8, first 2 shown]
	v_mad_i64_i32 v[6:7], s[2:3], v46, s4, v[4:5]
	v_mad_i64_i32 v[8:9], s[2:3], v50, s4, v[4:5]
	;; [unrolled: 1-line block ×8, first 2 shown]
	global_load_dword v143, v[6:7], off
	global_load_dword v144, v[8:9], off
	;; [unrolled: 1-line block ×8, first 2 shown]
	v_mad_u64_u32 v[6:7], s[2:3], v82, s4, v[2:3]
	v_mad_i64_i32 v[4:5], s[2:3], v80, s4, v[2:3]
	v_lshl_add_u64 v[6:7], v[6:7], 0, v[84:85]
	v_mad_u64_u32 v[4:5], s[2:3], v78, s4, v[4:5]
	v_mad_i64_i32 v[124:125], s[2:3], v88, s4, v[6:7]
	v_mad_i64_i32 v[126:127], s[2:3], v90, s4, v[6:7]
	;; [unrolled: 1-line block ×3, first 2 shown]
	v_mad_u64_u32 v[2:3], s[2:3], v102, s4, v[2:3]
	v_mad_i64_i32 v[8:9], s[2:3], v86, s4, v[6:7]
	v_mad_i64_i32 v[130:131], s[2:3], v94, s4, v[6:7]
	;; [unrolled: 1-line block ×4, first 2 shown]
	global_load_ushort v151, v[4:5], off offset:108
	global_load_dword v152, v[8:9], off
	s_nop 0
	global_load_dword v124, v[124:125], off
	s_nop 0
	;; [unrolled: 2-line block ×3, first 2 shown]
	global_load_dword v126, v[128:129], off
	global_load_dword v127, v[130:131], off
	s_nop 0
	global_load_dword v128, v[132:133], off
	global_load_dword v129, v[134:135], off
	v_mad_i64_i32 v[4:5], s[2:3], v100, s4, v[6:7]
	v_lshl_add_u64 v[2:3], v[2:3], 0, s[22:23]
	global_load_dword v130, v[4:5], off
	v_mad_i64_i32 v[4:5], s[2:3], v106, s4, v[2:3]
	v_lshl_add_u64 v[6:7], v[4:5], 0, v[104:105]
	global_load_dword v131, v[6:7], off
	v_mad_i64_i32 v[6:7], s[2:3], v108, s4, v[2:3]
	v_mad_i64_i32 v[8:9], s[2:3], v110, s4, v[2:3]
	v_mad_i64_i32 v[2:3], s[2:3], v112, s4, v[2:3]
	global_load_dword v132, v[2:3], off offset:8
	global_load_dword v133, v[8:9], off offset:8
	;; [unrolled: 1-line block ×4, first 2 shown]
	v_lshl_add_u64 v[4:5], v[6:7], 0, v[104:105]
	global_load_dword v6, v[4:5], off
	v_lshl_add_u64 v[4:5], v[8:9], 0, v[104:105]
	global_load_dword v4, v[4:5], off
	s_waitcnt vmcnt(31)
	ds_write_b32 v16, v123
	s_waitcnt vmcnt(30)
	ds_write_b32 v20, v136
	;; [unrolled: 2-line block ×6, first 2 shown]
	v_lshl_add_u64 v[2:3], v[2:3], 0, v[104:105]
	global_load_dword v2, v[2:3], off
	s_waitcnt vmcnt(26)
	ds_write_b32 v40, v141
	s_waitcnt vmcnt(25)
	ds_write_b32 v44, v142
	;; [unrolled: 2-line block ×7, first 2 shown]
	s_lshl_b32 s34, s26, 8
	s_cmp_lt_i32 s34, s5
	s_waitcnt vmcnt(16)
	v_cvt_f32_f16_e32 v3, v151
	ds_write_b32 v68, v148
	ds_write_b32 v72, v149
	;; [unrolled: 1-line block ×4, first 2 shown]
	s_waitcnt vmcnt(15)
	v_not_b32_e32 v3, v152
	ds_write_b32 v97, v3
	s_waitcnt vmcnt(14)
	v_not_b32_e32 v3, v124
	ds_write_b32 v99, v3
	;; [unrolled: 3-line block ×8, first 2 shown]
	s_waitcnt vmcnt(7)
	v_ashrrev_i32_e32 v3, v19, v131
	v_and_b32_e32 v3, 0xf0f0f0f, v3
	s_waitcnt vmcnt(3)
	v_ashrrev_i32_e32 v5, v21, v135
	v_lshlrev_b32_e32 v5, 4, v5
	v_and_or_b32 v3, v5, s6, v3
	v_lshlrev_b16_e32 v7, 8, v3
	v_and_b32_e32 v5, 0x3f00, v3
	v_add_u16_e32 v7, 0xe000, v7
	v_or_b32_sdwa v5, v5, v7 dst_sel:DWORD dst_unused:UNUSED_PAD src0_sel:DWORD src1_sel:BYTE_1
	v_and_b32_sdwa v7, v3, s30 dst_sel:DWORD dst_unused:UNUSED_PAD src0_sel:WORD_1 src1_sel:DWORD
	v_lshlrev_b16_sdwa v3, v122, v3 dst_sel:DWORD dst_unused:UNUSED_PAD src0_sel:DWORD src1_sel:WORD_1
	v_add_u16_e32 v3, 0xe000, v3
	v_or_b32_sdwa v3, v7, v3 dst_sel:DWORD dst_unused:UNUSED_PAD src0_sel:DWORD src1_sel:BYTE_1
	v_add_u16_e32 v5, 0xe000, v5
	v_add_u16_sdwa v3, v3, s31 dst_sel:WORD_1 dst_unused:UNUSED_PAD src0_sel:DWORD src1_sel:DWORD
	s_waitcnt vmcnt(0)
	v_ashrrev_i32_e32 v2, v19, v2
	v_or_b32_e32 v3, v5, v3
	ds_write_b32 v118, v3
	v_ashrrev_i32_e32 v3, v19, v6
	v_ashrrev_i32_e32 v5, v21, v134
	v_and_b32_e32 v3, 0xf0f0f0f, v3
	v_lshlrev_b32_e32 v5, 4, v5
	v_and_or_b32 v3, v5, s6, v3
	v_lshlrev_b16_e32 v6, 8, v3
	v_and_b32_e32 v5, 0x3f00, v3
	v_add_u16_e32 v6, 0xe000, v6
	v_or_b32_sdwa v5, v5, v6 dst_sel:DWORD dst_unused:UNUSED_PAD src0_sel:DWORD src1_sel:BYTE_1
	v_and_b32_sdwa v6, v3, s30 dst_sel:DWORD dst_unused:UNUSED_PAD src0_sel:WORD_1 src1_sel:DWORD
	v_lshlrev_b16_sdwa v3, v122, v3 dst_sel:DWORD dst_unused:UNUSED_PAD src0_sel:DWORD src1_sel:WORD_1
	v_add_u16_e32 v3, 0xe000, v3
	v_or_b32_sdwa v3, v6, v3 dst_sel:DWORD dst_unused:UNUSED_PAD src0_sel:DWORD src1_sel:BYTE_1
	v_add_u16_e32 v5, 0xe000, v5
	v_add_u16_sdwa v3, v3, s31 dst_sel:WORD_1 dst_unused:UNUSED_PAD src0_sel:DWORD src1_sel:DWORD
	v_and_b32_e32 v2, 0xf0f0f0f, v2
	v_or_b32_e32 v3, v5, v3
	ds_write_b32 v119, v3
	v_ashrrev_i32_e32 v3, v19, v4
	v_ashrrev_i32_e32 v4, v21, v133
	v_and_b32_e32 v3, 0xf0f0f0f, v3
	v_lshlrev_b32_e32 v4, 4, v4
	v_and_or_b32 v3, v4, s6, v3
	v_lshlrev_b16_e32 v5, 8, v3
	v_and_b32_e32 v4, 0x3f00, v3
	v_add_u16_e32 v5, 0xe000, v5
	v_or_b32_sdwa v4, v4, v5 dst_sel:DWORD dst_unused:UNUSED_PAD src0_sel:DWORD src1_sel:BYTE_1
	v_and_b32_sdwa v5, v3, s30 dst_sel:DWORD dst_unused:UNUSED_PAD src0_sel:WORD_1 src1_sel:DWORD
	v_lshlrev_b16_sdwa v3, v122, v3 dst_sel:DWORD dst_unused:UNUSED_PAD src0_sel:DWORD src1_sel:WORD_1
	v_add_u16_e32 v3, 0xe000, v3
	v_or_b32_sdwa v3, v5, v3 dst_sel:DWORD dst_unused:UNUSED_PAD src0_sel:DWORD src1_sel:BYTE_1
	v_add_u16_e32 v4, 0xe000, v4
	v_add_u16_sdwa v3, v3, s31 dst_sel:WORD_1 dst_unused:UNUSED_PAD src0_sel:DWORD src1_sel:DWORD
	s_nop 0
	v_or_b32_e32 v3, v4, v3
	ds_write_b32 v120, v3
	v_ashrrev_i32_e32 v3, v21, v132
	v_lshlrev_b32_e32 v3, 4, v3
	v_and_or_b32 v2, v3, s6, v2
	v_lshlrev_b16_e32 v4, 8, v2
	v_and_b32_e32 v3, 0x3f00, v2
	v_add_u16_e32 v4, 0xe000, v4
	v_or_b32_sdwa v3, v3, v4 dst_sel:DWORD dst_unused:UNUSED_PAD src0_sel:DWORD src1_sel:BYTE_1
	v_and_b32_sdwa v4, v2, s30 dst_sel:DWORD dst_unused:UNUSED_PAD src0_sel:WORD_1 src1_sel:DWORD
	v_lshlrev_b16_sdwa v2, v122, v2 dst_sel:DWORD dst_unused:UNUSED_PAD src0_sel:DWORD src1_sel:WORD_1
	v_add_u16_e32 v2, 0xe000, v2
	v_or_b32_sdwa v2, v4, v2 dst_sel:DWORD dst_unused:UNUSED_PAD src0_sel:DWORD src1_sel:BYTE_1
	v_add_u16_e32 v3, 0xe000, v3
	v_add_u16_sdwa v2, v2, s31 dst_sel:WORD_1 dst_unused:UNUSED_PAD src0_sel:DWORD src1_sel:DWORD
	s_nop 0
	v_or_b32_e32 v2, v3, v2
	ds_write_b32 v121, v2
	s_cbranch_scc0 .LBB190_4
; %bb.6:                                ;   in Loop: Header=BB190_5 Depth=1
	s_lshl_b32 s33, s26, 3
	v_add_u32_e32 v2, s33, v17
	v_cmp_gt_i32_e64 s[2:3], s8, v2
	s_and_b64 s[24:25], s[0:1], s[2:3]
	s_and_saveexec_b64 s[2:3], s[24:25]
	s_cbranch_execz .LBB190_8
; %bb.7:                                ;   in Loop: Header=BB190_5 Depth=1
	v_add_u32_e32 v2, v116, v2
	v_mad_i64_i32 v[2:3], s[24:25], v2, 36, v[114:115]
	global_load_dword v2, v[2:3], off offset:4
	s_waitcnt vmcnt(0)
	ds_write_b32 v23, v2
.LBB190_8:                              ;   in Loop: Header=BB190_5 Depth=1
	s_or_b64 exec, exec, s[2:3]
	s_and_saveexec_b64 s[24:25], vcc
	s_cbranch_execz .LBB190_11
; %bb.9:                                ;   in Loop: Header=BB190_5 Depth=1
	v_or_b32_e32 v2, s33, v15
	v_cmp_gt_i32_e64 s[2:3], s8, v2
	s_and_b64 s[2:3], s[0:1], s[2:3]
	s_and_b64 exec, exec, s[2:3]
	s_cbranch_execz .LBB190_11
; %bb.10:                               ;   in Loop: Header=BB190_5 Depth=1
	v_add_u32_e32 v2, v116, v2
	v_mad_i64_i32 v[2:3], s[2:3], v2, 36, s[14:15]
	global_load_dword v2, v[2:3], off
	s_waitcnt vmcnt(0)
	v_cvt_f32_f16_e32 v2, v2
	ds_write_b32 v25, v2
.LBB190_11:                             ;   in Loop: Header=BB190_5 Depth=1
	s_or_b64 exec, exec, s[24:25]
	s_mov_b32 s24, -2
	s_mov_b32 s2, 0
	v_mov_b32_e32 v123, v75
	v_mov_b32_e32 v124, v73
	s_mov_b32 s3, 0
	s_waitcnt lgkmcnt(0)
	s_barrier
.LBB190_12:                             ;   Parent Loop BB190_5 Depth=1
                                        ; =>  This Inner Loop Header: Depth=2
	s_and_b32 s25, s3, -16
	v_add_u32_e32 v126, s25, v27
	s_add_i32 s25, s24, 2
	s_lshr_b32 s37, s25, 4
	s_and_b32 s36, s25, 0x3ffffff8
	s_lshl_b32 s35, s37, 3
	s_lshl_b32 s36, s36, 2
	v_add_lshl_u32 v133, v29, s35, 2
	v_add_u32_e32 v127, s36, v31
	v_add_u32_e32 v130, 0x4200, v133
	ds_read_b32 v125, v123
	ds_read_b128 v[6:9], v124
	ds_read_b128 v[2:5], v124 offset:16
	ds_read2_b32 v[128:129], v127 offset1:1
	ds_read2_b32 v[130:131], v130 offset1:1
	s_lshl_b32 s37, s37, 2
	s_add_i32 s3, s3, 2
	v_add_u32_e32 v124, 32, v124
	s_waitcnt lgkmcnt(1)
	v_ashrrev_i32_e32 v128, s25, v128
	s_waitcnt lgkmcnt(0)
	v_ashrrev_i32_e32 v130, s2, v130
	v_lshlrev_b32_e32 v130, 2, v130
	v_and_b32_e32 v132, 0x3030303, v128
	v_bfe_u32 v128, v128, 24, 2
	v_and_b32_e32 v130, 0x4040404, v130
	v_sub_u16_e32 v134, v132, v130
	v_sub_u16_sdwa v135, v132, v130 dst_sel:BYTE_1 dst_unused:UNUSED_PAD src0_sel:BYTE_1 src1_sel:BYTE_1
	v_sub_u16_sdwa v128, v128, v130 dst_sel:BYTE_1 dst_unused:UNUSED_PAD src0_sel:DWORD src1_sel:BYTE_3
	v_sub_u16_sdwa v130, v132, v130 dst_sel:DWORD dst_unused:UNUSED_PAD src0_sel:WORD_1 src1_sel:WORD_1
	v_or_b32_sdwa v134, v134, v135 dst_sel:DWORD dst_unused:UNUSED_PAD src0_sel:BYTE_0 src1_sel:DWORD
	v_or_b32_sdwa v128, v130, v128 dst_sel:WORD_1 dst_unused:UNUSED_PAD src0_sel:BYTE_0 src1_sel:DWORD
	v_ashrrev_i32_e32 v130, s2, v131
	v_or_b32_sdwa v132, v134, v128 dst_sel:DWORD dst_unused:UNUSED_PAD src0_sel:WORD_0 src1_sel:DWORD
	v_ashrrev_i32_e32 v128, s25, v129
	v_lshlrev_b32_e32 v130, 2, v130
	v_and_b32_e32 v129, 0x3030303, v128
	v_bfe_u32 v128, v128, 24, 2
	v_and_b32_e32 v130, 0x4040404, v130
	v_sub_u16_e32 v131, v129, v130
	v_sub_u16_sdwa v134, v129, v130 dst_sel:BYTE_1 dst_unused:UNUSED_PAD src0_sel:BYTE_1 src1_sel:BYTE_1
	v_sub_u16_sdwa v128, v128, v130 dst_sel:BYTE_1 dst_unused:UNUSED_PAD src0_sel:DWORD src1_sel:BYTE_3
	v_sub_u16_sdwa v129, v129, v130 dst_sel:DWORD dst_unused:UNUSED_PAD src0_sel:WORD_1 src1_sel:WORD_1
	v_or_b32_sdwa v131, v131, v134 dst_sel:DWORD dst_unused:UNUSED_PAD src0_sel:BYTE_0 src1_sel:DWORD
	v_or_b32_sdwa v128, v129, v128 dst_sel:WORD_1 dst_unused:UNUSED_PAD src0_sel:BYTE_0 src1_sel:DWORD
	v_add_u32_e32 v130, 0x4208, v133
	v_or_b32_sdwa v134, v131, v128 dst_sel:DWORD dst_unused:UNUSED_PAD src0_sel:WORD_0 src1_sel:DWORD
	ds_read2_b32 v[128:129], v127 offset0:2 offset1:3
	ds_read2_b32 v[130:131], v130 offset1:1
	v_add_u32_e32 v123, 4, v123
	s_waitcnt lgkmcnt(1)
	v_ashrrev_i32_e32 v128, s25, v128
	s_waitcnt lgkmcnt(0)
	v_ashrrev_i32_e32 v130, s2, v130
	v_lshlrev_b32_e32 v130, 2, v130
	v_and_b32_e32 v135, 0x3030303, v128
	v_bfe_u32 v128, v128, 24, 2
	v_and_b32_e32 v130, 0x4040404, v130
	v_sub_u16_e32 v136, v135, v130
	v_sub_u16_sdwa v137, v135, v130 dst_sel:BYTE_1 dst_unused:UNUSED_PAD src0_sel:BYTE_1 src1_sel:BYTE_1
	v_sub_u16_sdwa v128, v128, v130 dst_sel:BYTE_1 dst_unused:UNUSED_PAD src0_sel:DWORD src1_sel:BYTE_3
	v_sub_u16_sdwa v130, v135, v130 dst_sel:DWORD dst_unused:UNUSED_PAD src0_sel:WORD_1 src1_sel:WORD_1
	v_or_b32_sdwa v136, v136, v137 dst_sel:DWORD dst_unused:UNUSED_PAD src0_sel:BYTE_0 src1_sel:DWORD
	v_or_b32_sdwa v128, v130, v128 dst_sel:WORD_1 dst_unused:UNUSED_PAD src0_sel:BYTE_0 src1_sel:DWORD
	v_ashrrev_i32_e32 v130, s2, v131
	v_or_b32_sdwa v135, v136, v128 dst_sel:DWORD dst_unused:UNUSED_PAD src0_sel:WORD_0 src1_sel:DWORD
	v_ashrrev_i32_e32 v128, s25, v129
	v_lshlrev_b32_e32 v130, 2, v130
	v_and_b32_e32 v129, 0x3030303, v128
	v_bfe_u32 v128, v128, 24, 2
	v_and_b32_e32 v130, 0x4040404, v130
	v_sub_u16_e32 v131, v129, v130
	v_sub_u16_sdwa v136, v129, v130 dst_sel:BYTE_1 dst_unused:UNUSED_PAD src0_sel:BYTE_1 src1_sel:BYTE_1
	v_sub_u16_sdwa v128, v128, v130 dst_sel:BYTE_1 dst_unused:UNUSED_PAD src0_sel:DWORD src1_sel:BYTE_3
	v_sub_u16_sdwa v129, v129, v130 dst_sel:DWORD dst_unused:UNUSED_PAD src0_sel:WORD_1 src1_sel:WORD_1
	v_or_b32_sdwa v131, v131, v136 dst_sel:DWORD dst_unused:UNUSED_PAD src0_sel:BYTE_0 src1_sel:DWORD
	v_or_b32_sdwa v128, v129, v128 dst_sel:WORD_1 dst_unused:UNUSED_PAD src0_sel:BYTE_0 src1_sel:DWORD
	v_add_u32_e32 v130, 0x4210, v133
	v_or_b32_sdwa v136, v131, v128 dst_sel:DWORD dst_unused:UNUSED_PAD src0_sel:WORD_0 src1_sel:DWORD
	ds_read2_b32 v[128:129], v127 offset0:4 offset1:5
	ds_read2_b32 v[130:131], v130 offset1:1
	s_waitcnt lgkmcnt(1)
	v_ashrrev_i32_e32 v128, s25, v128
	s_waitcnt lgkmcnt(0)
	v_ashrrev_i32_e32 v130, s2, v130
	v_lshlrev_b32_e32 v130, 2, v130
	v_and_b32_e32 v137, 0x3030303, v128
	v_bfe_u32 v128, v128, 24, 2
	v_and_b32_e32 v130, 0x4040404, v130
	v_sub_u16_e32 v138, v137, v130
	v_sub_u16_sdwa v139, v137, v130 dst_sel:BYTE_1 dst_unused:UNUSED_PAD src0_sel:BYTE_1 src1_sel:BYTE_1
	v_sub_u16_sdwa v128, v128, v130 dst_sel:BYTE_1 dst_unused:UNUSED_PAD src0_sel:DWORD src1_sel:BYTE_3
	v_sub_u16_sdwa v130, v137, v130 dst_sel:DWORD dst_unused:UNUSED_PAD src0_sel:WORD_1 src1_sel:WORD_1
	v_or_b32_sdwa v138, v138, v139 dst_sel:DWORD dst_unused:UNUSED_PAD src0_sel:BYTE_0 src1_sel:DWORD
	v_or_b32_sdwa v128, v130, v128 dst_sel:WORD_1 dst_unused:UNUSED_PAD src0_sel:BYTE_0 src1_sel:DWORD
	v_ashrrev_i32_e32 v130, s2, v131
	v_or_b32_sdwa v137, v138, v128 dst_sel:DWORD dst_unused:UNUSED_PAD src0_sel:WORD_0 src1_sel:DWORD
	v_ashrrev_i32_e32 v128, s25, v129
	v_lshlrev_b32_e32 v130, 2, v130
	v_and_b32_e32 v129, 0x3030303, v128
	v_bfe_u32 v128, v128, 24, 2
	v_and_b32_e32 v130, 0x4040404, v130
	v_sub_u16_e32 v131, v129, v130
	v_sub_u16_sdwa v138, v129, v130 dst_sel:BYTE_1 dst_unused:UNUSED_PAD src0_sel:BYTE_1 src1_sel:BYTE_1
	v_sub_u16_sdwa v128, v128, v130 dst_sel:BYTE_1 dst_unused:UNUSED_PAD src0_sel:DWORD src1_sel:BYTE_3
	v_sub_u16_sdwa v129, v129, v130 dst_sel:DWORD dst_unused:UNUSED_PAD src0_sel:WORD_1 src1_sel:WORD_1
	v_or_b32_sdwa v131, v131, v138 dst_sel:DWORD dst_unused:UNUSED_PAD src0_sel:BYTE_0 src1_sel:DWORD
	v_or_b32_sdwa v128, v129, v128 dst_sel:WORD_1 dst_unused:UNUSED_PAD src0_sel:BYTE_0 src1_sel:DWORD
	v_add_u32_e32 v130, 0x4218, v133
	v_or_b32_sdwa v138, v131, v128 dst_sel:DWORD dst_unused:UNUSED_PAD src0_sel:WORD_0 src1_sel:DWORD
	ds_read2_b32 v[128:129], v127 offset0:6 offset1:7
	ds_read2_b32 v[130:131], v130 offset1:1
	s_waitcnt lgkmcnt(1)
	v_ashrrev_i32_e32 v127, s25, v128
	s_waitcnt lgkmcnt(0)
	v_ashrrev_i32_e32 v130, s2, v130
	v_lshlrev_b32_e32 v130, 2, v130
	v_and_b32_e32 v128, 0x3030303, v127
	v_bfe_u32 v127, v127, 24, 2
	v_and_b32_e32 v130, 0x4040404, v130
	v_sub_u16_e32 v133, v128, v130
	v_sub_u16_sdwa v139, v128, v130 dst_sel:BYTE_1 dst_unused:UNUSED_PAD src0_sel:BYTE_1 src1_sel:BYTE_1
	v_sub_u16_sdwa v127, v127, v130 dst_sel:BYTE_1 dst_unused:UNUSED_PAD src0_sel:DWORD src1_sel:BYTE_3
	v_sub_u16_sdwa v128, v128, v130 dst_sel:DWORD dst_unused:UNUSED_PAD src0_sel:WORD_1 src1_sel:WORD_1
	v_ashrrev_i32_e32 v130, s2, v131
	v_or_b32_sdwa v127, v128, v127 dst_sel:WORD_1 dst_unused:UNUSED_PAD src0_sel:BYTE_0 src1_sel:DWORD
	v_ashrrev_i32_e32 v128, s25, v129
	v_lshlrev_b32_e32 v130, 2, v130
	v_or_b32_sdwa v133, v133, v139 dst_sel:DWORD dst_unused:UNUSED_PAD src0_sel:BYTE_0 src1_sel:DWORD
	v_and_b32_e32 v129, 0x3030303, v128
	v_bfe_u32 v128, v128, 24, 2
	v_and_b32_e32 v130, 0x4040404, v130
	v_or_b32_sdwa v127, v133, v127 dst_sel:DWORD dst_unused:UNUSED_PAD src0_sel:WORD_0 src1_sel:DWORD
	v_sub_u16_e32 v131, v129, v130
	v_sub_u16_sdwa v133, v129, v130 dst_sel:BYTE_1 dst_unused:UNUSED_PAD src0_sel:BYTE_1 src1_sel:BYTE_1
	v_sub_u16_sdwa v128, v128, v130 dst_sel:BYTE_1 dst_unused:UNUSED_PAD src0_sel:DWORD src1_sel:BYTE_3
	v_sub_u16_sdwa v129, v129, v130 dst_sel:DWORD dst_unused:UNUSED_PAD src0_sel:WORD_1 src1_sel:WORD_1
	v_or_b32_sdwa v131, v131, v133 dst_sel:DWORD dst_unused:UNUSED_PAD src0_sel:BYTE_0 src1_sel:DWORD
	v_or_b32_sdwa v128, v129, v128 dst_sel:WORD_1 dst_unused:UNUSED_PAD src0_sel:BYTE_0 src1_sel:DWORD
	v_add_u32_e32 v130, s37, v33
	v_or_b32_sdwa v129, v131, v128 dst_sel:DWORD dst_unused:UNUSED_PAD src0_sel:WORD_0 src1_sel:DWORD
	v_add3_u32 v128, v71, s24, v126
	ds_read_b32 v130, v130
	ds_read_u16 v128, v128 offset:25346
	v_mov_b32_e32 v131, 0
	v_dot4c_i32_i8_e32 v131, v132, v6
	v_dot4c_i32_i8_e32 v131, v134, v7
	;; [unrolled: 1-line block ×4, first 2 shown]
	s_waitcnt lgkmcnt(0)
	v_lshrrev_b16_e32 v132, 8, v128
	v_bfe_i32 v128, v128, 0, 8
	v_add_lshl_u32 v133, v35, s35, 2
	v_mul_lo_u32 v128, v131, v128
	v_mov_b32_e32 v131, 0
	v_dot4c_i32_i8_e32 v131, v137, v2
	v_dot4c_i32_i8_e32 v131, v138, v3
	;; [unrolled: 1-line block ×4, first 2 shown]
	v_bfe_i32 v127, v132, 0, 8
	s_nop 1
	v_mad_u64_u32 v[128:129], s[38:39], v131, v127, v[128:129]
	v_cvt_f32_i32_e32 v128, v128
	v_mul_f32_e32 v127, v125, v130
	v_add_u32_e32 v130, 0x4200, v133
	ds_read2_b32 v[130:131], v130 offset1:1
	v_fmac_f32_e32 v65, v127, v128
	v_add_u32_e32 v127, s36, v37
	ds_read2_b32 v[128:129], v127 offset1:1
	s_waitcnt lgkmcnt(1)
	v_ashrrev_i32_e32 v130, s2, v130
	v_lshlrev_b32_e32 v130, 2, v130
	v_and_b32_e32 v130, 0x4040404, v130
	s_waitcnt lgkmcnt(0)
	v_ashrrev_i32_e32 v128, s25, v128
	v_and_b32_e32 v132, 0x3030303, v128
	v_bfe_u32 v128, v128, 24, 2
	v_sub_u16_e32 v134, v132, v130
	v_sub_u16_sdwa v135, v132, v130 dst_sel:BYTE_1 dst_unused:UNUSED_PAD src0_sel:BYTE_1 src1_sel:BYTE_1
	v_sub_u16_sdwa v128, v128, v130 dst_sel:BYTE_1 dst_unused:UNUSED_PAD src0_sel:DWORD src1_sel:BYTE_3
	v_sub_u16_sdwa v130, v132, v130 dst_sel:DWORD dst_unused:UNUSED_PAD src0_sel:WORD_1 src1_sel:WORD_1
	v_or_b32_sdwa v134, v134, v135 dst_sel:DWORD dst_unused:UNUSED_PAD src0_sel:BYTE_0 src1_sel:DWORD
	v_or_b32_sdwa v128, v130, v128 dst_sel:WORD_1 dst_unused:UNUSED_PAD src0_sel:BYTE_0 src1_sel:DWORD
	v_ashrrev_i32_e32 v130, s2, v131
	v_or_b32_sdwa v132, v134, v128 dst_sel:DWORD dst_unused:UNUSED_PAD src0_sel:WORD_0 src1_sel:DWORD
	v_ashrrev_i32_e32 v128, s25, v129
	v_lshlrev_b32_e32 v130, 2, v130
	v_and_b32_e32 v129, 0x3030303, v128
	v_bfe_u32 v128, v128, 24, 2
	v_and_b32_e32 v130, 0x4040404, v130
	v_sub_u16_e32 v131, v129, v130
	v_sub_u16_sdwa v134, v129, v130 dst_sel:BYTE_1 dst_unused:UNUSED_PAD src0_sel:BYTE_1 src1_sel:BYTE_1
	v_sub_u16_sdwa v128, v128, v130 dst_sel:BYTE_1 dst_unused:UNUSED_PAD src0_sel:DWORD src1_sel:BYTE_3
	v_sub_u16_sdwa v129, v129, v130 dst_sel:DWORD dst_unused:UNUSED_PAD src0_sel:WORD_1 src1_sel:WORD_1
	v_or_b32_sdwa v131, v131, v134 dst_sel:DWORD dst_unused:UNUSED_PAD src0_sel:BYTE_0 src1_sel:DWORD
	v_or_b32_sdwa v128, v129, v128 dst_sel:WORD_1 dst_unused:UNUSED_PAD src0_sel:BYTE_0 src1_sel:DWORD
	v_add_u32_e32 v130, 0x4208, v133
	v_or_b32_sdwa v134, v131, v128 dst_sel:DWORD dst_unused:UNUSED_PAD src0_sel:WORD_0 src1_sel:DWORD
	ds_read2_b32 v[128:129], v127 offset0:2 offset1:3
	ds_read2_b32 v[130:131], v130 offset1:1
	s_waitcnt lgkmcnt(1)
	v_ashrrev_i32_e32 v128, s25, v128
	s_waitcnt lgkmcnt(0)
	v_ashrrev_i32_e32 v130, s2, v130
	v_lshlrev_b32_e32 v130, 2, v130
	v_and_b32_e32 v135, 0x3030303, v128
	v_bfe_u32 v128, v128, 24, 2
	v_and_b32_e32 v130, 0x4040404, v130
	v_sub_u16_e32 v136, v135, v130
	v_sub_u16_sdwa v137, v135, v130 dst_sel:BYTE_1 dst_unused:UNUSED_PAD src0_sel:BYTE_1 src1_sel:BYTE_1
	v_sub_u16_sdwa v128, v128, v130 dst_sel:BYTE_1 dst_unused:UNUSED_PAD src0_sel:DWORD src1_sel:BYTE_3
	v_sub_u16_sdwa v130, v135, v130 dst_sel:DWORD dst_unused:UNUSED_PAD src0_sel:WORD_1 src1_sel:WORD_1
	v_or_b32_sdwa v136, v136, v137 dst_sel:DWORD dst_unused:UNUSED_PAD src0_sel:BYTE_0 src1_sel:DWORD
	v_or_b32_sdwa v128, v130, v128 dst_sel:WORD_1 dst_unused:UNUSED_PAD src0_sel:BYTE_0 src1_sel:DWORD
	v_ashrrev_i32_e32 v130, s2, v131
	v_or_b32_sdwa v135, v136, v128 dst_sel:DWORD dst_unused:UNUSED_PAD src0_sel:WORD_0 src1_sel:DWORD
	v_ashrrev_i32_e32 v128, s25, v129
	v_lshlrev_b32_e32 v130, 2, v130
	v_and_b32_e32 v129, 0x3030303, v128
	v_bfe_u32 v128, v128, 24, 2
	v_and_b32_e32 v130, 0x4040404, v130
	v_sub_u16_e32 v131, v129, v130
	v_sub_u16_sdwa v136, v129, v130 dst_sel:BYTE_1 dst_unused:UNUSED_PAD src0_sel:BYTE_1 src1_sel:BYTE_1
	v_sub_u16_sdwa v128, v128, v130 dst_sel:BYTE_1 dst_unused:UNUSED_PAD src0_sel:DWORD src1_sel:BYTE_3
	v_sub_u16_sdwa v129, v129, v130 dst_sel:DWORD dst_unused:UNUSED_PAD src0_sel:WORD_1 src1_sel:WORD_1
	v_or_b32_sdwa v131, v131, v136 dst_sel:DWORD dst_unused:UNUSED_PAD src0_sel:BYTE_0 src1_sel:DWORD
	v_or_b32_sdwa v128, v129, v128 dst_sel:WORD_1 dst_unused:UNUSED_PAD src0_sel:BYTE_0 src1_sel:DWORD
	v_add_u32_e32 v130, 0x4210, v133
	v_or_b32_sdwa v136, v131, v128 dst_sel:DWORD dst_unused:UNUSED_PAD src0_sel:WORD_0 src1_sel:DWORD
	ds_read2_b32 v[128:129], v127 offset0:4 offset1:5
	ds_read2_b32 v[130:131], v130 offset1:1
	s_waitcnt lgkmcnt(1)
	v_ashrrev_i32_e32 v128, s25, v128
	s_waitcnt lgkmcnt(0)
	v_ashrrev_i32_e32 v130, s2, v130
	v_lshlrev_b32_e32 v130, 2, v130
	v_and_b32_e32 v137, 0x3030303, v128
	v_bfe_u32 v128, v128, 24, 2
	v_and_b32_e32 v130, 0x4040404, v130
	;; [unrolled: 31-line block ×3, first 2 shown]
	v_sub_u16_e32 v133, v128, v130
	v_sub_u16_sdwa v139, v128, v130 dst_sel:BYTE_1 dst_unused:UNUSED_PAD src0_sel:BYTE_1 src1_sel:BYTE_1
	v_sub_u16_sdwa v127, v127, v130 dst_sel:BYTE_1 dst_unused:UNUSED_PAD src0_sel:DWORD src1_sel:BYTE_3
	v_sub_u16_sdwa v128, v128, v130 dst_sel:DWORD dst_unused:UNUSED_PAD src0_sel:WORD_1 src1_sel:WORD_1
	v_ashrrev_i32_e32 v130, s2, v131
	v_or_b32_sdwa v127, v128, v127 dst_sel:WORD_1 dst_unused:UNUSED_PAD src0_sel:BYTE_0 src1_sel:DWORD
	v_ashrrev_i32_e32 v128, s25, v129
	v_lshlrev_b32_e32 v130, 2, v130
	v_or_b32_sdwa v133, v133, v139 dst_sel:DWORD dst_unused:UNUSED_PAD src0_sel:BYTE_0 src1_sel:DWORD
	v_and_b32_e32 v129, 0x3030303, v128
	v_bfe_u32 v128, v128, 24, 2
	v_and_b32_e32 v130, 0x4040404, v130
	v_or_b32_sdwa v127, v133, v127 dst_sel:DWORD dst_unused:UNUSED_PAD src0_sel:WORD_0 src1_sel:DWORD
	v_sub_u16_e32 v131, v129, v130
	v_sub_u16_sdwa v133, v129, v130 dst_sel:BYTE_1 dst_unused:UNUSED_PAD src0_sel:BYTE_1 src1_sel:BYTE_1
	v_sub_u16_sdwa v128, v128, v130 dst_sel:BYTE_1 dst_unused:UNUSED_PAD src0_sel:DWORD src1_sel:BYTE_3
	v_sub_u16_sdwa v129, v129, v130 dst_sel:DWORD dst_unused:UNUSED_PAD src0_sel:WORD_1 src1_sel:WORD_1
	v_or_b32_sdwa v131, v131, v133 dst_sel:DWORD dst_unused:UNUSED_PAD src0_sel:BYTE_0 src1_sel:DWORD
	v_or_b32_sdwa v128, v129, v128 dst_sel:WORD_1 dst_unused:UNUSED_PAD src0_sel:BYTE_0 src1_sel:DWORD
	v_add_u32_e32 v130, s37, v39
	v_or_b32_sdwa v129, v131, v128 dst_sel:DWORD dst_unused:UNUSED_PAD src0_sel:WORD_0 src1_sel:DWORD
	v_add3_u32 v128, v69, s24, v126
	ds_read_b32 v130, v130
	ds_read_u16 v128, v128 offset:26370
	v_mov_b32_e32 v131, 0
	v_dot4c_i32_i8_e32 v131, v132, v6
	v_dot4c_i32_i8_e32 v131, v134, v7
	;; [unrolled: 1-line block ×4, first 2 shown]
	s_waitcnt lgkmcnt(0)
	v_lshrrev_b16_e32 v132, 8, v128
	v_bfe_i32 v128, v128, 0, 8
	v_add_lshl_u32 v133, v41, s35, 2
	v_mul_lo_u32 v128, v131, v128
	v_mov_b32_e32 v131, 0
	v_dot4c_i32_i8_e32 v131, v137, v2
	v_dot4c_i32_i8_e32 v131, v138, v3
	;; [unrolled: 1-line block ×4, first 2 shown]
	v_bfe_i32 v127, v132, 0, 8
	s_nop 1
	v_mad_u64_u32 v[128:129], s[38:39], v131, v127, v[128:129]
	v_cvt_f32_i32_e32 v128, v128
	v_mul_f32_e32 v127, v125, v130
	v_add_u32_e32 v130, 0x4200, v133
	ds_read2_b32 v[130:131], v130 offset1:1
	v_fmac_f32_e32 v61, v127, v128
	v_add_u32_e32 v127, s36, v43
	ds_read2_b32 v[128:129], v127 offset1:1
	s_waitcnt lgkmcnt(1)
	v_ashrrev_i32_e32 v130, s2, v130
	v_lshlrev_b32_e32 v130, 2, v130
	v_and_b32_e32 v130, 0x4040404, v130
	s_waitcnt lgkmcnt(0)
	v_ashrrev_i32_e32 v128, s25, v128
	v_and_b32_e32 v132, 0x3030303, v128
	v_bfe_u32 v128, v128, 24, 2
	v_sub_u16_e32 v134, v132, v130
	v_sub_u16_sdwa v135, v132, v130 dst_sel:BYTE_1 dst_unused:UNUSED_PAD src0_sel:BYTE_1 src1_sel:BYTE_1
	v_sub_u16_sdwa v128, v128, v130 dst_sel:BYTE_1 dst_unused:UNUSED_PAD src0_sel:DWORD src1_sel:BYTE_3
	v_sub_u16_sdwa v130, v132, v130 dst_sel:DWORD dst_unused:UNUSED_PAD src0_sel:WORD_1 src1_sel:WORD_1
	v_or_b32_sdwa v134, v134, v135 dst_sel:DWORD dst_unused:UNUSED_PAD src0_sel:BYTE_0 src1_sel:DWORD
	v_or_b32_sdwa v128, v130, v128 dst_sel:WORD_1 dst_unused:UNUSED_PAD src0_sel:BYTE_0 src1_sel:DWORD
	v_ashrrev_i32_e32 v130, s2, v131
	v_or_b32_sdwa v132, v134, v128 dst_sel:DWORD dst_unused:UNUSED_PAD src0_sel:WORD_0 src1_sel:DWORD
	v_ashrrev_i32_e32 v128, s25, v129
	v_lshlrev_b32_e32 v130, 2, v130
	v_and_b32_e32 v129, 0x3030303, v128
	v_bfe_u32 v128, v128, 24, 2
	v_and_b32_e32 v130, 0x4040404, v130
	v_sub_u16_e32 v131, v129, v130
	v_sub_u16_sdwa v134, v129, v130 dst_sel:BYTE_1 dst_unused:UNUSED_PAD src0_sel:BYTE_1 src1_sel:BYTE_1
	v_sub_u16_sdwa v128, v128, v130 dst_sel:BYTE_1 dst_unused:UNUSED_PAD src0_sel:DWORD src1_sel:BYTE_3
	v_sub_u16_sdwa v129, v129, v130 dst_sel:DWORD dst_unused:UNUSED_PAD src0_sel:WORD_1 src1_sel:WORD_1
	v_or_b32_sdwa v131, v131, v134 dst_sel:DWORD dst_unused:UNUSED_PAD src0_sel:BYTE_0 src1_sel:DWORD
	v_or_b32_sdwa v128, v129, v128 dst_sel:WORD_1 dst_unused:UNUSED_PAD src0_sel:BYTE_0 src1_sel:DWORD
	v_add_u32_e32 v130, 0x4208, v133
	v_or_b32_sdwa v134, v131, v128 dst_sel:DWORD dst_unused:UNUSED_PAD src0_sel:WORD_0 src1_sel:DWORD
	ds_read2_b32 v[128:129], v127 offset0:2 offset1:3
	ds_read2_b32 v[130:131], v130 offset1:1
	s_waitcnt lgkmcnt(1)
	v_ashrrev_i32_e32 v128, s25, v128
	s_waitcnt lgkmcnt(0)
	v_ashrrev_i32_e32 v130, s2, v130
	v_lshlrev_b32_e32 v130, 2, v130
	v_and_b32_e32 v135, 0x3030303, v128
	v_bfe_u32 v128, v128, 24, 2
	v_and_b32_e32 v130, 0x4040404, v130
	v_sub_u16_e32 v136, v135, v130
	v_sub_u16_sdwa v137, v135, v130 dst_sel:BYTE_1 dst_unused:UNUSED_PAD src0_sel:BYTE_1 src1_sel:BYTE_1
	v_sub_u16_sdwa v128, v128, v130 dst_sel:BYTE_1 dst_unused:UNUSED_PAD src0_sel:DWORD src1_sel:BYTE_3
	v_sub_u16_sdwa v130, v135, v130 dst_sel:DWORD dst_unused:UNUSED_PAD src0_sel:WORD_1 src1_sel:WORD_1
	v_or_b32_sdwa v136, v136, v137 dst_sel:DWORD dst_unused:UNUSED_PAD src0_sel:BYTE_0 src1_sel:DWORD
	v_or_b32_sdwa v128, v130, v128 dst_sel:WORD_1 dst_unused:UNUSED_PAD src0_sel:BYTE_0 src1_sel:DWORD
	v_ashrrev_i32_e32 v130, s2, v131
	v_or_b32_sdwa v135, v136, v128 dst_sel:DWORD dst_unused:UNUSED_PAD src0_sel:WORD_0 src1_sel:DWORD
	v_ashrrev_i32_e32 v128, s25, v129
	v_lshlrev_b32_e32 v130, 2, v130
	v_and_b32_e32 v129, 0x3030303, v128
	v_bfe_u32 v128, v128, 24, 2
	v_and_b32_e32 v130, 0x4040404, v130
	v_sub_u16_e32 v131, v129, v130
	v_sub_u16_sdwa v136, v129, v130 dst_sel:BYTE_1 dst_unused:UNUSED_PAD src0_sel:BYTE_1 src1_sel:BYTE_1
	v_sub_u16_sdwa v128, v128, v130 dst_sel:BYTE_1 dst_unused:UNUSED_PAD src0_sel:DWORD src1_sel:BYTE_3
	v_sub_u16_sdwa v129, v129, v130 dst_sel:DWORD dst_unused:UNUSED_PAD src0_sel:WORD_1 src1_sel:WORD_1
	v_or_b32_sdwa v131, v131, v136 dst_sel:DWORD dst_unused:UNUSED_PAD src0_sel:BYTE_0 src1_sel:DWORD
	v_or_b32_sdwa v128, v129, v128 dst_sel:WORD_1 dst_unused:UNUSED_PAD src0_sel:BYTE_0 src1_sel:DWORD
	v_add_u32_e32 v130, 0x4210, v133
	v_or_b32_sdwa v136, v131, v128 dst_sel:DWORD dst_unused:UNUSED_PAD src0_sel:WORD_0 src1_sel:DWORD
	ds_read2_b32 v[128:129], v127 offset0:4 offset1:5
	ds_read2_b32 v[130:131], v130 offset1:1
	s_waitcnt lgkmcnt(1)
	v_ashrrev_i32_e32 v128, s25, v128
	s_waitcnt lgkmcnt(0)
	v_ashrrev_i32_e32 v130, s2, v130
	v_lshlrev_b32_e32 v130, 2, v130
	v_and_b32_e32 v137, 0x3030303, v128
	v_bfe_u32 v128, v128, 24, 2
	v_and_b32_e32 v130, 0x4040404, v130
	;; [unrolled: 31-line block ×3, first 2 shown]
	v_sub_u16_e32 v133, v128, v130
	v_sub_u16_sdwa v139, v128, v130 dst_sel:BYTE_1 dst_unused:UNUSED_PAD src0_sel:BYTE_1 src1_sel:BYTE_1
	v_sub_u16_sdwa v127, v127, v130 dst_sel:BYTE_1 dst_unused:UNUSED_PAD src0_sel:DWORD src1_sel:BYTE_3
	v_sub_u16_sdwa v128, v128, v130 dst_sel:DWORD dst_unused:UNUSED_PAD src0_sel:WORD_1 src1_sel:WORD_1
	v_ashrrev_i32_e32 v130, s2, v131
	v_or_b32_sdwa v127, v128, v127 dst_sel:WORD_1 dst_unused:UNUSED_PAD src0_sel:BYTE_0 src1_sel:DWORD
	v_ashrrev_i32_e32 v128, s25, v129
	v_lshlrev_b32_e32 v130, 2, v130
	v_or_b32_sdwa v133, v133, v139 dst_sel:DWORD dst_unused:UNUSED_PAD src0_sel:BYTE_0 src1_sel:DWORD
	v_and_b32_e32 v129, 0x3030303, v128
	v_bfe_u32 v128, v128, 24, 2
	v_and_b32_e32 v130, 0x4040404, v130
	v_or_b32_sdwa v127, v133, v127 dst_sel:DWORD dst_unused:UNUSED_PAD src0_sel:WORD_0 src1_sel:DWORD
	v_sub_u16_e32 v131, v129, v130
	v_sub_u16_sdwa v133, v129, v130 dst_sel:BYTE_1 dst_unused:UNUSED_PAD src0_sel:BYTE_1 src1_sel:BYTE_1
	v_sub_u16_sdwa v128, v128, v130 dst_sel:BYTE_1 dst_unused:UNUSED_PAD src0_sel:DWORD src1_sel:BYTE_3
	v_sub_u16_sdwa v129, v129, v130 dst_sel:DWORD dst_unused:UNUSED_PAD src0_sel:WORD_1 src1_sel:WORD_1
	v_or_b32_sdwa v131, v131, v133 dst_sel:DWORD dst_unused:UNUSED_PAD src0_sel:BYTE_0 src1_sel:DWORD
	v_or_b32_sdwa v128, v129, v128 dst_sel:WORD_1 dst_unused:UNUSED_PAD src0_sel:BYTE_0 src1_sel:DWORD
	v_add_u32_e32 v130, s37, v45
	v_or_b32_sdwa v129, v131, v128 dst_sel:DWORD dst_unused:UNUSED_PAD src0_sel:WORD_0 src1_sel:DWORD
	v_add3_u32 v128, v67, s24, v126
	ds_read_b32 v130, v130
	ds_read_u16 v128, v128 offset:27394
	v_mov_b32_e32 v131, 0
	v_dot4c_i32_i8_e32 v131, v132, v6
	v_dot4c_i32_i8_e32 v131, v134, v7
	;; [unrolled: 1-line block ×4, first 2 shown]
	s_waitcnt lgkmcnt(0)
	v_lshrrev_b16_e32 v132, 8, v128
	v_bfe_i32 v128, v128, 0, 8
	v_add_lshl_u32 v133, v47, s35, 2
	v_mul_lo_u32 v128, v131, v128
	v_mov_b32_e32 v131, 0
	v_dot4c_i32_i8_e32 v131, v137, v2
	v_dot4c_i32_i8_e32 v131, v138, v3
	;; [unrolled: 1-line block ×4, first 2 shown]
	v_bfe_i32 v127, v132, 0, 8
	v_add3_u32 v126, v63, s24, v126
	s_mov_b32 s24, s25
	v_mad_u64_u32 v[128:129], s[38:39], v131, v127, v[128:129]
	v_cvt_f32_i32_e32 v128, v128
	v_mul_f32_e32 v127, v125, v130
	v_add_u32_e32 v130, 0x4200, v133
	ds_read2_b32 v[130:131], v130 offset1:1
	v_fmac_f32_e32 v59, v127, v128
	v_add_u32_e32 v127, s36, v49
	ds_read2_b32 v[128:129], v127 offset1:1
	s_waitcnt lgkmcnt(1)
	v_ashrrev_i32_e32 v130, s2, v130
	v_lshlrev_b32_e32 v130, 2, v130
	v_and_b32_e32 v130, 0x4040404, v130
	s_waitcnt lgkmcnt(0)
	v_ashrrev_i32_e32 v128, s25, v128
	v_and_b32_e32 v132, 0x3030303, v128
	v_bfe_u32 v128, v128, 24, 2
	v_sub_u16_e32 v134, v132, v130
	v_sub_u16_sdwa v135, v132, v130 dst_sel:BYTE_1 dst_unused:UNUSED_PAD src0_sel:BYTE_1 src1_sel:BYTE_1
	v_sub_u16_sdwa v128, v128, v130 dst_sel:BYTE_1 dst_unused:UNUSED_PAD src0_sel:DWORD src1_sel:BYTE_3
	v_sub_u16_sdwa v130, v132, v130 dst_sel:DWORD dst_unused:UNUSED_PAD src0_sel:WORD_1 src1_sel:WORD_1
	v_or_b32_sdwa v134, v134, v135 dst_sel:DWORD dst_unused:UNUSED_PAD src0_sel:BYTE_0 src1_sel:DWORD
	v_or_b32_sdwa v128, v130, v128 dst_sel:WORD_1 dst_unused:UNUSED_PAD src0_sel:BYTE_0 src1_sel:DWORD
	v_ashrrev_i32_e32 v130, s2, v131
	v_or_b32_sdwa v132, v134, v128 dst_sel:DWORD dst_unused:UNUSED_PAD src0_sel:WORD_0 src1_sel:DWORD
	v_ashrrev_i32_e32 v128, s25, v129
	v_lshlrev_b32_e32 v130, 2, v130
	v_and_b32_e32 v129, 0x3030303, v128
	v_bfe_u32 v128, v128, 24, 2
	v_and_b32_e32 v130, 0x4040404, v130
	v_sub_u16_e32 v131, v129, v130
	v_sub_u16_sdwa v134, v129, v130 dst_sel:BYTE_1 dst_unused:UNUSED_PAD src0_sel:BYTE_1 src1_sel:BYTE_1
	v_sub_u16_sdwa v128, v128, v130 dst_sel:BYTE_1 dst_unused:UNUSED_PAD src0_sel:DWORD src1_sel:BYTE_3
	v_sub_u16_sdwa v129, v129, v130 dst_sel:DWORD dst_unused:UNUSED_PAD src0_sel:WORD_1 src1_sel:WORD_1
	v_or_b32_sdwa v131, v131, v134 dst_sel:DWORD dst_unused:UNUSED_PAD src0_sel:BYTE_0 src1_sel:DWORD
	v_or_b32_sdwa v128, v129, v128 dst_sel:WORD_1 dst_unused:UNUSED_PAD src0_sel:BYTE_0 src1_sel:DWORD
	v_add_u32_e32 v130, 0x4208, v133
	v_or_b32_sdwa v134, v131, v128 dst_sel:DWORD dst_unused:UNUSED_PAD src0_sel:WORD_0 src1_sel:DWORD
	ds_read2_b32 v[128:129], v127 offset0:2 offset1:3
	ds_read2_b32 v[130:131], v130 offset1:1
	s_waitcnt lgkmcnt(1)
	v_ashrrev_i32_e32 v128, s25, v128
	s_waitcnt lgkmcnt(0)
	v_ashrrev_i32_e32 v130, s2, v130
	v_lshlrev_b32_e32 v130, 2, v130
	v_and_b32_e32 v135, 0x3030303, v128
	v_bfe_u32 v128, v128, 24, 2
	v_and_b32_e32 v130, 0x4040404, v130
	v_sub_u16_e32 v136, v135, v130
	v_sub_u16_sdwa v137, v135, v130 dst_sel:BYTE_1 dst_unused:UNUSED_PAD src0_sel:BYTE_1 src1_sel:BYTE_1
	v_sub_u16_sdwa v128, v128, v130 dst_sel:BYTE_1 dst_unused:UNUSED_PAD src0_sel:DWORD src1_sel:BYTE_3
	v_sub_u16_sdwa v130, v135, v130 dst_sel:DWORD dst_unused:UNUSED_PAD src0_sel:WORD_1 src1_sel:WORD_1
	v_or_b32_sdwa v136, v136, v137 dst_sel:DWORD dst_unused:UNUSED_PAD src0_sel:BYTE_0 src1_sel:DWORD
	v_or_b32_sdwa v128, v130, v128 dst_sel:WORD_1 dst_unused:UNUSED_PAD src0_sel:BYTE_0 src1_sel:DWORD
	v_ashrrev_i32_e32 v130, s2, v131
	v_or_b32_sdwa v135, v136, v128 dst_sel:DWORD dst_unused:UNUSED_PAD src0_sel:WORD_0 src1_sel:DWORD
	v_ashrrev_i32_e32 v128, s25, v129
	v_lshlrev_b32_e32 v130, 2, v130
	v_and_b32_e32 v129, 0x3030303, v128
	v_bfe_u32 v128, v128, 24, 2
	v_and_b32_e32 v130, 0x4040404, v130
	v_sub_u16_e32 v131, v129, v130
	v_sub_u16_sdwa v136, v129, v130 dst_sel:BYTE_1 dst_unused:UNUSED_PAD src0_sel:BYTE_1 src1_sel:BYTE_1
	v_sub_u16_sdwa v128, v128, v130 dst_sel:BYTE_1 dst_unused:UNUSED_PAD src0_sel:DWORD src1_sel:BYTE_3
	v_sub_u16_sdwa v129, v129, v130 dst_sel:DWORD dst_unused:UNUSED_PAD src0_sel:WORD_1 src1_sel:WORD_1
	v_or_b32_sdwa v131, v131, v136 dst_sel:DWORD dst_unused:UNUSED_PAD src0_sel:BYTE_0 src1_sel:DWORD
	v_or_b32_sdwa v128, v129, v128 dst_sel:WORD_1 dst_unused:UNUSED_PAD src0_sel:BYTE_0 src1_sel:DWORD
	v_add_u32_e32 v130, 0x4210, v133
	v_or_b32_sdwa v136, v131, v128 dst_sel:DWORD dst_unused:UNUSED_PAD src0_sel:WORD_0 src1_sel:DWORD
	ds_read2_b32 v[128:129], v127 offset0:4 offset1:5
	ds_read2_b32 v[130:131], v130 offset1:1
	s_waitcnt lgkmcnt(1)
	v_ashrrev_i32_e32 v128, s25, v128
	s_waitcnt lgkmcnt(0)
	v_ashrrev_i32_e32 v130, s2, v130
	v_lshlrev_b32_e32 v130, 2, v130
	v_and_b32_e32 v137, 0x3030303, v128
	v_bfe_u32 v128, v128, 24, 2
	v_and_b32_e32 v130, 0x4040404, v130
	v_sub_u16_e32 v138, v137, v130
	v_sub_u16_sdwa v139, v137, v130 dst_sel:BYTE_1 dst_unused:UNUSED_PAD src0_sel:BYTE_1 src1_sel:BYTE_1
	v_sub_u16_sdwa v128, v128, v130 dst_sel:BYTE_1 dst_unused:UNUSED_PAD src0_sel:DWORD src1_sel:BYTE_3
	v_sub_u16_sdwa v130, v137, v130 dst_sel:DWORD dst_unused:UNUSED_PAD src0_sel:WORD_1 src1_sel:WORD_1
	v_or_b32_sdwa v138, v138, v139 dst_sel:DWORD dst_unused:UNUSED_PAD src0_sel:BYTE_0 src1_sel:DWORD
	v_or_b32_sdwa v128, v130, v128 dst_sel:WORD_1 dst_unused:UNUSED_PAD src0_sel:BYTE_0 src1_sel:DWORD
	v_ashrrev_i32_e32 v130, s2, v131
	v_or_b32_sdwa v137, v138, v128 dst_sel:DWORD dst_unused:UNUSED_PAD src0_sel:WORD_0 src1_sel:DWORD
	v_ashrrev_i32_e32 v128, s25, v129
	v_lshlrev_b32_e32 v130, 2, v130
	v_and_b32_e32 v129, 0x3030303, v128
	v_bfe_u32 v128, v128, 24, 2
	v_and_b32_e32 v130, 0x4040404, v130
	v_sub_u16_e32 v131, v129, v130
	v_sub_u16_sdwa v138, v129, v130 dst_sel:BYTE_1 dst_unused:UNUSED_PAD src0_sel:BYTE_1 src1_sel:BYTE_1
	v_sub_u16_sdwa v128, v128, v130 dst_sel:BYTE_1 dst_unused:UNUSED_PAD src0_sel:DWORD src1_sel:BYTE_3
	v_sub_u16_sdwa v129, v129, v130 dst_sel:DWORD dst_unused:UNUSED_PAD src0_sel:WORD_1 src1_sel:WORD_1
	v_or_b32_sdwa v131, v131, v138 dst_sel:DWORD dst_unused:UNUSED_PAD src0_sel:BYTE_0 src1_sel:DWORD
	v_or_b32_sdwa v128, v129, v128 dst_sel:WORD_1 dst_unused:UNUSED_PAD src0_sel:BYTE_0 src1_sel:DWORD
	v_add_u32_e32 v130, 0x4218, v133
	v_or_b32_sdwa v138, v131, v128 dst_sel:DWORD dst_unused:UNUSED_PAD src0_sel:WORD_0 src1_sel:DWORD
	ds_read2_b32 v[128:129], v127 offset0:6 offset1:7
	ds_read2_b32 v[130:131], v130 offset1:1
	s_waitcnt lgkmcnt(1)
	v_ashrrev_i32_e32 v127, s25, v128
	s_waitcnt lgkmcnt(0)
	v_ashrrev_i32_e32 v130, s2, v130
	v_lshlrev_b32_e32 v130, 2, v130
	v_and_b32_e32 v128, 0x3030303, v127
	v_bfe_u32 v127, v127, 24, 2
	v_and_b32_e32 v130, 0x4040404, v130
	v_sub_u16_e32 v133, v128, v130
	v_sub_u16_sdwa v139, v128, v130 dst_sel:BYTE_1 dst_unused:UNUSED_PAD src0_sel:BYTE_1 src1_sel:BYTE_1
	v_sub_u16_sdwa v127, v127, v130 dst_sel:BYTE_1 dst_unused:UNUSED_PAD src0_sel:DWORD src1_sel:BYTE_3
	v_sub_u16_sdwa v128, v128, v130 dst_sel:DWORD dst_unused:UNUSED_PAD src0_sel:WORD_1 src1_sel:WORD_1
	v_ashrrev_i32_e32 v130, s2, v131
	v_or_b32_sdwa v127, v128, v127 dst_sel:WORD_1 dst_unused:UNUSED_PAD src0_sel:BYTE_0 src1_sel:DWORD
	v_ashrrev_i32_e32 v128, s25, v129
	v_lshlrev_b32_e32 v130, 2, v130
	v_or_b32_sdwa v133, v133, v139 dst_sel:DWORD dst_unused:UNUSED_PAD src0_sel:BYTE_0 src1_sel:DWORD
	v_and_b32_e32 v129, 0x3030303, v128
	v_bfe_u32 v128, v128, 24, 2
	v_and_b32_e32 v130, 0x4040404, v130
	v_or_b32_sdwa v127, v133, v127 dst_sel:DWORD dst_unused:UNUSED_PAD src0_sel:WORD_0 src1_sel:DWORD
	v_sub_u16_e32 v131, v129, v130
	v_sub_u16_sdwa v133, v129, v130 dst_sel:BYTE_1 dst_unused:UNUSED_PAD src0_sel:BYTE_1 src1_sel:BYTE_1
	v_sub_u16_sdwa v128, v128, v130 dst_sel:BYTE_1 dst_unused:UNUSED_PAD src0_sel:DWORD src1_sel:BYTE_3
	v_sub_u16_sdwa v129, v129, v130 dst_sel:DWORD dst_unused:UNUSED_PAD src0_sel:WORD_1 src1_sel:WORD_1
	v_or_b32_sdwa v128, v129, v128 dst_sel:WORD_1 dst_unused:UNUSED_PAD src0_sel:BYTE_0 src1_sel:DWORD
	v_add_u32_e32 v129, s37, v51
	v_mov_b32_e32 v130, 0
	ds_read_b32 v129, v129
	v_dot4c_i32_i8_e32 v130, v132, v6
	ds_read_u16 v6, v126 offset:28418
	v_dot4c_i32_i8_e32 v130, v134, v7
	v_dot4c_i32_i8_e32 v130, v135, v8
	v_mov_b32_e32 v8, 0
	v_dot4c_i32_i8_e32 v8, v137, v2
	v_or_b32_sdwa v131, v131, v133 dst_sel:DWORD dst_unused:UNUSED_PAD src0_sel:BYTE_0 src1_sel:DWORD
	v_dot4c_i32_i8_e32 v8, v138, v3
	v_or_b32_sdwa v128, v131, v128 dst_sel:DWORD dst_unused:UNUSED_PAD src0_sel:WORD_0 src1_sel:DWORD
	v_dot4c_i32_i8_e32 v130, v136, v9
	s_waitcnt lgkmcnt(0)
	v_lshrrev_b16_e32 v7, 8, v6
	v_bfe_i32 v6, v6, 0, 8
	v_dot4c_i32_i8_e32 v8, v127, v4
	v_mul_lo_u32 v6, v130, v6
	v_dot4c_i32_i8_e32 v8, v128, v5
	v_bfe_i32 v2, v7, 0, 8
	s_add_i32 s2, s2, 1
	s_cmp_lt_u32 s25, 6
	v_mad_u64_u32 v[2:3], s[36:37], v8, v2, v[6:7]
	v_cvt_f32_i32_e32 v2, v2
	v_mul_f32_e32 v3, v125, v129
	v_fmac_f32_e32 v11, v3, v2
	s_cbranch_scc1 .LBB190_12
; %bb.13:                               ;   in Loop: Header=BB190_5 Depth=1
	s_or_b32 s2, s34, 0x80
	s_cmp_ge_i32 s2, s5
	s_barrier
	s_cbranch_scc1 .LBB190_4
; %bb.14:                               ;   in Loop: Header=BB190_5 Depth=1
	v_add_u32_e32 v2, s33, v53
	v_cmp_gt_i32_e64 s[2:3], s8, v2
	s_and_b64 s[24:25], s[0:1], s[2:3]
	s_and_saveexec_b64 s[2:3], s[24:25]
	s_cbranch_execz .LBB190_16
; %bb.15:                               ;   in Loop: Header=BB190_5 Depth=1
	v_add_u32_e32 v2, v116, v2
	v_mad_i64_i32 v[2:3], s[24:25], v2, 36, v[114:115]
	global_load_dword v2, v[2:3], off offset:4
	s_waitcnt vmcnt(0)
	ds_write_b32 v23, v2
.LBB190_16:                             ;   in Loop: Header=BB190_5 Depth=1
	s_or_b64 exec, exec, s[2:3]
	s_and_saveexec_b64 s[24:25], vcc
	s_cbranch_execz .LBB190_19
; %bb.17:                               ;   in Loop: Header=BB190_5 Depth=1
	v_or_b32_e32 v2, s33, v15
	v_or_b32_e32 v3, 4, v2
	v_cmp_gt_i32_e64 s[2:3], s8, v3
	s_and_b64 s[2:3], s[0:1], s[2:3]
	s_and_b64 exec, exec, s[2:3]
	s_cbranch_execz .LBB190_19
; %bb.18:                               ;   in Loop: Header=BB190_5 Depth=1
	v_ashrrev_i32_e32 v3, 31, v2
	v_lshl_add_u64 v[2:3], v[116:117], 0, v[2:3]
	v_mad_u64_u32 v[4:5], s[2:3], v2, 36, s[12:13]
	v_mad_i32_i24 v5, v3, 36, v5
	global_load_dword v2, v[4:5], off
	s_waitcnt vmcnt(0)
	v_cvt_f32_f16_e32 v2, v2
	ds_write_b32 v25, v2
.LBB190_19:                             ;   in Loop: Header=BB190_5 Depth=1
	s_or_b64 exec, exec, s[24:25]
	s_mov_b32 s2, 8
	s_mov_b32 s3, 0
	;; [unrolled: 1-line block ×3, first 2 shown]
	v_mov_b32_e32 v123, v73
	v_mov_b32_e32 v124, v75
	s_waitcnt lgkmcnt(0)
	s_barrier
.LBB190_20:                             ;   Parent Loop BB190_5 Depth=1
                                        ; =>  This Inner Loop Header: Depth=2
	s_add_i32 s25, s3, 8
	s_lshr_b32 s38, s25, 4
	s_and_b32 s37, s25, 0x3ffffff8
	s_lshl_b32 s36, s38, 3
	s_lshl_b32 s37, s37, 2
	v_add_lshl_u32 v132, v29, s36, 2
	v_add_u32_e32 v130, s37, v31
	v_add_u32_e32 v128, 0x4200, v132
	ds_read_b32 v125, v124
	ds_read_b128 v[6:9], v123
	ds_read_b128 v[2:5], v123 offset:16
	ds_read2_b32 v[126:127], v130 offset1:1
	ds_read2_b32 v[128:129], v128 offset1:1
	s_and_b32 s35, s2, -16
	s_lshl_b32 s38, s38, 2
	s_add_i32 s2, s2, 2
	s_waitcnt lgkmcnt(1)
	v_ashrrev_i32_e32 v126, s3, v126
	s_waitcnt lgkmcnt(0)
	v_ashrrev_i32_e32 v128, s24, v128
	v_lshlrev_b32_e32 v128, 2, v128
	v_and_b32_e32 v131, 0x3030303, v126
	v_bfe_u32 v126, v126, 24, 2
	v_and_b32_e32 v128, 0x4040404, v128
	v_sub_u16_e32 v133, v131, v128
	v_sub_u16_sdwa v134, v131, v128 dst_sel:BYTE_1 dst_unused:UNUSED_PAD src0_sel:BYTE_1 src1_sel:BYTE_1
	v_sub_u16_sdwa v126, v126, v128 dst_sel:BYTE_1 dst_unused:UNUSED_PAD src0_sel:DWORD src1_sel:BYTE_3
	v_sub_u16_sdwa v128, v131, v128 dst_sel:DWORD dst_unused:UNUSED_PAD src0_sel:WORD_1 src1_sel:WORD_1
	v_or_b32_sdwa v133, v133, v134 dst_sel:DWORD dst_unused:UNUSED_PAD src0_sel:BYTE_0 src1_sel:DWORD
	v_or_b32_sdwa v126, v128, v126 dst_sel:WORD_1 dst_unused:UNUSED_PAD src0_sel:BYTE_0 src1_sel:DWORD
	v_ashrrev_i32_e32 v128, s24, v129
	v_or_b32_sdwa v131, v133, v126 dst_sel:DWORD dst_unused:UNUSED_PAD src0_sel:WORD_0 src1_sel:DWORD
	v_ashrrev_i32_e32 v126, s3, v127
	v_lshlrev_b32_e32 v128, 2, v128
	v_and_b32_e32 v127, 0x3030303, v126
	v_bfe_u32 v126, v126, 24, 2
	v_and_b32_e32 v128, 0x4040404, v128
	v_sub_u16_e32 v129, v127, v128
	v_sub_u16_sdwa v133, v127, v128 dst_sel:BYTE_1 dst_unused:UNUSED_PAD src0_sel:BYTE_1 src1_sel:BYTE_1
	v_sub_u16_sdwa v126, v126, v128 dst_sel:BYTE_1 dst_unused:UNUSED_PAD src0_sel:DWORD src1_sel:BYTE_3
	v_sub_u16_sdwa v127, v127, v128 dst_sel:DWORD dst_unused:UNUSED_PAD src0_sel:WORD_1 src1_sel:WORD_1
	v_or_b32_sdwa v129, v129, v133 dst_sel:DWORD dst_unused:UNUSED_PAD src0_sel:BYTE_0 src1_sel:DWORD
	v_or_b32_sdwa v126, v127, v126 dst_sel:WORD_1 dst_unused:UNUSED_PAD src0_sel:BYTE_0 src1_sel:DWORD
	v_add_u32_e32 v128, 0x4208, v132
	v_or_b32_sdwa v133, v129, v126 dst_sel:DWORD dst_unused:UNUSED_PAD src0_sel:WORD_0 src1_sel:DWORD
	ds_read2_b32 v[126:127], v130 offset0:2 offset1:3
	ds_read2_b32 v[128:129], v128 offset1:1
	v_add_u32_e32 v124, 4, v124
	v_add_u32_e32 v123, 32, v123
	s_waitcnt lgkmcnt(1)
	v_ashrrev_i32_e32 v126, s3, v126
	s_waitcnt lgkmcnt(0)
	v_ashrrev_i32_e32 v128, s24, v128
	v_lshlrev_b32_e32 v128, 2, v128
	v_and_b32_e32 v134, 0x3030303, v126
	v_bfe_u32 v126, v126, 24, 2
	v_and_b32_e32 v128, 0x4040404, v128
	v_sub_u16_e32 v135, v134, v128
	v_sub_u16_sdwa v136, v134, v128 dst_sel:BYTE_1 dst_unused:UNUSED_PAD src0_sel:BYTE_1 src1_sel:BYTE_1
	v_sub_u16_sdwa v126, v126, v128 dst_sel:BYTE_1 dst_unused:UNUSED_PAD src0_sel:DWORD src1_sel:BYTE_3
	v_sub_u16_sdwa v128, v134, v128 dst_sel:DWORD dst_unused:UNUSED_PAD src0_sel:WORD_1 src1_sel:WORD_1
	v_or_b32_sdwa v135, v135, v136 dst_sel:DWORD dst_unused:UNUSED_PAD src0_sel:BYTE_0 src1_sel:DWORD
	v_or_b32_sdwa v126, v128, v126 dst_sel:WORD_1 dst_unused:UNUSED_PAD src0_sel:BYTE_0 src1_sel:DWORD
	v_ashrrev_i32_e32 v128, s24, v129
	v_or_b32_sdwa v134, v135, v126 dst_sel:DWORD dst_unused:UNUSED_PAD src0_sel:WORD_0 src1_sel:DWORD
	v_ashrrev_i32_e32 v126, s3, v127
	v_lshlrev_b32_e32 v128, 2, v128
	v_and_b32_e32 v127, 0x3030303, v126
	v_bfe_u32 v126, v126, 24, 2
	v_and_b32_e32 v128, 0x4040404, v128
	v_sub_u16_e32 v129, v127, v128
	v_sub_u16_sdwa v135, v127, v128 dst_sel:BYTE_1 dst_unused:UNUSED_PAD src0_sel:BYTE_1 src1_sel:BYTE_1
	v_sub_u16_sdwa v126, v126, v128 dst_sel:BYTE_1 dst_unused:UNUSED_PAD src0_sel:DWORD src1_sel:BYTE_3
	v_sub_u16_sdwa v127, v127, v128 dst_sel:DWORD dst_unused:UNUSED_PAD src0_sel:WORD_1 src1_sel:WORD_1
	v_or_b32_sdwa v129, v129, v135 dst_sel:DWORD dst_unused:UNUSED_PAD src0_sel:BYTE_0 src1_sel:DWORD
	v_or_b32_sdwa v126, v127, v126 dst_sel:WORD_1 dst_unused:UNUSED_PAD src0_sel:BYTE_0 src1_sel:DWORD
	v_add_u32_e32 v128, 0x4210, v132
	v_or_b32_sdwa v135, v129, v126 dst_sel:DWORD dst_unused:UNUSED_PAD src0_sel:WORD_0 src1_sel:DWORD
	ds_read2_b32 v[126:127], v130 offset0:4 offset1:5
	ds_read2_b32 v[128:129], v128 offset1:1
	s_waitcnt lgkmcnt(1)
	v_ashrrev_i32_e32 v126, s3, v126
	s_waitcnt lgkmcnt(0)
	v_ashrrev_i32_e32 v128, s24, v128
	v_lshlrev_b32_e32 v128, 2, v128
	v_and_b32_e32 v136, 0x3030303, v126
	v_bfe_u32 v126, v126, 24, 2
	v_and_b32_e32 v128, 0x4040404, v128
	v_sub_u16_e32 v137, v136, v128
	v_sub_u16_sdwa v138, v136, v128 dst_sel:BYTE_1 dst_unused:UNUSED_PAD src0_sel:BYTE_1 src1_sel:BYTE_1
	v_sub_u16_sdwa v126, v126, v128 dst_sel:BYTE_1 dst_unused:UNUSED_PAD src0_sel:DWORD src1_sel:BYTE_3
	v_sub_u16_sdwa v128, v136, v128 dst_sel:DWORD dst_unused:UNUSED_PAD src0_sel:WORD_1 src1_sel:WORD_1
	v_or_b32_sdwa v137, v137, v138 dst_sel:DWORD dst_unused:UNUSED_PAD src0_sel:BYTE_0 src1_sel:DWORD
	v_or_b32_sdwa v126, v128, v126 dst_sel:WORD_1 dst_unused:UNUSED_PAD src0_sel:BYTE_0 src1_sel:DWORD
	v_ashrrev_i32_e32 v128, s24, v129
	v_or_b32_sdwa v136, v137, v126 dst_sel:DWORD dst_unused:UNUSED_PAD src0_sel:WORD_0 src1_sel:DWORD
	v_ashrrev_i32_e32 v126, s3, v127
	v_lshlrev_b32_e32 v128, 2, v128
	v_and_b32_e32 v127, 0x3030303, v126
	v_bfe_u32 v126, v126, 24, 2
	v_and_b32_e32 v128, 0x4040404, v128
	v_sub_u16_e32 v129, v127, v128
	v_sub_u16_sdwa v137, v127, v128 dst_sel:BYTE_1 dst_unused:UNUSED_PAD src0_sel:BYTE_1 src1_sel:BYTE_1
	v_sub_u16_sdwa v126, v126, v128 dst_sel:BYTE_1 dst_unused:UNUSED_PAD src0_sel:DWORD src1_sel:BYTE_3
	v_sub_u16_sdwa v127, v127, v128 dst_sel:DWORD dst_unused:UNUSED_PAD src0_sel:WORD_1 src1_sel:WORD_1
	v_or_b32_sdwa v129, v129, v137 dst_sel:DWORD dst_unused:UNUSED_PAD src0_sel:BYTE_0 src1_sel:DWORD
	v_or_b32_sdwa v126, v127, v126 dst_sel:WORD_1 dst_unused:UNUSED_PAD src0_sel:BYTE_0 src1_sel:DWORD
	v_add_u32_e32 v128, 0x4218, v132
	v_or_b32_sdwa v137, v129, v126 dst_sel:DWORD dst_unused:UNUSED_PAD src0_sel:WORD_0 src1_sel:DWORD
	ds_read2_b32 v[126:127], v130 offset0:6 offset1:7
	ds_read2_b32 v[128:129], v128 offset1:1
	s_waitcnt lgkmcnt(1)
	v_ashrrev_i32_e32 v126, s3, v126
	s_waitcnt lgkmcnt(0)
	v_ashrrev_i32_e32 v128, s24, v128
	v_lshlrev_b32_e32 v128, 2, v128
	v_and_b32_e32 v130, 0x3030303, v126
	v_bfe_u32 v126, v126, 24, 2
	v_and_b32_e32 v128, 0x4040404, v128
	v_sub_u16_e32 v132, v130, v128
	v_sub_u16_sdwa v138, v130, v128 dst_sel:BYTE_1 dst_unused:UNUSED_PAD src0_sel:BYTE_1 src1_sel:BYTE_1
	v_sub_u16_sdwa v126, v126, v128 dst_sel:BYTE_1 dst_unused:UNUSED_PAD src0_sel:DWORD src1_sel:BYTE_3
	v_sub_u16_sdwa v128, v130, v128 dst_sel:DWORD dst_unused:UNUSED_PAD src0_sel:WORD_1 src1_sel:WORD_1
	v_or_b32_sdwa v132, v132, v138 dst_sel:DWORD dst_unused:UNUSED_PAD src0_sel:BYTE_0 src1_sel:DWORD
	v_or_b32_sdwa v126, v128, v126 dst_sel:WORD_1 dst_unused:UNUSED_PAD src0_sel:BYTE_0 src1_sel:DWORD
	v_ashrrev_i32_e32 v128, s24, v129
	v_or_b32_sdwa v130, v132, v126 dst_sel:DWORD dst_unused:UNUSED_PAD src0_sel:WORD_0 src1_sel:DWORD
	v_ashrrev_i32_e32 v126, s3, v127
	v_lshlrev_b32_e32 v128, 2, v128
	v_and_b32_e32 v127, 0x3030303, v126
	v_bfe_u32 v126, v126, 24, 2
	v_and_b32_e32 v128, 0x4040404, v128
	v_sub_u16_e32 v129, v127, v128
	v_sub_u16_sdwa v132, v127, v128 dst_sel:BYTE_1 dst_unused:UNUSED_PAD src0_sel:BYTE_1 src1_sel:BYTE_1
	v_sub_u16_sdwa v126, v126, v128 dst_sel:BYTE_1 dst_unused:UNUSED_PAD src0_sel:DWORD src1_sel:BYTE_3
	v_sub_u16_sdwa v127, v127, v128 dst_sel:DWORD dst_unused:UNUSED_PAD src0_sel:WORD_1 src1_sel:WORD_1
	v_or_b32_sdwa v129, v129, v132 dst_sel:DWORD dst_unused:UNUSED_PAD src0_sel:BYTE_0 src1_sel:DWORD
	v_or_b32_sdwa v126, v127, v126 dst_sel:WORD_1 dst_unused:UNUSED_PAD src0_sel:BYTE_0 src1_sel:DWORD
	s_nop 0
	v_or_b32_sdwa v127, v129, v126 dst_sel:DWORD dst_unused:UNUSED_PAD src0_sel:WORD_0 src1_sel:DWORD
	v_add_u32_e32 v126, s3, v27
	v_add3_u32 v128, v83, s35, v126
	v_add_u32_e32 v129, s38, v33
	ds_read_b32 v132, v129
	ds_read_u16 v128, v128
	v_mov_b32_e32 v129, 0
	v_dot4c_i32_i8_e32 v129, v131, v6
	v_dot4c_i32_i8_e32 v129, v133, v7
	;; [unrolled: 1-line block ×4, first 2 shown]
	s_waitcnt lgkmcnt(0)
	v_lshrrev_b16_e32 v131, 8, v128
	v_bfe_i32 v128, v128, 0, 8
	v_add_lshl_u32 v133, v35, s36, 2
	v_mul_lo_u32 v128, v129, v128
	v_mov_b32_e32 v129, 0
	v_dot4c_i32_i8_e32 v129, v136, v2
	v_dot4c_i32_i8_e32 v129, v137, v3
	;; [unrolled: 1-line block ×4, first 2 shown]
	v_bfe_i32 v127, v131, 0, 8
	v_add_u32_e32 v130, 0x4200, v133
	ds_read2_b32 v[130:131], v130 offset1:1
	v_mad_u64_u32 v[128:129], s[40:41], v129, v127, v[128:129]
	v_cvt_f32_i32_e32 v128, v128
	v_mul_f32_e32 v127, v125, v132
	s_waitcnt lgkmcnt(0)
	v_ashrrev_i32_e32 v130, s24, v130
	v_lshlrev_b32_e32 v130, 2, v130
	v_fmac_f32_e32 v65, v127, v128
	v_add_u32_e32 v127, s37, v37
	ds_read2_b32 v[128:129], v127 offset1:1
	v_and_b32_e32 v130, 0x4040404, v130
	s_waitcnt lgkmcnt(0)
	v_ashrrev_i32_e32 v128, s3, v128
	v_and_b32_e32 v132, 0x3030303, v128
	v_bfe_u32 v128, v128, 24, 2
	v_sub_u16_e32 v134, v132, v130
	v_sub_u16_sdwa v135, v132, v130 dst_sel:BYTE_1 dst_unused:UNUSED_PAD src0_sel:BYTE_1 src1_sel:BYTE_1
	v_sub_u16_sdwa v128, v128, v130 dst_sel:BYTE_1 dst_unused:UNUSED_PAD src0_sel:DWORD src1_sel:BYTE_3
	v_sub_u16_sdwa v130, v132, v130 dst_sel:DWORD dst_unused:UNUSED_PAD src0_sel:WORD_1 src1_sel:WORD_1
	v_or_b32_sdwa v134, v134, v135 dst_sel:DWORD dst_unused:UNUSED_PAD src0_sel:BYTE_0 src1_sel:DWORD
	v_or_b32_sdwa v128, v130, v128 dst_sel:WORD_1 dst_unused:UNUSED_PAD src0_sel:BYTE_0 src1_sel:DWORD
	v_ashrrev_i32_e32 v130, s24, v131
	v_or_b32_sdwa v132, v134, v128 dst_sel:DWORD dst_unused:UNUSED_PAD src0_sel:WORD_0 src1_sel:DWORD
	v_ashrrev_i32_e32 v128, s3, v129
	v_lshlrev_b32_e32 v130, 2, v130
	v_and_b32_e32 v129, 0x3030303, v128
	v_bfe_u32 v128, v128, 24, 2
	v_and_b32_e32 v130, 0x4040404, v130
	v_sub_u16_e32 v131, v129, v130
	v_sub_u16_sdwa v134, v129, v130 dst_sel:BYTE_1 dst_unused:UNUSED_PAD src0_sel:BYTE_1 src1_sel:BYTE_1
	v_sub_u16_sdwa v128, v128, v130 dst_sel:BYTE_1 dst_unused:UNUSED_PAD src0_sel:DWORD src1_sel:BYTE_3
	v_sub_u16_sdwa v129, v129, v130 dst_sel:DWORD dst_unused:UNUSED_PAD src0_sel:WORD_1 src1_sel:WORD_1
	v_or_b32_sdwa v131, v131, v134 dst_sel:DWORD dst_unused:UNUSED_PAD src0_sel:BYTE_0 src1_sel:DWORD
	v_or_b32_sdwa v128, v129, v128 dst_sel:WORD_1 dst_unused:UNUSED_PAD src0_sel:BYTE_0 src1_sel:DWORD
	v_add_u32_e32 v130, 0x4208, v133
	v_or_b32_sdwa v134, v131, v128 dst_sel:DWORD dst_unused:UNUSED_PAD src0_sel:WORD_0 src1_sel:DWORD
	ds_read2_b32 v[128:129], v127 offset0:2 offset1:3
	ds_read2_b32 v[130:131], v130 offset1:1
	s_waitcnt lgkmcnt(1)
	v_ashrrev_i32_e32 v128, s3, v128
	s_waitcnt lgkmcnt(0)
	v_ashrrev_i32_e32 v130, s24, v130
	v_lshlrev_b32_e32 v130, 2, v130
	v_and_b32_e32 v135, 0x3030303, v128
	v_bfe_u32 v128, v128, 24, 2
	v_and_b32_e32 v130, 0x4040404, v130
	v_sub_u16_e32 v136, v135, v130
	v_sub_u16_sdwa v137, v135, v130 dst_sel:BYTE_1 dst_unused:UNUSED_PAD src0_sel:BYTE_1 src1_sel:BYTE_1
	v_sub_u16_sdwa v128, v128, v130 dst_sel:BYTE_1 dst_unused:UNUSED_PAD src0_sel:DWORD src1_sel:BYTE_3
	v_sub_u16_sdwa v130, v135, v130 dst_sel:DWORD dst_unused:UNUSED_PAD src0_sel:WORD_1 src1_sel:WORD_1
	v_or_b32_sdwa v136, v136, v137 dst_sel:DWORD dst_unused:UNUSED_PAD src0_sel:BYTE_0 src1_sel:DWORD
	v_or_b32_sdwa v128, v130, v128 dst_sel:WORD_1 dst_unused:UNUSED_PAD src0_sel:BYTE_0 src1_sel:DWORD
	v_ashrrev_i32_e32 v130, s24, v131
	v_or_b32_sdwa v135, v136, v128 dst_sel:DWORD dst_unused:UNUSED_PAD src0_sel:WORD_0 src1_sel:DWORD
	v_ashrrev_i32_e32 v128, s3, v129
	v_lshlrev_b32_e32 v130, 2, v130
	v_and_b32_e32 v129, 0x3030303, v128
	v_bfe_u32 v128, v128, 24, 2
	v_and_b32_e32 v130, 0x4040404, v130
	v_sub_u16_e32 v131, v129, v130
	v_sub_u16_sdwa v136, v129, v130 dst_sel:BYTE_1 dst_unused:UNUSED_PAD src0_sel:BYTE_1 src1_sel:BYTE_1
	v_sub_u16_sdwa v128, v128, v130 dst_sel:BYTE_1 dst_unused:UNUSED_PAD src0_sel:DWORD src1_sel:BYTE_3
	v_sub_u16_sdwa v129, v129, v130 dst_sel:DWORD dst_unused:UNUSED_PAD src0_sel:WORD_1 src1_sel:WORD_1
	v_or_b32_sdwa v131, v131, v136 dst_sel:DWORD dst_unused:UNUSED_PAD src0_sel:BYTE_0 src1_sel:DWORD
	v_or_b32_sdwa v128, v129, v128 dst_sel:WORD_1 dst_unused:UNUSED_PAD src0_sel:BYTE_0 src1_sel:DWORD
	v_add_u32_e32 v130, 0x4210, v133
	v_or_b32_sdwa v136, v131, v128 dst_sel:DWORD dst_unused:UNUSED_PAD src0_sel:WORD_0 src1_sel:DWORD
	ds_read2_b32 v[128:129], v127 offset0:4 offset1:5
	ds_read2_b32 v[130:131], v130 offset1:1
	s_waitcnt lgkmcnt(1)
	v_ashrrev_i32_e32 v128, s3, v128
	s_waitcnt lgkmcnt(0)
	v_ashrrev_i32_e32 v130, s24, v130
	v_lshlrev_b32_e32 v130, 2, v130
	v_and_b32_e32 v137, 0x3030303, v128
	v_bfe_u32 v128, v128, 24, 2
	v_and_b32_e32 v130, 0x4040404, v130
	;; [unrolled: 31-line block ×3, first 2 shown]
	v_sub_u16_e32 v133, v128, v130
	v_sub_u16_sdwa v139, v128, v130 dst_sel:BYTE_1 dst_unused:UNUSED_PAD src0_sel:BYTE_1 src1_sel:BYTE_1
	v_sub_u16_sdwa v127, v127, v130 dst_sel:BYTE_1 dst_unused:UNUSED_PAD src0_sel:DWORD src1_sel:BYTE_3
	v_sub_u16_sdwa v128, v128, v130 dst_sel:DWORD dst_unused:UNUSED_PAD src0_sel:WORD_1 src1_sel:WORD_1
	v_ashrrev_i32_e32 v130, s24, v131
	v_or_b32_sdwa v127, v128, v127 dst_sel:WORD_1 dst_unused:UNUSED_PAD src0_sel:BYTE_0 src1_sel:DWORD
	v_ashrrev_i32_e32 v128, s3, v129
	v_lshlrev_b32_e32 v130, 2, v130
	v_or_b32_sdwa v133, v133, v139 dst_sel:DWORD dst_unused:UNUSED_PAD src0_sel:BYTE_0 src1_sel:DWORD
	v_and_b32_e32 v129, 0x3030303, v128
	v_bfe_u32 v128, v128, 24, 2
	v_and_b32_e32 v130, 0x4040404, v130
	v_or_b32_sdwa v127, v133, v127 dst_sel:DWORD dst_unused:UNUSED_PAD src0_sel:WORD_0 src1_sel:DWORD
	v_sub_u16_e32 v131, v129, v130
	v_sub_u16_sdwa v133, v129, v130 dst_sel:BYTE_1 dst_unused:UNUSED_PAD src0_sel:BYTE_1 src1_sel:BYTE_1
	v_sub_u16_sdwa v128, v128, v130 dst_sel:BYTE_1 dst_unused:UNUSED_PAD src0_sel:DWORD src1_sel:BYTE_3
	v_sub_u16_sdwa v129, v129, v130 dst_sel:DWORD dst_unused:UNUSED_PAD src0_sel:WORD_1 src1_sel:WORD_1
	v_or_b32_sdwa v131, v131, v133 dst_sel:DWORD dst_unused:UNUSED_PAD src0_sel:BYTE_0 src1_sel:DWORD
	v_or_b32_sdwa v128, v129, v128 dst_sel:WORD_1 dst_unused:UNUSED_PAD src0_sel:BYTE_0 src1_sel:DWORD
	v_add_u32_e32 v130, s38, v39
	v_or_b32_sdwa v129, v131, v128 dst_sel:DWORD dst_unused:UNUSED_PAD src0_sel:WORD_0 src1_sel:DWORD
	v_add3_u32 v128, v81, s35, v126
	ds_read_b32 v130, v130
	ds_read_u16 v128, v128
	v_mov_b32_e32 v131, 0
	v_dot4c_i32_i8_e32 v131, v132, v6
	v_dot4c_i32_i8_e32 v131, v134, v7
	;; [unrolled: 1-line block ×4, first 2 shown]
	s_waitcnt lgkmcnt(0)
	v_lshrrev_b16_e32 v132, 8, v128
	v_bfe_i32 v128, v128, 0, 8
	v_add_lshl_u32 v133, v41, s36, 2
	v_mul_lo_u32 v128, v131, v128
	v_mov_b32_e32 v131, 0
	v_dot4c_i32_i8_e32 v131, v137, v2
	v_dot4c_i32_i8_e32 v131, v138, v3
	;; [unrolled: 1-line block ×4, first 2 shown]
	v_bfe_i32 v127, v132, 0, 8
                                        ; kill: def $vgpr129 killed $sgpr0 killed $exec
	s_nop 1
	v_mad_u64_u32 v[128:129], s[40:41], v131, v127, v[128:129]
	v_cvt_f32_i32_e32 v128, v128
	v_mul_f32_e32 v127, v125, v130
	v_add_u32_e32 v130, 0x4200, v133
	ds_read2_b32 v[130:131], v130 offset1:1
	v_fmac_f32_e32 v61, v127, v128
	v_add_u32_e32 v127, s37, v43
	ds_read2_b32 v[128:129], v127 offset1:1
	s_waitcnt lgkmcnt(1)
	v_ashrrev_i32_e32 v130, s24, v130
	v_lshlrev_b32_e32 v130, 2, v130
	v_and_b32_e32 v130, 0x4040404, v130
	s_waitcnt lgkmcnt(0)
	v_ashrrev_i32_e32 v128, s3, v128
	v_and_b32_e32 v132, 0x3030303, v128
	v_bfe_u32 v128, v128, 24, 2
	v_sub_u16_e32 v134, v132, v130
	v_sub_u16_sdwa v135, v132, v130 dst_sel:BYTE_1 dst_unused:UNUSED_PAD src0_sel:BYTE_1 src1_sel:BYTE_1
	v_sub_u16_sdwa v128, v128, v130 dst_sel:BYTE_1 dst_unused:UNUSED_PAD src0_sel:DWORD src1_sel:BYTE_3
	v_sub_u16_sdwa v130, v132, v130 dst_sel:DWORD dst_unused:UNUSED_PAD src0_sel:WORD_1 src1_sel:WORD_1
	v_or_b32_sdwa v134, v134, v135 dst_sel:DWORD dst_unused:UNUSED_PAD src0_sel:BYTE_0 src1_sel:DWORD
	v_or_b32_sdwa v128, v130, v128 dst_sel:WORD_1 dst_unused:UNUSED_PAD src0_sel:BYTE_0 src1_sel:DWORD
	v_ashrrev_i32_e32 v130, s24, v131
	v_or_b32_sdwa v132, v134, v128 dst_sel:DWORD dst_unused:UNUSED_PAD src0_sel:WORD_0 src1_sel:DWORD
	v_ashrrev_i32_e32 v128, s3, v129
	v_lshlrev_b32_e32 v130, 2, v130
	v_and_b32_e32 v129, 0x3030303, v128
	v_bfe_u32 v128, v128, 24, 2
	v_and_b32_e32 v130, 0x4040404, v130
	v_sub_u16_e32 v131, v129, v130
	v_sub_u16_sdwa v134, v129, v130 dst_sel:BYTE_1 dst_unused:UNUSED_PAD src0_sel:BYTE_1 src1_sel:BYTE_1
	v_sub_u16_sdwa v128, v128, v130 dst_sel:BYTE_1 dst_unused:UNUSED_PAD src0_sel:DWORD src1_sel:BYTE_3
	v_sub_u16_sdwa v129, v129, v130 dst_sel:DWORD dst_unused:UNUSED_PAD src0_sel:WORD_1 src1_sel:WORD_1
	v_or_b32_sdwa v131, v131, v134 dst_sel:DWORD dst_unused:UNUSED_PAD src0_sel:BYTE_0 src1_sel:DWORD
	v_or_b32_sdwa v128, v129, v128 dst_sel:WORD_1 dst_unused:UNUSED_PAD src0_sel:BYTE_0 src1_sel:DWORD
	v_add_u32_e32 v130, 0x4208, v133
	v_or_b32_sdwa v134, v131, v128 dst_sel:DWORD dst_unused:UNUSED_PAD src0_sel:WORD_0 src1_sel:DWORD
	ds_read2_b32 v[128:129], v127 offset0:2 offset1:3
	ds_read2_b32 v[130:131], v130 offset1:1
	s_waitcnt lgkmcnt(1)
	v_ashrrev_i32_e32 v128, s3, v128
	s_waitcnt lgkmcnt(0)
	v_ashrrev_i32_e32 v130, s24, v130
	v_lshlrev_b32_e32 v130, 2, v130
	v_and_b32_e32 v135, 0x3030303, v128
	v_bfe_u32 v128, v128, 24, 2
	v_and_b32_e32 v130, 0x4040404, v130
	v_sub_u16_e32 v136, v135, v130
	v_sub_u16_sdwa v137, v135, v130 dst_sel:BYTE_1 dst_unused:UNUSED_PAD src0_sel:BYTE_1 src1_sel:BYTE_1
	v_sub_u16_sdwa v128, v128, v130 dst_sel:BYTE_1 dst_unused:UNUSED_PAD src0_sel:DWORD src1_sel:BYTE_3
	v_sub_u16_sdwa v130, v135, v130 dst_sel:DWORD dst_unused:UNUSED_PAD src0_sel:WORD_1 src1_sel:WORD_1
	v_or_b32_sdwa v136, v136, v137 dst_sel:DWORD dst_unused:UNUSED_PAD src0_sel:BYTE_0 src1_sel:DWORD
	v_or_b32_sdwa v128, v130, v128 dst_sel:WORD_1 dst_unused:UNUSED_PAD src0_sel:BYTE_0 src1_sel:DWORD
	v_ashrrev_i32_e32 v130, s24, v131
	v_or_b32_sdwa v135, v136, v128 dst_sel:DWORD dst_unused:UNUSED_PAD src0_sel:WORD_0 src1_sel:DWORD
	v_ashrrev_i32_e32 v128, s3, v129
	v_lshlrev_b32_e32 v130, 2, v130
	v_and_b32_e32 v129, 0x3030303, v128
	v_bfe_u32 v128, v128, 24, 2
	v_and_b32_e32 v130, 0x4040404, v130
	v_sub_u16_e32 v131, v129, v130
	v_sub_u16_sdwa v136, v129, v130 dst_sel:BYTE_1 dst_unused:UNUSED_PAD src0_sel:BYTE_1 src1_sel:BYTE_1
	v_sub_u16_sdwa v128, v128, v130 dst_sel:BYTE_1 dst_unused:UNUSED_PAD src0_sel:DWORD src1_sel:BYTE_3
	v_sub_u16_sdwa v129, v129, v130 dst_sel:DWORD dst_unused:UNUSED_PAD src0_sel:WORD_1 src1_sel:WORD_1
	v_or_b32_sdwa v131, v131, v136 dst_sel:DWORD dst_unused:UNUSED_PAD src0_sel:BYTE_0 src1_sel:DWORD
	v_or_b32_sdwa v128, v129, v128 dst_sel:WORD_1 dst_unused:UNUSED_PAD src0_sel:BYTE_0 src1_sel:DWORD
	v_add_u32_e32 v130, 0x4210, v133
	v_or_b32_sdwa v136, v131, v128 dst_sel:DWORD dst_unused:UNUSED_PAD src0_sel:WORD_0 src1_sel:DWORD
	ds_read2_b32 v[128:129], v127 offset0:4 offset1:5
	ds_read2_b32 v[130:131], v130 offset1:1
	s_waitcnt lgkmcnt(1)
	v_ashrrev_i32_e32 v128, s3, v128
	s_waitcnt lgkmcnt(0)
	v_ashrrev_i32_e32 v130, s24, v130
	v_lshlrev_b32_e32 v130, 2, v130
	v_and_b32_e32 v137, 0x3030303, v128
	v_bfe_u32 v128, v128, 24, 2
	v_and_b32_e32 v130, 0x4040404, v130
	;; [unrolled: 31-line block ×3, first 2 shown]
	v_sub_u16_e32 v133, v128, v130
	v_sub_u16_sdwa v139, v128, v130 dst_sel:BYTE_1 dst_unused:UNUSED_PAD src0_sel:BYTE_1 src1_sel:BYTE_1
	v_sub_u16_sdwa v127, v127, v130 dst_sel:BYTE_1 dst_unused:UNUSED_PAD src0_sel:DWORD src1_sel:BYTE_3
	v_sub_u16_sdwa v128, v128, v130 dst_sel:DWORD dst_unused:UNUSED_PAD src0_sel:WORD_1 src1_sel:WORD_1
	v_ashrrev_i32_e32 v130, s24, v131
	v_or_b32_sdwa v127, v128, v127 dst_sel:WORD_1 dst_unused:UNUSED_PAD src0_sel:BYTE_0 src1_sel:DWORD
	v_ashrrev_i32_e32 v128, s3, v129
	v_lshlrev_b32_e32 v130, 2, v130
	v_or_b32_sdwa v133, v133, v139 dst_sel:DWORD dst_unused:UNUSED_PAD src0_sel:BYTE_0 src1_sel:DWORD
	v_and_b32_e32 v129, 0x3030303, v128
	v_bfe_u32 v128, v128, 24, 2
	v_and_b32_e32 v130, 0x4040404, v130
	v_or_b32_sdwa v127, v133, v127 dst_sel:DWORD dst_unused:UNUSED_PAD src0_sel:WORD_0 src1_sel:DWORD
	v_sub_u16_e32 v131, v129, v130
	v_sub_u16_sdwa v133, v129, v130 dst_sel:BYTE_1 dst_unused:UNUSED_PAD src0_sel:BYTE_1 src1_sel:BYTE_1
	v_sub_u16_sdwa v128, v128, v130 dst_sel:BYTE_1 dst_unused:UNUSED_PAD src0_sel:DWORD src1_sel:BYTE_3
	v_sub_u16_sdwa v129, v129, v130 dst_sel:DWORD dst_unused:UNUSED_PAD src0_sel:WORD_1 src1_sel:WORD_1
	v_or_b32_sdwa v131, v131, v133 dst_sel:DWORD dst_unused:UNUSED_PAD src0_sel:BYTE_0 src1_sel:DWORD
	v_or_b32_sdwa v128, v129, v128 dst_sel:WORD_1 dst_unused:UNUSED_PAD src0_sel:BYTE_0 src1_sel:DWORD
	v_add_u32_e32 v130, s38, v45
	v_or_b32_sdwa v129, v131, v128 dst_sel:DWORD dst_unused:UNUSED_PAD src0_sel:WORD_0 src1_sel:DWORD
	v_add3_u32 v128, v79, s35, v126
	ds_read_b32 v130, v130
	ds_read_u16 v128, v128
	v_mov_b32_e32 v131, 0
	v_dot4c_i32_i8_e32 v131, v132, v6
	v_dot4c_i32_i8_e32 v131, v134, v7
	;; [unrolled: 1-line block ×4, first 2 shown]
	s_waitcnt lgkmcnt(0)
	v_lshrrev_b16_e32 v132, 8, v128
	v_bfe_i32 v128, v128, 0, 8
	v_add_lshl_u32 v133, v47, s36, 2
	v_mul_lo_u32 v128, v131, v128
	v_mov_b32_e32 v131, 0
	v_dot4c_i32_i8_e32 v131, v137, v2
	v_dot4c_i32_i8_e32 v131, v138, v3
	;; [unrolled: 1-line block ×4, first 2 shown]
	v_bfe_i32 v127, v132, 0, 8
                                        ; kill: def $vgpr129 killed $sgpr0 killed $exec
	v_add3_u32 v126, v77, s35, v126
	s_nop 0
	v_mad_u64_u32 v[128:129], s[40:41], v131, v127, v[128:129]
	v_cvt_f32_i32_e32 v128, v128
	v_mul_f32_e32 v127, v125, v130
	v_add_u32_e32 v130, 0x4200, v133
	ds_read2_b32 v[130:131], v130 offset1:1
	v_fmac_f32_e32 v59, v127, v128
	v_add_u32_e32 v127, s37, v49
	ds_read2_b32 v[128:129], v127 offset1:1
	s_waitcnt lgkmcnt(1)
	v_ashrrev_i32_e32 v130, s24, v130
	v_lshlrev_b32_e32 v130, 2, v130
	v_and_b32_e32 v130, 0x4040404, v130
	s_waitcnt lgkmcnt(0)
	v_ashrrev_i32_e32 v128, s3, v128
	v_and_b32_e32 v132, 0x3030303, v128
	v_bfe_u32 v128, v128, 24, 2
	v_sub_u16_e32 v134, v132, v130
	v_sub_u16_sdwa v135, v132, v130 dst_sel:BYTE_1 dst_unused:UNUSED_PAD src0_sel:BYTE_1 src1_sel:BYTE_1
	v_sub_u16_sdwa v128, v128, v130 dst_sel:BYTE_1 dst_unused:UNUSED_PAD src0_sel:DWORD src1_sel:BYTE_3
	v_sub_u16_sdwa v130, v132, v130 dst_sel:DWORD dst_unused:UNUSED_PAD src0_sel:WORD_1 src1_sel:WORD_1
	v_or_b32_sdwa v134, v134, v135 dst_sel:DWORD dst_unused:UNUSED_PAD src0_sel:BYTE_0 src1_sel:DWORD
	v_or_b32_sdwa v128, v130, v128 dst_sel:WORD_1 dst_unused:UNUSED_PAD src0_sel:BYTE_0 src1_sel:DWORD
	v_ashrrev_i32_e32 v130, s24, v131
	v_or_b32_sdwa v132, v134, v128 dst_sel:DWORD dst_unused:UNUSED_PAD src0_sel:WORD_0 src1_sel:DWORD
	v_ashrrev_i32_e32 v128, s3, v129
	v_lshlrev_b32_e32 v130, 2, v130
	v_and_b32_e32 v129, 0x3030303, v128
	v_bfe_u32 v128, v128, 24, 2
	v_and_b32_e32 v130, 0x4040404, v130
	v_sub_u16_e32 v131, v129, v130
	v_sub_u16_sdwa v134, v129, v130 dst_sel:BYTE_1 dst_unused:UNUSED_PAD src0_sel:BYTE_1 src1_sel:BYTE_1
	v_sub_u16_sdwa v128, v128, v130 dst_sel:BYTE_1 dst_unused:UNUSED_PAD src0_sel:DWORD src1_sel:BYTE_3
	v_sub_u16_sdwa v129, v129, v130 dst_sel:DWORD dst_unused:UNUSED_PAD src0_sel:WORD_1 src1_sel:WORD_1
	v_or_b32_sdwa v131, v131, v134 dst_sel:DWORD dst_unused:UNUSED_PAD src0_sel:BYTE_0 src1_sel:DWORD
	v_or_b32_sdwa v128, v129, v128 dst_sel:WORD_1 dst_unused:UNUSED_PAD src0_sel:BYTE_0 src1_sel:DWORD
	v_add_u32_e32 v130, 0x4208, v133
	v_or_b32_sdwa v134, v131, v128 dst_sel:DWORD dst_unused:UNUSED_PAD src0_sel:WORD_0 src1_sel:DWORD
	ds_read2_b32 v[128:129], v127 offset0:2 offset1:3
	ds_read2_b32 v[130:131], v130 offset1:1
	s_waitcnt lgkmcnt(1)
	v_ashrrev_i32_e32 v128, s3, v128
	s_waitcnt lgkmcnt(0)
	v_ashrrev_i32_e32 v130, s24, v130
	v_lshlrev_b32_e32 v130, 2, v130
	v_and_b32_e32 v135, 0x3030303, v128
	v_bfe_u32 v128, v128, 24, 2
	v_and_b32_e32 v130, 0x4040404, v130
	v_sub_u16_e32 v136, v135, v130
	v_sub_u16_sdwa v137, v135, v130 dst_sel:BYTE_1 dst_unused:UNUSED_PAD src0_sel:BYTE_1 src1_sel:BYTE_1
	v_sub_u16_sdwa v128, v128, v130 dst_sel:BYTE_1 dst_unused:UNUSED_PAD src0_sel:DWORD src1_sel:BYTE_3
	v_sub_u16_sdwa v130, v135, v130 dst_sel:DWORD dst_unused:UNUSED_PAD src0_sel:WORD_1 src1_sel:WORD_1
	v_or_b32_sdwa v136, v136, v137 dst_sel:DWORD dst_unused:UNUSED_PAD src0_sel:BYTE_0 src1_sel:DWORD
	v_or_b32_sdwa v128, v130, v128 dst_sel:WORD_1 dst_unused:UNUSED_PAD src0_sel:BYTE_0 src1_sel:DWORD
	v_ashrrev_i32_e32 v130, s24, v131
	v_or_b32_sdwa v135, v136, v128 dst_sel:DWORD dst_unused:UNUSED_PAD src0_sel:WORD_0 src1_sel:DWORD
	v_ashrrev_i32_e32 v128, s3, v129
	v_lshlrev_b32_e32 v130, 2, v130
	v_and_b32_e32 v129, 0x3030303, v128
	v_bfe_u32 v128, v128, 24, 2
	v_and_b32_e32 v130, 0x4040404, v130
	v_sub_u16_e32 v131, v129, v130
	v_sub_u16_sdwa v136, v129, v130 dst_sel:BYTE_1 dst_unused:UNUSED_PAD src0_sel:BYTE_1 src1_sel:BYTE_1
	v_sub_u16_sdwa v128, v128, v130 dst_sel:BYTE_1 dst_unused:UNUSED_PAD src0_sel:DWORD src1_sel:BYTE_3
	v_sub_u16_sdwa v129, v129, v130 dst_sel:DWORD dst_unused:UNUSED_PAD src0_sel:WORD_1 src1_sel:WORD_1
	v_or_b32_sdwa v131, v131, v136 dst_sel:DWORD dst_unused:UNUSED_PAD src0_sel:BYTE_0 src1_sel:DWORD
	v_or_b32_sdwa v128, v129, v128 dst_sel:WORD_1 dst_unused:UNUSED_PAD src0_sel:BYTE_0 src1_sel:DWORD
	v_add_u32_e32 v130, 0x4210, v133
	v_or_b32_sdwa v136, v131, v128 dst_sel:DWORD dst_unused:UNUSED_PAD src0_sel:WORD_0 src1_sel:DWORD
	ds_read2_b32 v[128:129], v127 offset0:4 offset1:5
	ds_read2_b32 v[130:131], v130 offset1:1
	s_waitcnt lgkmcnt(1)
	v_ashrrev_i32_e32 v128, s3, v128
	s_waitcnt lgkmcnt(0)
	v_ashrrev_i32_e32 v130, s24, v130
	v_lshlrev_b32_e32 v130, 2, v130
	v_and_b32_e32 v137, 0x3030303, v128
	v_bfe_u32 v128, v128, 24, 2
	v_and_b32_e32 v130, 0x4040404, v130
	;; [unrolled: 31-line block ×3, first 2 shown]
	v_sub_u16_e32 v133, v128, v130
	v_sub_u16_sdwa v139, v128, v130 dst_sel:BYTE_1 dst_unused:UNUSED_PAD src0_sel:BYTE_1 src1_sel:BYTE_1
	v_sub_u16_sdwa v127, v127, v130 dst_sel:BYTE_1 dst_unused:UNUSED_PAD src0_sel:DWORD src1_sel:BYTE_3
	v_sub_u16_sdwa v128, v128, v130 dst_sel:DWORD dst_unused:UNUSED_PAD src0_sel:WORD_1 src1_sel:WORD_1
	v_ashrrev_i32_e32 v130, s24, v131
	v_or_b32_sdwa v127, v128, v127 dst_sel:WORD_1 dst_unused:UNUSED_PAD src0_sel:BYTE_0 src1_sel:DWORD
	v_ashrrev_i32_e32 v128, s3, v129
	v_lshlrev_b32_e32 v130, 2, v130
	v_or_b32_sdwa v133, v133, v139 dst_sel:DWORD dst_unused:UNUSED_PAD src0_sel:BYTE_0 src1_sel:DWORD
	v_and_b32_e32 v129, 0x3030303, v128
	v_bfe_u32 v128, v128, 24, 2
	v_and_b32_e32 v130, 0x4040404, v130
	v_or_b32_sdwa v127, v133, v127 dst_sel:DWORD dst_unused:UNUSED_PAD src0_sel:WORD_0 src1_sel:DWORD
	v_sub_u16_e32 v131, v129, v130
	v_sub_u16_sdwa v133, v129, v130 dst_sel:BYTE_1 dst_unused:UNUSED_PAD src0_sel:BYTE_1 src1_sel:BYTE_1
	v_sub_u16_sdwa v128, v128, v130 dst_sel:BYTE_1 dst_unused:UNUSED_PAD src0_sel:DWORD src1_sel:BYTE_3
	v_sub_u16_sdwa v129, v129, v130 dst_sel:DWORD dst_unused:UNUSED_PAD src0_sel:WORD_1 src1_sel:WORD_1
	v_or_b32_sdwa v128, v129, v128 dst_sel:WORD_1 dst_unused:UNUSED_PAD src0_sel:BYTE_0 src1_sel:DWORD
	v_add_u32_e32 v129, s38, v51
	v_mov_b32_e32 v130, 0
	ds_read_b32 v129, v129
	v_dot4c_i32_i8_e32 v130, v132, v6
	ds_read_u16 v6, v126
	v_dot4c_i32_i8_e32 v130, v134, v7
	v_dot4c_i32_i8_e32 v130, v135, v8
	v_mov_b32_e32 v8, 0
	v_dot4c_i32_i8_e32 v8, v137, v2
	v_or_b32_sdwa v131, v131, v133 dst_sel:DWORD dst_unused:UNUSED_PAD src0_sel:BYTE_0 src1_sel:DWORD
	v_dot4c_i32_i8_e32 v8, v138, v3
	v_or_b32_sdwa v128, v131, v128 dst_sel:DWORD dst_unused:UNUSED_PAD src0_sel:WORD_0 src1_sel:DWORD
	v_dot4c_i32_i8_e32 v130, v136, v9
	s_waitcnt lgkmcnt(0)
	v_lshrrev_b16_e32 v7, 8, v6
	v_bfe_i32 v6, v6, 0, 8
	v_dot4c_i32_i8_e32 v8, v127, v4
	v_mul_lo_u32 v6, v130, v6
	v_dot4c_i32_i8_e32 v8, v128, v5
	v_bfe_i32 v2, v7, 0, 8
	s_add_i32 s3, s3, 2
	s_add_i32 s24, s24, 1
	v_mad_u64_u32 v[2:3], s[36:37], v8, v2, v[6:7]
	v_cvt_f32_i32_e32 v2, v2
	v_mul_f32_e32 v3, v125, v129
	s_cmp_lt_u32 s25, 14
	v_fmac_f32_e32 v11, v3, v2
	s_cbranch_scc1 .LBB190_20
; %bb.21:                               ;   in Loop: Header=BB190_5 Depth=1
	s_or_b32 s2, s34, 0x100
	s_cmp_ge_i32 s2, s5
	s_barrier
	s_cbranch_scc1 .LBB190_4
; %bb.22:                               ;   in Loop: Header=BB190_5 Depth=1
	v_add_u32_e32 v2, s33, v55
	v_cmp_gt_i32_e64 s[2:3], s8, v2
	s_and_b64 s[24:25], s[0:1], s[2:3]
	s_and_saveexec_b64 s[2:3], s[24:25]
	s_cbranch_execz .LBB190_24
; %bb.23:                               ;   in Loop: Header=BB190_5 Depth=1
	v_add_u32_e32 v2, v116, v2
	v_mad_i64_i32 v[2:3], s[24:25], v2, 36, v[114:115]
	global_load_dword v2, v[2:3], off offset:4
	s_waitcnt vmcnt(0)
	ds_write_b32 v23, v2
.LBB190_24:                             ;   in Loop: Header=BB190_5 Depth=1
	s_or_b64 exec, exec, s[2:3]
	s_and_saveexec_b64 s[24:25], vcc
	s_cbranch_execz .LBB190_27
; %bb.25:                               ;   in Loop: Header=BB190_5 Depth=1
	v_or_b32_e32 v2, s33, v15
	v_or_b32_e32 v3, 8, v2
	v_cmp_gt_i32_e64 s[2:3], s8, v3
	s_and_b64 s[2:3], s[0:1], s[2:3]
	s_and_b64 exec, exec, s[2:3]
	s_cbranch_execz .LBB190_27
; %bb.26:                               ;   in Loop: Header=BB190_5 Depth=1
	v_ashrrev_i32_e32 v3, 31, v2
	v_lshl_add_u64 v[2:3], v[116:117], 0, v[2:3]
	v_mad_u64_u32 v[4:5], s[2:3], v2, 36, s[18:19]
	v_mad_i32_i24 v5, v3, 36, v5
	global_load_dword v2, v[4:5], off
	s_waitcnt vmcnt(0)
	v_cvt_f32_f16_e32 v2, v2
	ds_write_b32 v25, v2
.LBB190_27:                             ;   in Loop: Header=BB190_5 Depth=1
	s_or_b64 exec, exec, s[24:25]
	s_mov_b32 s2, 16
	s_mov_b32 s36, 14
	s_mov_b32 s3, 0
	v_mov_b32_e32 v123, v73
	v_mov_b32_e32 v124, v75
	s_waitcnt lgkmcnt(0)
	s_barrier
.LBB190_28:                             ;   Parent Loop BB190_5 Depth=1
                                        ; =>  This Inner Loop Header: Depth=2
	s_add_i32 s24, s36, 2
	s_lshr_b32 s39, s24, 4
	s_and_b32 s37, s24, 0x3ffffff8
	s_lshl_b32 s35, s39, 3
	s_lshl_b32 s37, s37, 2
	v_add_lshl_u32 v132, v29, s35, 2
	v_add_u32_e32 v130, s37, v31
	v_add_u32_e32 v128, 0x4200, v132
	ds_read_b32 v125, v124
	ds_read_b128 v[6:9], v123
	ds_read_b128 v[2:5], v123 offset:16
	ds_read2_b32 v[126:127], v130 offset1:1
	ds_read2_b32 v[128:129], v128 offset1:1
	s_add_i32 s25, s36, -14
	s_and_b32 s38, s2, -16
	s_add_i32 s36, s36, s38
	s_waitcnt lgkmcnt(1)
	v_ashrrev_i32_e32 v126, s25, v126
	s_waitcnt lgkmcnt(0)
	v_ashrrev_i32_e32 v128, s3, v128
	v_lshlrev_b32_e32 v128, 2, v128
	v_and_b32_e32 v131, 0x3030303, v126
	v_bfe_u32 v126, v126, 24, 2
	v_and_b32_e32 v128, 0x4040404, v128
	v_sub_u16_e32 v133, v131, v128
	v_sub_u16_sdwa v134, v131, v128 dst_sel:BYTE_1 dst_unused:UNUSED_PAD src0_sel:BYTE_1 src1_sel:BYTE_1
	v_sub_u16_sdwa v126, v126, v128 dst_sel:BYTE_1 dst_unused:UNUSED_PAD src0_sel:DWORD src1_sel:BYTE_3
	v_sub_u16_sdwa v128, v131, v128 dst_sel:DWORD dst_unused:UNUSED_PAD src0_sel:WORD_1 src1_sel:WORD_1
	v_or_b32_sdwa v133, v133, v134 dst_sel:DWORD dst_unused:UNUSED_PAD src0_sel:BYTE_0 src1_sel:DWORD
	v_or_b32_sdwa v126, v128, v126 dst_sel:WORD_1 dst_unused:UNUSED_PAD src0_sel:BYTE_0 src1_sel:DWORD
	v_ashrrev_i32_e32 v128, s3, v129
	v_or_b32_sdwa v131, v133, v126 dst_sel:DWORD dst_unused:UNUSED_PAD src0_sel:WORD_0 src1_sel:DWORD
	v_ashrrev_i32_e32 v126, s25, v127
	v_lshlrev_b32_e32 v128, 2, v128
	v_and_b32_e32 v127, 0x3030303, v126
	v_bfe_u32 v126, v126, 24, 2
	v_and_b32_e32 v128, 0x4040404, v128
	v_sub_u16_e32 v129, v127, v128
	v_sub_u16_sdwa v133, v127, v128 dst_sel:BYTE_1 dst_unused:UNUSED_PAD src0_sel:BYTE_1 src1_sel:BYTE_1
	v_sub_u16_sdwa v126, v126, v128 dst_sel:BYTE_1 dst_unused:UNUSED_PAD src0_sel:DWORD src1_sel:BYTE_3
	v_sub_u16_sdwa v127, v127, v128 dst_sel:DWORD dst_unused:UNUSED_PAD src0_sel:WORD_1 src1_sel:WORD_1
	v_or_b32_sdwa v129, v129, v133 dst_sel:DWORD dst_unused:UNUSED_PAD src0_sel:BYTE_0 src1_sel:DWORD
	v_or_b32_sdwa v126, v127, v126 dst_sel:WORD_1 dst_unused:UNUSED_PAD src0_sel:BYTE_0 src1_sel:DWORD
	v_add_u32_e32 v128, 0x4208, v132
	v_or_b32_sdwa v133, v129, v126 dst_sel:DWORD dst_unused:UNUSED_PAD src0_sel:WORD_0 src1_sel:DWORD
	ds_read2_b32 v[126:127], v130 offset0:2 offset1:3
	ds_read2_b32 v[128:129], v128 offset1:1
	s_lshl_b32 s38, s39, 2
	s_add_i32 s2, s2, 2
	v_add_u32_e32 v124, 4, v124
	s_waitcnt lgkmcnt(1)
	v_ashrrev_i32_e32 v126, s25, v126
	s_waitcnt lgkmcnt(0)
	v_ashrrev_i32_e32 v128, s3, v128
	v_lshlrev_b32_e32 v128, 2, v128
	v_and_b32_e32 v134, 0x3030303, v126
	v_bfe_u32 v126, v126, 24, 2
	v_and_b32_e32 v128, 0x4040404, v128
	v_sub_u16_e32 v135, v134, v128
	v_sub_u16_sdwa v136, v134, v128 dst_sel:BYTE_1 dst_unused:UNUSED_PAD src0_sel:BYTE_1 src1_sel:BYTE_1
	v_sub_u16_sdwa v126, v126, v128 dst_sel:BYTE_1 dst_unused:UNUSED_PAD src0_sel:DWORD src1_sel:BYTE_3
	v_sub_u16_sdwa v128, v134, v128 dst_sel:DWORD dst_unused:UNUSED_PAD src0_sel:WORD_1 src1_sel:WORD_1
	v_or_b32_sdwa v135, v135, v136 dst_sel:DWORD dst_unused:UNUSED_PAD src0_sel:BYTE_0 src1_sel:DWORD
	v_or_b32_sdwa v126, v128, v126 dst_sel:WORD_1 dst_unused:UNUSED_PAD src0_sel:BYTE_0 src1_sel:DWORD
	v_ashrrev_i32_e32 v128, s3, v129
	v_or_b32_sdwa v134, v135, v126 dst_sel:DWORD dst_unused:UNUSED_PAD src0_sel:WORD_0 src1_sel:DWORD
	v_ashrrev_i32_e32 v126, s25, v127
	v_lshlrev_b32_e32 v128, 2, v128
	v_and_b32_e32 v127, 0x3030303, v126
	v_bfe_u32 v126, v126, 24, 2
	v_and_b32_e32 v128, 0x4040404, v128
	v_sub_u16_e32 v129, v127, v128
	v_sub_u16_sdwa v135, v127, v128 dst_sel:BYTE_1 dst_unused:UNUSED_PAD src0_sel:BYTE_1 src1_sel:BYTE_1
	v_sub_u16_sdwa v126, v126, v128 dst_sel:BYTE_1 dst_unused:UNUSED_PAD src0_sel:DWORD src1_sel:BYTE_3
	v_sub_u16_sdwa v127, v127, v128 dst_sel:DWORD dst_unused:UNUSED_PAD src0_sel:WORD_1 src1_sel:WORD_1
	v_or_b32_sdwa v129, v129, v135 dst_sel:DWORD dst_unused:UNUSED_PAD src0_sel:BYTE_0 src1_sel:DWORD
	v_or_b32_sdwa v126, v127, v126 dst_sel:WORD_1 dst_unused:UNUSED_PAD src0_sel:BYTE_0 src1_sel:DWORD
	v_add_u32_e32 v128, 0x4210, v132
	v_or_b32_sdwa v135, v129, v126 dst_sel:DWORD dst_unused:UNUSED_PAD src0_sel:WORD_0 src1_sel:DWORD
	ds_read2_b32 v[126:127], v130 offset0:4 offset1:5
	ds_read2_b32 v[128:129], v128 offset1:1
	v_add_u32_e32 v123, 32, v123
	s_waitcnt lgkmcnt(1)
	v_ashrrev_i32_e32 v126, s25, v126
	s_waitcnt lgkmcnt(0)
	v_ashrrev_i32_e32 v128, s3, v128
	v_lshlrev_b32_e32 v128, 2, v128
	v_and_b32_e32 v136, 0x3030303, v126
	v_bfe_u32 v126, v126, 24, 2
	v_and_b32_e32 v128, 0x4040404, v128
	v_sub_u16_e32 v137, v136, v128
	v_sub_u16_sdwa v138, v136, v128 dst_sel:BYTE_1 dst_unused:UNUSED_PAD src0_sel:BYTE_1 src1_sel:BYTE_1
	v_sub_u16_sdwa v126, v126, v128 dst_sel:BYTE_1 dst_unused:UNUSED_PAD src0_sel:DWORD src1_sel:BYTE_3
	v_sub_u16_sdwa v128, v136, v128 dst_sel:DWORD dst_unused:UNUSED_PAD src0_sel:WORD_1 src1_sel:WORD_1
	v_or_b32_sdwa v137, v137, v138 dst_sel:DWORD dst_unused:UNUSED_PAD src0_sel:BYTE_0 src1_sel:DWORD
	v_or_b32_sdwa v126, v128, v126 dst_sel:WORD_1 dst_unused:UNUSED_PAD src0_sel:BYTE_0 src1_sel:DWORD
	v_ashrrev_i32_e32 v128, s3, v129
	v_or_b32_sdwa v136, v137, v126 dst_sel:DWORD dst_unused:UNUSED_PAD src0_sel:WORD_0 src1_sel:DWORD
	v_ashrrev_i32_e32 v126, s25, v127
	v_lshlrev_b32_e32 v128, 2, v128
	v_and_b32_e32 v127, 0x3030303, v126
	v_bfe_u32 v126, v126, 24, 2
	v_and_b32_e32 v128, 0x4040404, v128
	v_sub_u16_e32 v129, v127, v128
	v_sub_u16_sdwa v137, v127, v128 dst_sel:BYTE_1 dst_unused:UNUSED_PAD src0_sel:BYTE_1 src1_sel:BYTE_1
	v_sub_u16_sdwa v126, v126, v128 dst_sel:BYTE_1 dst_unused:UNUSED_PAD src0_sel:DWORD src1_sel:BYTE_3
	v_sub_u16_sdwa v127, v127, v128 dst_sel:DWORD dst_unused:UNUSED_PAD src0_sel:WORD_1 src1_sel:WORD_1
	v_or_b32_sdwa v129, v129, v137 dst_sel:DWORD dst_unused:UNUSED_PAD src0_sel:BYTE_0 src1_sel:DWORD
	v_or_b32_sdwa v126, v127, v126 dst_sel:WORD_1 dst_unused:UNUSED_PAD src0_sel:BYTE_0 src1_sel:DWORD
	v_add_u32_e32 v128, 0x4218, v132
	v_or_b32_sdwa v137, v129, v126 dst_sel:DWORD dst_unused:UNUSED_PAD src0_sel:WORD_0 src1_sel:DWORD
	ds_read2_b32 v[126:127], v130 offset0:6 offset1:7
	ds_read2_b32 v[128:129], v128 offset1:1
	s_waitcnt lgkmcnt(1)
	v_ashrrev_i32_e32 v126, s25, v126
	s_waitcnt lgkmcnt(0)
	v_ashrrev_i32_e32 v128, s3, v128
	v_lshlrev_b32_e32 v128, 2, v128
	v_and_b32_e32 v130, 0x3030303, v126
	v_bfe_u32 v126, v126, 24, 2
	v_and_b32_e32 v128, 0x4040404, v128
	v_sub_u16_e32 v132, v130, v128
	v_sub_u16_sdwa v138, v130, v128 dst_sel:BYTE_1 dst_unused:UNUSED_PAD src0_sel:BYTE_1 src1_sel:BYTE_1
	v_sub_u16_sdwa v126, v126, v128 dst_sel:BYTE_1 dst_unused:UNUSED_PAD src0_sel:DWORD src1_sel:BYTE_3
	v_sub_u16_sdwa v128, v130, v128 dst_sel:DWORD dst_unused:UNUSED_PAD src0_sel:WORD_1 src1_sel:WORD_1
	v_or_b32_sdwa v132, v132, v138 dst_sel:DWORD dst_unused:UNUSED_PAD src0_sel:BYTE_0 src1_sel:DWORD
	v_or_b32_sdwa v126, v128, v126 dst_sel:WORD_1 dst_unused:UNUSED_PAD src0_sel:BYTE_0 src1_sel:DWORD
	v_ashrrev_i32_e32 v129, s3, v129
	v_or_b32_sdwa v128, v132, v126 dst_sel:DWORD dst_unused:UNUSED_PAD src0_sel:WORD_0 src1_sel:DWORD
	v_ashrrev_i32_e32 v126, s25, v127
	v_lshlrev_b32_e32 v129, 2, v129
	v_and_b32_e32 v127, 0x3030303, v126
	v_bfe_u32 v126, v126, 24, 2
	v_and_b32_e32 v129, 0x4040404, v129
	v_sub_u16_e32 v130, v127, v129
	v_sub_u16_sdwa v132, v127, v129 dst_sel:BYTE_1 dst_unused:UNUSED_PAD src0_sel:BYTE_1 src1_sel:BYTE_1
	v_sub_u16_sdwa v126, v126, v129 dst_sel:BYTE_1 dst_unused:UNUSED_PAD src0_sel:DWORD src1_sel:BYTE_3
	v_sub_u16_sdwa v127, v127, v129 dst_sel:DWORD dst_unused:UNUSED_PAD src0_sel:WORD_1 src1_sel:WORD_1
	v_or_b32_sdwa v130, v130, v132 dst_sel:DWORD dst_unused:UNUSED_PAD src0_sel:BYTE_0 src1_sel:DWORD
	v_or_b32_sdwa v126, v127, v126 dst_sel:WORD_1 dst_unused:UNUSED_PAD src0_sel:BYTE_0 src1_sel:DWORD
	v_add_u32_e32 v129, s38, v33
	v_or_b32_sdwa v127, v130, v126 dst_sel:DWORD dst_unused:UNUSED_PAD src0_sel:WORD_0 src1_sel:DWORD
	v_add_u32_e32 v126, s36, v93
	ds_read_b32 v129, v129
	ds_read_u16 v126, v126 offset:25330
	v_mov_b32_e32 v130, 0
	v_dot4c_i32_i8_e32 v130, v131, v6
	v_dot4c_i32_i8_e32 v130, v133, v7
	;; [unrolled: 1-line block ×4, first 2 shown]
	s_waitcnt lgkmcnt(0)
	v_lshrrev_b16_e32 v131, 8, v126
	v_bfe_i32 v126, v126, 0, 8
	v_add_lshl_u32 v132, v35, s35, 2
	v_mul_lo_u32 v126, v130, v126
	v_mov_b32_e32 v130, 0
	v_dot4c_i32_i8_e32 v130, v136, v2
	v_dot4c_i32_i8_e32 v130, v137, v3
	;; [unrolled: 1-line block ×4, first 2 shown]
	v_bfe_i32 v127, v131, 0, 8
	v_add_u32_e32 v128, 0x4200, v132
	s_nop 0
	v_mad_u64_u32 v[126:127], s[40:41], v130, v127, v[126:127]
	v_cvt_f32_i32_e32 v126, v126
	v_mul_f32_e32 v127, v125, v129
	v_add_u32_e32 v130, s37, v37
	ds_read2_b32 v[128:129], v128 offset1:1
	v_fmac_f32_e32 v65, v127, v126
	ds_read2_b32 v[126:127], v130 offset1:1
	s_waitcnt lgkmcnt(1)
	v_ashrrev_i32_e32 v128, s3, v128
	v_lshlrev_b32_e32 v128, 2, v128
	s_waitcnt lgkmcnt(0)
	v_ashrrev_i32_e32 v126, s25, v126
	v_and_b32_e32 v131, 0x3030303, v126
	v_bfe_u32 v126, v126, 24, 2
	v_and_b32_e32 v128, 0x4040404, v128
	v_sub_u16_e32 v133, v131, v128
	v_sub_u16_sdwa v134, v131, v128 dst_sel:BYTE_1 dst_unused:UNUSED_PAD src0_sel:BYTE_1 src1_sel:BYTE_1
	v_sub_u16_sdwa v126, v126, v128 dst_sel:BYTE_1 dst_unused:UNUSED_PAD src0_sel:DWORD src1_sel:BYTE_3
	v_sub_u16_sdwa v128, v131, v128 dst_sel:DWORD dst_unused:UNUSED_PAD src0_sel:WORD_1 src1_sel:WORD_1
	v_or_b32_sdwa v133, v133, v134 dst_sel:DWORD dst_unused:UNUSED_PAD src0_sel:BYTE_0 src1_sel:DWORD
	v_or_b32_sdwa v126, v128, v126 dst_sel:WORD_1 dst_unused:UNUSED_PAD src0_sel:BYTE_0 src1_sel:DWORD
	v_ashrrev_i32_e32 v128, s3, v129
	v_or_b32_sdwa v131, v133, v126 dst_sel:DWORD dst_unused:UNUSED_PAD src0_sel:WORD_0 src1_sel:DWORD
	v_ashrrev_i32_e32 v126, s25, v127
	v_lshlrev_b32_e32 v128, 2, v128
	v_and_b32_e32 v127, 0x3030303, v126
	v_bfe_u32 v126, v126, 24, 2
	v_and_b32_e32 v128, 0x4040404, v128
	v_sub_u16_e32 v129, v127, v128
	v_sub_u16_sdwa v133, v127, v128 dst_sel:BYTE_1 dst_unused:UNUSED_PAD src0_sel:BYTE_1 src1_sel:BYTE_1
	v_sub_u16_sdwa v126, v126, v128 dst_sel:BYTE_1 dst_unused:UNUSED_PAD src0_sel:DWORD src1_sel:BYTE_3
	v_sub_u16_sdwa v127, v127, v128 dst_sel:DWORD dst_unused:UNUSED_PAD src0_sel:WORD_1 src1_sel:WORD_1
	v_or_b32_sdwa v129, v129, v133 dst_sel:DWORD dst_unused:UNUSED_PAD src0_sel:BYTE_0 src1_sel:DWORD
	v_or_b32_sdwa v126, v127, v126 dst_sel:WORD_1 dst_unused:UNUSED_PAD src0_sel:BYTE_0 src1_sel:DWORD
	v_add_u32_e32 v128, 0x4208, v132
	v_or_b32_sdwa v133, v129, v126 dst_sel:DWORD dst_unused:UNUSED_PAD src0_sel:WORD_0 src1_sel:DWORD
	ds_read2_b32 v[126:127], v130 offset0:2 offset1:3
	ds_read2_b32 v[128:129], v128 offset1:1
	s_waitcnt lgkmcnt(1)
	v_ashrrev_i32_e32 v126, s25, v126
	s_waitcnt lgkmcnt(0)
	v_ashrrev_i32_e32 v128, s3, v128
	v_lshlrev_b32_e32 v128, 2, v128
	v_and_b32_e32 v134, 0x3030303, v126
	v_bfe_u32 v126, v126, 24, 2
	v_and_b32_e32 v128, 0x4040404, v128
	v_sub_u16_e32 v135, v134, v128
	v_sub_u16_sdwa v136, v134, v128 dst_sel:BYTE_1 dst_unused:UNUSED_PAD src0_sel:BYTE_1 src1_sel:BYTE_1
	v_sub_u16_sdwa v126, v126, v128 dst_sel:BYTE_1 dst_unused:UNUSED_PAD src0_sel:DWORD src1_sel:BYTE_3
	v_sub_u16_sdwa v128, v134, v128 dst_sel:DWORD dst_unused:UNUSED_PAD src0_sel:WORD_1 src1_sel:WORD_1
	v_or_b32_sdwa v135, v135, v136 dst_sel:DWORD dst_unused:UNUSED_PAD src0_sel:BYTE_0 src1_sel:DWORD
	v_or_b32_sdwa v126, v128, v126 dst_sel:WORD_1 dst_unused:UNUSED_PAD src0_sel:BYTE_0 src1_sel:DWORD
	v_ashrrev_i32_e32 v128, s3, v129
	v_or_b32_sdwa v134, v135, v126 dst_sel:DWORD dst_unused:UNUSED_PAD src0_sel:WORD_0 src1_sel:DWORD
	v_ashrrev_i32_e32 v126, s25, v127
	v_lshlrev_b32_e32 v128, 2, v128
	v_and_b32_e32 v127, 0x3030303, v126
	v_bfe_u32 v126, v126, 24, 2
	v_and_b32_e32 v128, 0x4040404, v128
	v_sub_u16_e32 v129, v127, v128
	v_sub_u16_sdwa v135, v127, v128 dst_sel:BYTE_1 dst_unused:UNUSED_PAD src0_sel:BYTE_1 src1_sel:BYTE_1
	v_sub_u16_sdwa v126, v126, v128 dst_sel:BYTE_1 dst_unused:UNUSED_PAD src0_sel:DWORD src1_sel:BYTE_3
	v_sub_u16_sdwa v127, v127, v128 dst_sel:DWORD dst_unused:UNUSED_PAD src0_sel:WORD_1 src1_sel:WORD_1
	v_or_b32_sdwa v129, v129, v135 dst_sel:DWORD dst_unused:UNUSED_PAD src0_sel:BYTE_0 src1_sel:DWORD
	v_or_b32_sdwa v126, v127, v126 dst_sel:WORD_1 dst_unused:UNUSED_PAD src0_sel:BYTE_0 src1_sel:DWORD
	v_add_u32_e32 v128, 0x4210, v132
	v_or_b32_sdwa v135, v129, v126 dst_sel:DWORD dst_unused:UNUSED_PAD src0_sel:WORD_0 src1_sel:DWORD
	ds_read2_b32 v[126:127], v130 offset0:4 offset1:5
	ds_read2_b32 v[128:129], v128 offset1:1
	s_waitcnt lgkmcnt(1)
	v_ashrrev_i32_e32 v126, s25, v126
	s_waitcnt lgkmcnt(0)
	v_ashrrev_i32_e32 v128, s3, v128
	v_lshlrev_b32_e32 v128, 2, v128
	;; [unrolled: 31-line block ×3, first 2 shown]
	v_and_b32_e32 v130, 0x3030303, v126
	v_bfe_u32 v126, v126, 24, 2
	v_and_b32_e32 v128, 0x4040404, v128
	v_sub_u16_e32 v132, v130, v128
	v_sub_u16_sdwa v138, v130, v128 dst_sel:BYTE_1 dst_unused:UNUSED_PAD src0_sel:BYTE_1 src1_sel:BYTE_1
	v_sub_u16_sdwa v126, v126, v128 dst_sel:BYTE_1 dst_unused:UNUSED_PAD src0_sel:DWORD src1_sel:BYTE_3
	v_sub_u16_sdwa v128, v130, v128 dst_sel:DWORD dst_unused:UNUSED_PAD src0_sel:WORD_1 src1_sel:WORD_1
	v_or_b32_sdwa v132, v132, v138 dst_sel:DWORD dst_unused:UNUSED_PAD src0_sel:BYTE_0 src1_sel:DWORD
	v_or_b32_sdwa v126, v128, v126 dst_sel:WORD_1 dst_unused:UNUSED_PAD src0_sel:BYTE_0 src1_sel:DWORD
	v_ashrrev_i32_e32 v129, s3, v129
	v_or_b32_sdwa v128, v132, v126 dst_sel:DWORD dst_unused:UNUSED_PAD src0_sel:WORD_0 src1_sel:DWORD
	v_ashrrev_i32_e32 v126, s25, v127
	v_lshlrev_b32_e32 v129, 2, v129
	v_and_b32_e32 v127, 0x3030303, v126
	v_bfe_u32 v126, v126, 24, 2
	v_and_b32_e32 v129, 0x4040404, v129
	v_sub_u16_e32 v130, v127, v129
	v_sub_u16_sdwa v132, v127, v129 dst_sel:BYTE_1 dst_unused:UNUSED_PAD src0_sel:BYTE_1 src1_sel:BYTE_1
	v_sub_u16_sdwa v126, v126, v129 dst_sel:BYTE_1 dst_unused:UNUSED_PAD src0_sel:DWORD src1_sel:BYTE_3
	v_sub_u16_sdwa v127, v127, v129 dst_sel:DWORD dst_unused:UNUSED_PAD src0_sel:WORD_1 src1_sel:WORD_1
	v_or_b32_sdwa v130, v130, v132 dst_sel:DWORD dst_unused:UNUSED_PAD src0_sel:BYTE_0 src1_sel:DWORD
	v_or_b32_sdwa v126, v127, v126 dst_sel:WORD_1 dst_unused:UNUSED_PAD src0_sel:BYTE_0 src1_sel:DWORD
	v_add_u32_e32 v129, s38, v39
	v_or_b32_sdwa v127, v130, v126 dst_sel:DWORD dst_unused:UNUSED_PAD src0_sel:WORD_0 src1_sel:DWORD
	v_add_u32_e32 v126, s36, v91
	ds_read_b32 v129, v129
	ds_read_u16 v126, v126 offset:26354
	v_mov_b32_e32 v130, 0
	v_dot4c_i32_i8_e32 v130, v131, v6
	v_dot4c_i32_i8_e32 v130, v133, v7
	;; [unrolled: 1-line block ×4, first 2 shown]
	s_waitcnt lgkmcnt(0)
	v_lshrrev_b16_e32 v131, 8, v126
	v_bfe_i32 v126, v126, 0, 8
	v_add_lshl_u32 v132, v41, s35, 2
	v_mul_lo_u32 v126, v130, v126
	v_mov_b32_e32 v130, 0
	v_dot4c_i32_i8_e32 v130, v136, v2
	v_dot4c_i32_i8_e32 v130, v137, v3
	;; [unrolled: 1-line block ×4, first 2 shown]
	v_bfe_i32 v127, v131, 0, 8
	v_add_u32_e32 v128, 0x4200, v132
	s_nop 0
	v_mad_u64_u32 v[126:127], s[40:41], v130, v127, v[126:127]
	v_cvt_f32_i32_e32 v126, v126
	v_mul_f32_e32 v127, v125, v129
	v_add_u32_e32 v130, s37, v43
	ds_read2_b32 v[128:129], v128 offset1:1
	v_fmac_f32_e32 v61, v127, v126
	ds_read2_b32 v[126:127], v130 offset1:1
	s_waitcnt lgkmcnt(1)
	v_ashrrev_i32_e32 v128, s3, v128
	v_lshlrev_b32_e32 v128, 2, v128
	s_waitcnt lgkmcnt(0)
	v_ashrrev_i32_e32 v126, s25, v126
	v_and_b32_e32 v131, 0x3030303, v126
	v_bfe_u32 v126, v126, 24, 2
	v_and_b32_e32 v128, 0x4040404, v128
	v_sub_u16_e32 v133, v131, v128
	v_sub_u16_sdwa v134, v131, v128 dst_sel:BYTE_1 dst_unused:UNUSED_PAD src0_sel:BYTE_1 src1_sel:BYTE_1
	v_sub_u16_sdwa v126, v126, v128 dst_sel:BYTE_1 dst_unused:UNUSED_PAD src0_sel:DWORD src1_sel:BYTE_3
	v_sub_u16_sdwa v128, v131, v128 dst_sel:DWORD dst_unused:UNUSED_PAD src0_sel:WORD_1 src1_sel:WORD_1
	v_or_b32_sdwa v133, v133, v134 dst_sel:DWORD dst_unused:UNUSED_PAD src0_sel:BYTE_0 src1_sel:DWORD
	v_or_b32_sdwa v126, v128, v126 dst_sel:WORD_1 dst_unused:UNUSED_PAD src0_sel:BYTE_0 src1_sel:DWORD
	v_ashrrev_i32_e32 v128, s3, v129
	v_or_b32_sdwa v131, v133, v126 dst_sel:DWORD dst_unused:UNUSED_PAD src0_sel:WORD_0 src1_sel:DWORD
	v_ashrrev_i32_e32 v126, s25, v127
	v_lshlrev_b32_e32 v128, 2, v128
	v_and_b32_e32 v127, 0x3030303, v126
	v_bfe_u32 v126, v126, 24, 2
	v_and_b32_e32 v128, 0x4040404, v128
	v_sub_u16_e32 v129, v127, v128
	v_sub_u16_sdwa v133, v127, v128 dst_sel:BYTE_1 dst_unused:UNUSED_PAD src0_sel:BYTE_1 src1_sel:BYTE_1
	v_sub_u16_sdwa v126, v126, v128 dst_sel:BYTE_1 dst_unused:UNUSED_PAD src0_sel:DWORD src1_sel:BYTE_3
	v_sub_u16_sdwa v127, v127, v128 dst_sel:DWORD dst_unused:UNUSED_PAD src0_sel:WORD_1 src1_sel:WORD_1
	v_or_b32_sdwa v129, v129, v133 dst_sel:DWORD dst_unused:UNUSED_PAD src0_sel:BYTE_0 src1_sel:DWORD
	v_or_b32_sdwa v126, v127, v126 dst_sel:WORD_1 dst_unused:UNUSED_PAD src0_sel:BYTE_0 src1_sel:DWORD
	v_add_u32_e32 v128, 0x4208, v132
	v_or_b32_sdwa v133, v129, v126 dst_sel:DWORD dst_unused:UNUSED_PAD src0_sel:WORD_0 src1_sel:DWORD
	ds_read2_b32 v[126:127], v130 offset0:2 offset1:3
	ds_read2_b32 v[128:129], v128 offset1:1
	s_waitcnt lgkmcnt(1)
	v_ashrrev_i32_e32 v126, s25, v126
	s_waitcnt lgkmcnt(0)
	v_ashrrev_i32_e32 v128, s3, v128
	v_lshlrev_b32_e32 v128, 2, v128
	v_and_b32_e32 v134, 0x3030303, v126
	v_bfe_u32 v126, v126, 24, 2
	v_and_b32_e32 v128, 0x4040404, v128
	v_sub_u16_e32 v135, v134, v128
	v_sub_u16_sdwa v136, v134, v128 dst_sel:BYTE_1 dst_unused:UNUSED_PAD src0_sel:BYTE_1 src1_sel:BYTE_1
	v_sub_u16_sdwa v126, v126, v128 dst_sel:BYTE_1 dst_unused:UNUSED_PAD src0_sel:DWORD src1_sel:BYTE_3
	v_sub_u16_sdwa v128, v134, v128 dst_sel:DWORD dst_unused:UNUSED_PAD src0_sel:WORD_1 src1_sel:WORD_1
	v_or_b32_sdwa v135, v135, v136 dst_sel:DWORD dst_unused:UNUSED_PAD src0_sel:BYTE_0 src1_sel:DWORD
	v_or_b32_sdwa v126, v128, v126 dst_sel:WORD_1 dst_unused:UNUSED_PAD src0_sel:BYTE_0 src1_sel:DWORD
	v_ashrrev_i32_e32 v128, s3, v129
	v_or_b32_sdwa v134, v135, v126 dst_sel:DWORD dst_unused:UNUSED_PAD src0_sel:WORD_0 src1_sel:DWORD
	v_ashrrev_i32_e32 v126, s25, v127
	v_lshlrev_b32_e32 v128, 2, v128
	v_and_b32_e32 v127, 0x3030303, v126
	v_bfe_u32 v126, v126, 24, 2
	v_and_b32_e32 v128, 0x4040404, v128
	v_sub_u16_e32 v129, v127, v128
	v_sub_u16_sdwa v135, v127, v128 dst_sel:BYTE_1 dst_unused:UNUSED_PAD src0_sel:BYTE_1 src1_sel:BYTE_1
	v_sub_u16_sdwa v126, v126, v128 dst_sel:BYTE_1 dst_unused:UNUSED_PAD src0_sel:DWORD src1_sel:BYTE_3
	v_sub_u16_sdwa v127, v127, v128 dst_sel:DWORD dst_unused:UNUSED_PAD src0_sel:WORD_1 src1_sel:WORD_1
	v_or_b32_sdwa v129, v129, v135 dst_sel:DWORD dst_unused:UNUSED_PAD src0_sel:BYTE_0 src1_sel:DWORD
	v_or_b32_sdwa v126, v127, v126 dst_sel:WORD_1 dst_unused:UNUSED_PAD src0_sel:BYTE_0 src1_sel:DWORD
	v_add_u32_e32 v128, 0x4210, v132
	v_or_b32_sdwa v135, v129, v126 dst_sel:DWORD dst_unused:UNUSED_PAD src0_sel:WORD_0 src1_sel:DWORD
	ds_read2_b32 v[126:127], v130 offset0:4 offset1:5
	ds_read2_b32 v[128:129], v128 offset1:1
	s_waitcnt lgkmcnt(1)
	v_ashrrev_i32_e32 v126, s25, v126
	s_waitcnt lgkmcnt(0)
	v_ashrrev_i32_e32 v128, s3, v128
	v_lshlrev_b32_e32 v128, 2, v128
	;; [unrolled: 31-line block ×3, first 2 shown]
	v_and_b32_e32 v130, 0x3030303, v126
	v_bfe_u32 v126, v126, 24, 2
	v_and_b32_e32 v128, 0x4040404, v128
	v_sub_u16_e32 v132, v130, v128
	v_sub_u16_sdwa v138, v130, v128 dst_sel:BYTE_1 dst_unused:UNUSED_PAD src0_sel:BYTE_1 src1_sel:BYTE_1
	v_sub_u16_sdwa v126, v126, v128 dst_sel:BYTE_1 dst_unused:UNUSED_PAD src0_sel:DWORD src1_sel:BYTE_3
	v_sub_u16_sdwa v128, v130, v128 dst_sel:DWORD dst_unused:UNUSED_PAD src0_sel:WORD_1 src1_sel:WORD_1
	v_or_b32_sdwa v132, v132, v138 dst_sel:DWORD dst_unused:UNUSED_PAD src0_sel:BYTE_0 src1_sel:DWORD
	v_or_b32_sdwa v126, v128, v126 dst_sel:WORD_1 dst_unused:UNUSED_PAD src0_sel:BYTE_0 src1_sel:DWORD
	v_ashrrev_i32_e32 v129, s3, v129
	v_or_b32_sdwa v128, v132, v126 dst_sel:DWORD dst_unused:UNUSED_PAD src0_sel:WORD_0 src1_sel:DWORD
	v_ashrrev_i32_e32 v126, s25, v127
	v_lshlrev_b32_e32 v129, 2, v129
	v_and_b32_e32 v127, 0x3030303, v126
	v_bfe_u32 v126, v126, 24, 2
	v_and_b32_e32 v129, 0x4040404, v129
	v_sub_u16_e32 v130, v127, v129
	v_sub_u16_sdwa v132, v127, v129 dst_sel:BYTE_1 dst_unused:UNUSED_PAD src0_sel:BYTE_1 src1_sel:BYTE_1
	v_sub_u16_sdwa v126, v126, v129 dst_sel:BYTE_1 dst_unused:UNUSED_PAD src0_sel:DWORD src1_sel:BYTE_3
	v_sub_u16_sdwa v127, v127, v129 dst_sel:DWORD dst_unused:UNUSED_PAD src0_sel:WORD_1 src1_sel:WORD_1
	v_or_b32_sdwa v130, v130, v132 dst_sel:DWORD dst_unused:UNUSED_PAD src0_sel:BYTE_0 src1_sel:DWORD
	v_or_b32_sdwa v126, v127, v126 dst_sel:WORD_1 dst_unused:UNUSED_PAD src0_sel:BYTE_0 src1_sel:DWORD
	v_add_u32_e32 v129, s38, v45
	v_or_b32_sdwa v127, v130, v126 dst_sel:DWORD dst_unused:UNUSED_PAD src0_sel:WORD_0 src1_sel:DWORD
	v_add_u32_e32 v126, s36, v89
	ds_read_b32 v129, v129
	ds_read_u16 v126, v126 offset:27378
	v_mov_b32_e32 v130, 0
	v_dot4c_i32_i8_e32 v130, v131, v6
	v_dot4c_i32_i8_e32 v130, v133, v7
	;; [unrolled: 1-line block ×4, first 2 shown]
	s_waitcnt lgkmcnt(0)
	v_lshrrev_b16_e32 v131, 8, v126
	v_bfe_i32 v126, v126, 0, 8
	v_add_lshl_u32 v132, v47, s35, 2
	v_mul_lo_u32 v126, v130, v126
	v_mov_b32_e32 v130, 0
	v_dot4c_i32_i8_e32 v130, v136, v2
	v_dot4c_i32_i8_e32 v130, v137, v3
	;; [unrolled: 1-line block ×4, first 2 shown]
	v_bfe_i32 v127, v131, 0, 8
	v_add_u32_e32 v128, 0x4200, v132
	s_nop 0
	v_mad_u64_u32 v[126:127], s[40:41], v130, v127, v[126:127]
	v_cvt_f32_i32_e32 v126, v126
	v_mul_f32_e32 v127, v125, v129
	v_add_u32_e32 v130, s37, v49
	ds_read2_b32 v[128:129], v128 offset1:1
	v_fmac_f32_e32 v59, v127, v126
	ds_read2_b32 v[126:127], v130 offset1:1
	s_waitcnt lgkmcnt(1)
	v_ashrrev_i32_e32 v128, s3, v128
	v_lshlrev_b32_e32 v128, 2, v128
	s_waitcnt lgkmcnt(0)
	v_ashrrev_i32_e32 v126, s25, v126
	v_and_b32_e32 v131, 0x3030303, v126
	v_bfe_u32 v126, v126, 24, 2
	v_and_b32_e32 v128, 0x4040404, v128
	v_sub_u16_e32 v133, v131, v128
	v_sub_u16_sdwa v134, v131, v128 dst_sel:BYTE_1 dst_unused:UNUSED_PAD src0_sel:BYTE_1 src1_sel:BYTE_1
	v_sub_u16_sdwa v126, v126, v128 dst_sel:BYTE_1 dst_unused:UNUSED_PAD src0_sel:DWORD src1_sel:BYTE_3
	v_sub_u16_sdwa v128, v131, v128 dst_sel:DWORD dst_unused:UNUSED_PAD src0_sel:WORD_1 src1_sel:WORD_1
	v_or_b32_sdwa v133, v133, v134 dst_sel:DWORD dst_unused:UNUSED_PAD src0_sel:BYTE_0 src1_sel:DWORD
	v_or_b32_sdwa v126, v128, v126 dst_sel:WORD_1 dst_unused:UNUSED_PAD src0_sel:BYTE_0 src1_sel:DWORD
	v_ashrrev_i32_e32 v128, s3, v129
	v_or_b32_sdwa v131, v133, v126 dst_sel:DWORD dst_unused:UNUSED_PAD src0_sel:WORD_0 src1_sel:DWORD
	v_ashrrev_i32_e32 v126, s25, v127
	v_lshlrev_b32_e32 v128, 2, v128
	v_and_b32_e32 v127, 0x3030303, v126
	v_bfe_u32 v126, v126, 24, 2
	v_and_b32_e32 v128, 0x4040404, v128
	v_sub_u16_e32 v129, v127, v128
	v_sub_u16_sdwa v133, v127, v128 dst_sel:BYTE_1 dst_unused:UNUSED_PAD src0_sel:BYTE_1 src1_sel:BYTE_1
	v_sub_u16_sdwa v126, v126, v128 dst_sel:BYTE_1 dst_unused:UNUSED_PAD src0_sel:DWORD src1_sel:BYTE_3
	v_sub_u16_sdwa v127, v127, v128 dst_sel:DWORD dst_unused:UNUSED_PAD src0_sel:WORD_1 src1_sel:WORD_1
	v_or_b32_sdwa v129, v129, v133 dst_sel:DWORD dst_unused:UNUSED_PAD src0_sel:BYTE_0 src1_sel:DWORD
	v_or_b32_sdwa v126, v127, v126 dst_sel:WORD_1 dst_unused:UNUSED_PAD src0_sel:BYTE_0 src1_sel:DWORD
	v_add_u32_e32 v128, 0x4208, v132
	v_or_b32_sdwa v133, v129, v126 dst_sel:DWORD dst_unused:UNUSED_PAD src0_sel:WORD_0 src1_sel:DWORD
	ds_read2_b32 v[126:127], v130 offset0:2 offset1:3
	ds_read2_b32 v[128:129], v128 offset1:1
	s_waitcnt lgkmcnt(1)
	v_ashrrev_i32_e32 v126, s25, v126
	s_waitcnt lgkmcnt(0)
	v_ashrrev_i32_e32 v128, s3, v128
	v_lshlrev_b32_e32 v128, 2, v128
	v_and_b32_e32 v134, 0x3030303, v126
	v_bfe_u32 v126, v126, 24, 2
	v_and_b32_e32 v128, 0x4040404, v128
	v_sub_u16_e32 v135, v134, v128
	v_sub_u16_sdwa v136, v134, v128 dst_sel:BYTE_1 dst_unused:UNUSED_PAD src0_sel:BYTE_1 src1_sel:BYTE_1
	v_sub_u16_sdwa v126, v126, v128 dst_sel:BYTE_1 dst_unused:UNUSED_PAD src0_sel:DWORD src1_sel:BYTE_3
	v_sub_u16_sdwa v128, v134, v128 dst_sel:DWORD dst_unused:UNUSED_PAD src0_sel:WORD_1 src1_sel:WORD_1
	v_or_b32_sdwa v135, v135, v136 dst_sel:DWORD dst_unused:UNUSED_PAD src0_sel:BYTE_0 src1_sel:DWORD
	v_or_b32_sdwa v126, v128, v126 dst_sel:WORD_1 dst_unused:UNUSED_PAD src0_sel:BYTE_0 src1_sel:DWORD
	v_ashrrev_i32_e32 v128, s3, v129
	v_or_b32_sdwa v134, v135, v126 dst_sel:DWORD dst_unused:UNUSED_PAD src0_sel:WORD_0 src1_sel:DWORD
	v_ashrrev_i32_e32 v126, s25, v127
	v_lshlrev_b32_e32 v128, 2, v128
	v_and_b32_e32 v127, 0x3030303, v126
	v_bfe_u32 v126, v126, 24, 2
	v_and_b32_e32 v128, 0x4040404, v128
	v_sub_u16_e32 v129, v127, v128
	v_sub_u16_sdwa v135, v127, v128 dst_sel:BYTE_1 dst_unused:UNUSED_PAD src0_sel:BYTE_1 src1_sel:BYTE_1
	v_sub_u16_sdwa v126, v126, v128 dst_sel:BYTE_1 dst_unused:UNUSED_PAD src0_sel:DWORD src1_sel:BYTE_3
	v_sub_u16_sdwa v127, v127, v128 dst_sel:DWORD dst_unused:UNUSED_PAD src0_sel:WORD_1 src1_sel:WORD_1
	v_or_b32_sdwa v129, v129, v135 dst_sel:DWORD dst_unused:UNUSED_PAD src0_sel:BYTE_0 src1_sel:DWORD
	v_or_b32_sdwa v126, v127, v126 dst_sel:WORD_1 dst_unused:UNUSED_PAD src0_sel:BYTE_0 src1_sel:DWORD
	v_add_u32_e32 v128, 0x4210, v132
	v_or_b32_sdwa v135, v129, v126 dst_sel:DWORD dst_unused:UNUSED_PAD src0_sel:WORD_0 src1_sel:DWORD
	ds_read2_b32 v[126:127], v130 offset0:4 offset1:5
	ds_read2_b32 v[128:129], v128 offset1:1
	s_waitcnt lgkmcnt(1)
	v_ashrrev_i32_e32 v126, s25, v126
	s_waitcnt lgkmcnt(0)
	v_ashrrev_i32_e32 v128, s3, v128
	v_lshlrev_b32_e32 v128, 2, v128
	v_and_b32_e32 v136, 0x3030303, v126
	v_bfe_u32 v126, v126, 24, 2
	v_and_b32_e32 v128, 0x4040404, v128
	v_sub_u16_e32 v137, v136, v128
	v_sub_u16_sdwa v138, v136, v128 dst_sel:BYTE_1 dst_unused:UNUSED_PAD src0_sel:BYTE_1 src1_sel:BYTE_1
	v_sub_u16_sdwa v126, v126, v128 dst_sel:BYTE_1 dst_unused:UNUSED_PAD src0_sel:DWORD src1_sel:BYTE_3
	v_sub_u16_sdwa v128, v136, v128 dst_sel:DWORD dst_unused:UNUSED_PAD src0_sel:WORD_1 src1_sel:WORD_1
	v_or_b32_sdwa v137, v137, v138 dst_sel:DWORD dst_unused:UNUSED_PAD src0_sel:BYTE_0 src1_sel:DWORD
	v_or_b32_sdwa v126, v128, v126 dst_sel:WORD_1 dst_unused:UNUSED_PAD src0_sel:BYTE_0 src1_sel:DWORD
	v_ashrrev_i32_e32 v128, s3, v129
	v_or_b32_sdwa v136, v137, v126 dst_sel:DWORD dst_unused:UNUSED_PAD src0_sel:WORD_0 src1_sel:DWORD
	v_ashrrev_i32_e32 v126, s25, v127
	v_lshlrev_b32_e32 v128, 2, v128
	v_and_b32_e32 v127, 0x3030303, v126
	v_bfe_u32 v126, v126, 24, 2
	v_and_b32_e32 v128, 0x4040404, v128
	v_sub_u16_e32 v129, v127, v128
	v_sub_u16_sdwa v137, v127, v128 dst_sel:BYTE_1 dst_unused:UNUSED_PAD src0_sel:BYTE_1 src1_sel:BYTE_1
	v_sub_u16_sdwa v126, v126, v128 dst_sel:BYTE_1 dst_unused:UNUSED_PAD src0_sel:DWORD src1_sel:BYTE_3
	v_sub_u16_sdwa v127, v127, v128 dst_sel:DWORD dst_unused:UNUSED_PAD src0_sel:WORD_1 src1_sel:WORD_1
	v_or_b32_sdwa v129, v129, v137 dst_sel:DWORD dst_unused:UNUSED_PAD src0_sel:BYTE_0 src1_sel:DWORD
	v_or_b32_sdwa v126, v127, v126 dst_sel:WORD_1 dst_unused:UNUSED_PAD src0_sel:BYTE_0 src1_sel:DWORD
	v_add_u32_e32 v128, 0x4218, v132
	v_or_b32_sdwa v137, v129, v126 dst_sel:DWORD dst_unused:UNUSED_PAD src0_sel:WORD_0 src1_sel:DWORD
	ds_read2_b32 v[126:127], v130 offset0:6 offset1:7
	ds_read2_b32 v[128:129], v128 offset1:1
	s_waitcnt lgkmcnt(1)
	v_ashrrev_i32_e32 v126, s25, v126
	s_waitcnt lgkmcnt(0)
	v_ashrrev_i32_e32 v128, s3, v128
	v_lshlrev_b32_e32 v128, 2, v128
	v_and_b32_e32 v130, 0x3030303, v126
	v_bfe_u32 v126, v126, 24, 2
	v_and_b32_e32 v128, 0x4040404, v128
	v_ashrrev_i32_e32 v129, s3, v129
	v_sub_u16_e32 v132, v130, v128
	v_sub_u16_sdwa v138, v130, v128 dst_sel:BYTE_1 dst_unused:UNUSED_PAD src0_sel:BYTE_1 src1_sel:BYTE_1
	v_sub_u16_sdwa v126, v126, v128 dst_sel:BYTE_1 dst_unused:UNUSED_PAD src0_sel:DWORD src1_sel:BYTE_3
	v_sub_u16_sdwa v128, v130, v128 dst_sel:DWORD dst_unused:UNUSED_PAD src0_sel:WORD_1 src1_sel:WORD_1
	v_ashrrev_i32_e32 v127, s25, v127
	v_lshlrev_b32_e32 v129, 2, v129
	v_or_b32_sdwa v132, v132, v138 dst_sel:DWORD dst_unused:UNUSED_PAD src0_sel:BYTE_0 src1_sel:DWORD
	v_or_b32_sdwa v126, v128, v126 dst_sel:WORD_1 dst_unused:UNUSED_PAD src0_sel:BYTE_0 src1_sel:DWORD
	v_and_b32_e32 v128, 0x3030303, v127
	v_bfe_u32 v127, v127, 24, 2
	v_and_b32_e32 v129, 0x4040404, v129
	v_or_b32_sdwa v126, v132, v126 dst_sel:DWORD dst_unused:UNUSED_PAD src0_sel:WORD_0 src1_sel:DWORD
	v_sub_u16_e32 v130, v128, v129
	v_sub_u16_sdwa v132, v128, v129 dst_sel:BYTE_1 dst_unused:UNUSED_PAD src0_sel:BYTE_1 src1_sel:BYTE_1
	v_sub_u16_sdwa v127, v127, v129 dst_sel:BYTE_1 dst_unused:UNUSED_PAD src0_sel:DWORD src1_sel:BYTE_3
	v_sub_u16_sdwa v128, v128, v129 dst_sel:DWORD dst_unused:UNUSED_PAD src0_sel:WORD_1 src1_sel:WORD_1
	v_or_b32_sdwa v130, v130, v132 dst_sel:DWORD dst_unused:UNUSED_PAD src0_sel:BYTE_0 src1_sel:DWORD
	v_or_b32_sdwa v127, v128, v127 dst_sel:WORD_1 dst_unused:UNUSED_PAD src0_sel:BYTE_0 src1_sel:DWORD
	v_add_u32_e32 v128, s36, v87
	v_or_b32_sdwa v127, v130, v127 dst_sel:DWORD dst_unused:UNUSED_PAD src0_sel:WORD_0 src1_sel:DWORD
	v_add_u32_e32 v129, s38, v51
	v_mov_b32_e32 v130, 0
	ds_read_b32 v129, v129
	v_dot4c_i32_i8_e32 v130, v131, v6
	ds_read_u16 v6, v128 offset:28402
	v_dot4c_i32_i8_e32 v130, v133, v7
	v_dot4c_i32_i8_e32 v130, v134, v8
	v_mov_b32_e32 v8, 0
	v_dot4c_i32_i8_e32 v8, v136, v2
	v_dot4c_i32_i8_e32 v8, v137, v3
	;; [unrolled: 1-line block ×3, first 2 shown]
	s_waitcnt lgkmcnt(0)
	v_lshrrev_b16_e32 v7, 8, v6
	v_bfe_i32 v6, v6, 0, 8
	v_dot4c_i32_i8_e32 v8, v126, v4
	v_mul_lo_u32 v6, v130, v6
	v_dot4c_i32_i8_e32 v8, v127, v5
	v_bfe_i32 v2, v7, 0, 8
	s_add_i32 s3, s3, 1
	s_cmp_lt_u32 s24, 22
	v_mad_u64_u32 v[2:3], s[36:37], v8, v2, v[6:7]
	v_cvt_f32_i32_e32 v2, v2
	v_mul_f32_e32 v3, v125, v129
	s_mov_b32 s36, s24
	v_fmac_f32_e32 v11, v3, v2
	s_cbranch_scc1 .LBB190_28
; %bb.29:                               ;   in Loop: Header=BB190_5 Depth=1
	s_or_b32 s2, s34, 0x180
	s_cmp_ge_i32 s2, s5
	s_barrier
	s_cbranch_scc1 .LBB190_4
; %bb.30:                               ;   in Loop: Header=BB190_5 Depth=1
	v_add_u32_e32 v2, s33, v57
	v_cmp_gt_i32_e64 s[2:3], s8, v2
	s_and_b64 s[24:25], s[0:1], s[2:3]
	s_and_saveexec_b64 s[2:3], s[24:25]
	s_cbranch_execz .LBB190_32
; %bb.31:                               ;   in Loop: Header=BB190_5 Depth=1
	v_add_u32_e32 v2, v116, v2
	v_mad_i64_i32 v[2:3], s[24:25], v2, 36, v[114:115]
	global_load_dword v2, v[2:3], off offset:4
	s_waitcnt vmcnt(0)
	ds_write_b32 v23, v2
.LBB190_32:                             ;   in Loop: Header=BB190_5 Depth=1
	s_or_b64 exec, exec, s[2:3]
	s_and_saveexec_b64 s[24:25], vcc
	s_cbranch_execz .LBB190_35
; %bb.33:                               ;   in Loop: Header=BB190_5 Depth=1
	v_or_b32_e32 v2, s33, v15
	v_or_b32_e32 v3, 12, v2
	v_cmp_gt_i32_e64 s[2:3], s8, v3
	s_and_b64 s[2:3], s[0:1], s[2:3]
	s_and_b64 exec, exec, s[2:3]
	s_cbranch_execz .LBB190_35
; %bb.34:                               ;   in Loop: Header=BB190_5 Depth=1
	v_ashrrev_i32_e32 v3, 31, v2
	v_lshl_add_u64 v[2:3], v[116:117], 0, v[2:3]
	v_mad_u64_u32 v[4:5], s[2:3], v2, 36, s[20:21]
	v_mad_i32_i24 v5, v3, 36, v5
	global_load_dword v2, v[4:5], off
	s_waitcnt vmcnt(0)
	v_cvt_f32_f16_e32 v2, v2
	ds_write_b32 v25, v2
.LBB190_35:                             ;   in Loop: Header=BB190_5 Depth=1
	s_or_b64 exec, exec, s[24:25]
	s_mov_b32 s2, 24
	s_mov_b32 s34, 22
	;; [unrolled: 1-line block ×3, first 2 shown]
	v_mov_b32_e32 v123, v73
	v_mov_b32_e32 v124, v75
	s_waitcnt lgkmcnt(0)
	s_barrier
.LBB190_36:                             ;   Parent Loop BB190_5 Depth=1
                                        ; =>  This Inner Loop Header: Depth=2
	s_add_i32 s24, s34, 2
	s_lshr_b32 s37, s24, 4
	s_and_b32 s35, s24, 0x3ffffff8
	s_lshl_b32 s33, s37, 3
	s_lshl_b32 s35, s35, 2
	v_add_lshl_u32 v132, v29, s33, 2
	v_add_u32_e32 v130, s35, v31
	v_add_u32_e32 v128, 0x4200, v132
	ds_read_b32 v125, v124
	ds_read_b128 v[6:9], v123
	ds_read_b128 v[2:5], v123 offset:16
	ds_read2_b32 v[126:127], v130 offset1:1
	ds_read2_b32 v[128:129], v128 offset1:1
	s_sub_i32 s25, s34, 22
	s_and_b32 s36, s2, -16
	s_add_i32 s34, s34, s36
	s_waitcnt lgkmcnt(1)
	v_ashrrev_i32_e32 v126, s25, v126
	s_waitcnt lgkmcnt(0)
	v_ashrrev_i32_e32 v128, s3, v128
	v_lshlrev_b32_e32 v128, 2, v128
	v_and_b32_e32 v131, 0x3030303, v126
	v_bfe_u32 v126, v126, 24, 2
	v_and_b32_e32 v128, 0x4040404, v128
	v_sub_u16_e32 v133, v131, v128
	v_sub_u16_sdwa v134, v131, v128 dst_sel:BYTE_1 dst_unused:UNUSED_PAD src0_sel:BYTE_1 src1_sel:BYTE_1
	v_sub_u16_sdwa v126, v126, v128 dst_sel:BYTE_1 dst_unused:UNUSED_PAD src0_sel:DWORD src1_sel:BYTE_3
	v_sub_u16_sdwa v128, v131, v128 dst_sel:DWORD dst_unused:UNUSED_PAD src0_sel:WORD_1 src1_sel:WORD_1
	v_or_b32_sdwa v133, v133, v134 dst_sel:DWORD dst_unused:UNUSED_PAD src0_sel:BYTE_0 src1_sel:DWORD
	v_or_b32_sdwa v126, v128, v126 dst_sel:WORD_1 dst_unused:UNUSED_PAD src0_sel:BYTE_0 src1_sel:DWORD
	v_ashrrev_i32_e32 v128, s3, v129
	v_or_b32_sdwa v131, v133, v126 dst_sel:DWORD dst_unused:UNUSED_PAD src0_sel:WORD_0 src1_sel:DWORD
	v_ashrrev_i32_e32 v126, s25, v127
	v_lshlrev_b32_e32 v128, 2, v128
	v_and_b32_e32 v127, 0x3030303, v126
	v_bfe_u32 v126, v126, 24, 2
	v_and_b32_e32 v128, 0x4040404, v128
	v_sub_u16_e32 v129, v127, v128
	v_sub_u16_sdwa v133, v127, v128 dst_sel:BYTE_1 dst_unused:UNUSED_PAD src0_sel:BYTE_1 src1_sel:BYTE_1
	v_sub_u16_sdwa v126, v126, v128 dst_sel:BYTE_1 dst_unused:UNUSED_PAD src0_sel:DWORD src1_sel:BYTE_3
	v_sub_u16_sdwa v127, v127, v128 dst_sel:DWORD dst_unused:UNUSED_PAD src0_sel:WORD_1 src1_sel:WORD_1
	v_or_b32_sdwa v129, v129, v133 dst_sel:DWORD dst_unused:UNUSED_PAD src0_sel:BYTE_0 src1_sel:DWORD
	v_or_b32_sdwa v126, v127, v126 dst_sel:WORD_1 dst_unused:UNUSED_PAD src0_sel:BYTE_0 src1_sel:DWORD
	v_add_u32_e32 v128, 0x4208, v132
	v_or_b32_sdwa v133, v129, v126 dst_sel:DWORD dst_unused:UNUSED_PAD src0_sel:WORD_0 src1_sel:DWORD
	ds_read2_b32 v[126:127], v130 offset0:2 offset1:3
	ds_read2_b32 v[128:129], v128 offset1:1
	s_lshl_b32 s36, s37, 2
	s_add_i32 s2, s2, 2
	v_add_u32_e32 v124, 4, v124
	s_waitcnt lgkmcnt(1)
	v_ashrrev_i32_e32 v126, s25, v126
	s_waitcnt lgkmcnt(0)
	v_ashrrev_i32_e32 v128, s3, v128
	v_lshlrev_b32_e32 v128, 2, v128
	v_and_b32_e32 v134, 0x3030303, v126
	v_bfe_u32 v126, v126, 24, 2
	v_and_b32_e32 v128, 0x4040404, v128
	v_sub_u16_e32 v135, v134, v128
	v_sub_u16_sdwa v136, v134, v128 dst_sel:BYTE_1 dst_unused:UNUSED_PAD src0_sel:BYTE_1 src1_sel:BYTE_1
	v_sub_u16_sdwa v126, v126, v128 dst_sel:BYTE_1 dst_unused:UNUSED_PAD src0_sel:DWORD src1_sel:BYTE_3
	v_sub_u16_sdwa v128, v134, v128 dst_sel:DWORD dst_unused:UNUSED_PAD src0_sel:WORD_1 src1_sel:WORD_1
	v_or_b32_sdwa v135, v135, v136 dst_sel:DWORD dst_unused:UNUSED_PAD src0_sel:BYTE_0 src1_sel:DWORD
	v_or_b32_sdwa v126, v128, v126 dst_sel:WORD_1 dst_unused:UNUSED_PAD src0_sel:BYTE_0 src1_sel:DWORD
	v_ashrrev_i32_e32 v128, s3, v129
	v_or_b32_sdwa v134, v135, v126 dst_sel:DWORD dst_unused:UNUSED_PAD src0_sel:WORD_0 src1_sel:DWORD
	v_ashrrev_i32_e32 v126, s25, v127
	v_lshlrev_b32_e32 v128, 2, v128
	v_and_b32_e32 v127, 0x3030303, v126
	v_bfe_u32 v126, v126, 24, 2
	v_and_b32_e32 v128, 0x4040404, v128
	v_sub_u16_e32 v129, v127, v128
	v_sub_u16_sdwa v135, v127, v128 dst_sel:BYTE_1 dst_unused:UNUSED_PAD src0_sel:BYTE_1 src1_sel:BYTE_1
	v_sub_u16_sdwa v126, v126, v128 dst_sel:BYTE_1 dst_unused:UNUSED_PAD src0_sel:DWORD src1_sel:BYTE_3
	v_sub_u16_sdwa v127, v127, v128 dst_sel:DWORD dst_unused:UNUSED_PAD src0_sel:WORD_1 src1_sel:WORD_1
	v_or_b32_sdwa v129, v129, v135 dst_sel:DWORD dst_unused:UNUSED_PAD src0_sel:BYTE_0 src1_sel:DWORD
	v_or_b32_sdwa v126, v127, v126 dst_sel:WORD_1 dst_unused:UNUSED_PAD src0_sel:BYTE_0 src1_sel:DWORD
	v_add_u32_e32 v128, 0x4210, v132
	v_or_b32_sdwa v135, v129, v126 dst_sel:DWORD dst_unused:UNUSED_PAD src0_sel:WORD_0 src1_sel:DWORD
	ds_read2_b32 v[126:127], v130 offset0:4 offset1:5
	ds_read2_b32 v[128:129], v128 offset1:1
	v_add_u32_e32 v123, 32, v123
	s_waitcnt lgkmcnt(1)
	v_ashrrev_i32_e32 v126, s25, v126
	s_waitcnt lgkmcnt(0)
	v_ashrrev_i32_e32 v128, s3, v128
	v_lshlrev_b32_e32 v128, 2, v128
	v_and_b32_e32 v136, 0x3030303, v126
	v_bfe_u32 v126, v126, 24, 2
	v_and_b32_e32 v128, 0x4040404, v128
	v_sub_u16_e32 v137, v136, v128
	v_sub_u16_sdwa v138, v136, v128 dst_sel:BYTE_1 dst_unused:UNUSED_PAD src0_sel:BYTE_1 src1_sel:BYTE_1
	v_sub_u16_sdwa v126, v126, v128 dst_sel:BYTE_1 dst_unused:UNUSED_PAD src0_sel:DWORD src1_sel:BYTE_3
	v_sub_u16_sdwa v128, v136, v128 dst_sel:DWORD dst_unused:UNUSED_PAD src0_sel:WORD_1 src1_sel:WORD_1
	v_or_b32_sdwa v137, v137, v138 dst_sel:DWORD dst_unused:UNUSED_PAD src0_sel:BYTE_0 src1_sel:DWORD
	v_or_b32_sdwa v126, v128, v126 dst_sel:WORD_1 dst_unused:UNUSED_PAD src0_sel:BYTE_0 src1_sel:DWORD
	v_ashrrev_i32_e32 v128, s3, v129
	v_or_b32_sdwa v136, v137, v126 dst_sel:DWORD dst_unused:UNUSED_PAD src0_sel:WORD_0 src1_sel:DWORD
	v_ashrrev_i32_e32 v126, s25, v127
	v_lshlrev_b32_e32 v128, 2, v128
	v_and_b32_e32 v127, 0x3030303, v126
	v_bfe_u32 v126, v126, 24, 2
	v_and_b32_e32 v128, 0x4040404, v128
	v_sub_u16_e32 v129, v127, v128
	v_sub_u16_sdwa v137, v127, v128 dst_sel:BYTE_1 dst_unused:UNUSED_PAD src0_sel:BYTE_1 src1_sel:BYTE_1
	v_sub_u16_sdwa v126, v126, v128 dst_sel:BYTE_1 dst_unused:UNUSED_PAD src0_sel:DWORD src1_sel:BYTE_3
	v_sub_u16_sdwa v127, v127, v128 dst_sel:DWORD dst_unused:UNUSED_PAD src0_sel:WORD_1 src1_sel:WORD_1
	v_or_b32_sdwa v129, v129, v137 dst_sel:DWORD dst_unused:UNUSED_PAD src0_sel:BYTE_0 src1_sel:DWORD
	v_or_b32_sdwa v126, v127, v126 dst_sel:WORD_1 dst_unused:UNUSED_PAD src0_sel:BYTE_0 src1_sel:DWORD
	v_add_u32_e32 v128, 0x4218, v132
	v_or_b32_sdwa v137, v129, v126 dst_sel:DWORD dst_unused:UNUSED_PAD src0_sel:WORD_0 src1_sel:DWORD
	ds_read2_b32 v[126:127], v130 offset0:6 offset1:7
	ds_read2_b32 v[128:129], v128 offset1:1
	s_waitcnt lgkmcnt(1)
	v_ashrrev_i32_e32 v126, s25, v126
	s_waitcnt lgkmcnt(0)
	v_ashrrev_i32_e32 v128, s3, v128
	v_lshlrev_b32_e32 v128, 2, v128
	v_and_b32_e32 v130, 0x3030303, v126
	v_bfe_u32 v126, v126, 24, 2
	v_and_b32_e32 v128, 0x4040404, v128
	v_sub_u16_e32 v132, v130, v128
	v_sub_u16_sdwa v138, v130, v128 dst_sel:BYTE_1 dst_unused:UNUSED_PAD src0_sel:BYTE_1 src1_sel:BYTE_1
	v_sub_u16_sdwa v126, v126, v128 dst_sel:BYTE_1 dst_unused:UNUSED_PAD src0_sel:DWORD src1_sel:BYTE_3
	v_sub_u16_sdwa v128, v130, v128 dst_sel:DWORD dst_unused:UNUSED_PAD src0_sel:WORD_1 src1_sel:WORD_1
	v_or_b32_sdwa v132, v132, v138 dst_sel:DWORD dst_unused:UNUSED_PAD src0_sel:BYTE_0 src1_sel:DWORD
	v_or_b32_sdwa v126, v128, v126 dst_sel:WORD_1 dst_unused:UNUSED_PAD src0_sel:BYTE_0 src1_sel:DWORD
	v_ashrrev_i32_e32 v129, s3, v129
	v_or_b32_sdwa v128, v132, v126 dst_sel:DWORD dst_unused:UNUSED_PAD src0_sel:WORD_0 src1_sel:DWORD
	v_ashrrev_i32_e32 v126, s25, v127
	v_lshlrev_b32_e32 v129, 2, v129
	v_and_b32_e32 v127, 0x3030303, v126
	v_bfe_u32 v126, v126, 24, 2
	v_and_b32_e32 v129, 0x4040404, v129
	v_sub_u16_e32 v130, v127, v129
	v_sub_u16_sdwa v132, v127, v129 dst_sel:BYTE_1 dst_unused:UNUSED_PAD src0_sel:BYTE_1 src1_sel:BYTE_1
	v_sub_u16_sdwa v126, v126, v129 dst_sel:BYTE_1 dst_unused:UNUSED_PAD src0_sel:DWORD src1_sel:BYTE_3
	v_sub_u16_sdwa v127, v127, v129 dst_sel:DWORD dst_unused:UNUSED_PAD src0_sel:WORD_1 src1_sel:WORD_1
	v_or_b32_sdwa v130, v130, v132 dst_sel:DWORD dst_unused:UNUSED_PAD src0_sel:BYTE_0 src1_sel:DWORD
	v_or_b32_sdwa v126, v127, v126 dst_sel:WORD_1 dst_unused:UNUSED_PAD src0_sel:BYTE_0 src1_sel:DWORD
	v_add_u32_e32 v129, s36, v33
	v_or_b32_sdwa v127, v130, v126 dst_sel:DWORD dst_unused:UNUSED_PAD src0_sel:WORD_0 src1_sel:DWORD
	v_add_u32_e32 v126, s34, v93
	ds_read_b32 v129, v129
	ds_read_u16 v126, v126 offset:25330
	v_mov_b32_e32 v130, 0
	v_dot4c_i32_i8_e32 v130, v131, v6
	v_dot4c_i32_i8_e32 v130, v133, v7
	;; [unrolled: 1-line block ×4, first 2 shown]
	s_waitcnt lgkmcnt(0)
	v_lshrrev_b16_e32 v131, 8, v126
	v_bfe_i32 v126, v126, 0, 8
	v_add_lshl_u32 v132, v35, s33, 2
	v_mul_lo_u32 v126, v130, v126
	v_mov_b32_e32 v130, 0
	v_dot4c_i32_i8_e32 v130, v136, v2
	v_dot4c_i32_i8_e32 v130, v137, v3
	;; [unrolled: 1-line block ×4, first 2 shown]
	v_bfe_i32 v127, v131, 0, 8
	v_add_u32_e32 v128, 0x4200, v132
	s_nop 0
	v_mad_u64_u32 v[126:127], s[38:39], v130, v127, v[126:127]
	v_cvt_f32_i32_e32 v126, v126
	v_mul_f32_e32 v127, v125, v129
	v_add_u32_e32 v130, s35, v37
	ds_read2_b32 v[128:129], v128 offset1:1
	v_fmac_f32_e32 v65, v127, v126
	ds_read2_b32 v[126:127], v130 offset1:1
	s_waitcnt lgkmcnt(1)
	v_ashrrev_i32_e32 v128, s3, v128
	v_lshlrev_b32_e32 v128, 2, v128
	s_waitcnt lgkmcnt(0)
	v_ashrrev_i32_e32 v126, s25, v126
	v_and_b32_e32 v131, 0x3030303, v126
	v_bfe_u32 v126, v126, 24, 2
	v_and_b32_e32 v128, 0x4040404, v128
	v_sub_u16_e32 v133, v131, v128
	v_sub_u16_sdwa v134, v131, v128 dst_sel:BYTE_1 dst_unused:UNUSED_PAD src0_sel:BYTE_1 src1_sel:BYTE_1
	v_sub_u16_sdwa v126, v126, v128 dst_sel:BYTE_1 dst_unused:UNUSED_PAD src0_sel:DWORD src1_sel:BYTE_3
	v_sub_u16_sdwa v128, v131, v128 dst_sel:DWORD dst_unused:UNUSED_PAD src0_sel:WORD_1 src1_sel:WORD_1
	v_or_b32_sdwa v133, v133, v134 dst_sel:DWORD dst_unused:UNUSED_PAD src0_sel:BYTE_0 src1_sel:DWORD
	v_or_b32_sdwa v126, v128, v126 dst_sel:WORD_1 dst_unused:UNUSED_PAD src0_sel:BYTE_0 src1_sel:DWORD
	v_ashrrev_i32_e32 v128, s3, v129
	v_or_b32_sdwa v131, v133, v126 dst_sel:DWORD dst_unused:UNUSED_PAD src0_sel:WORD_0 src1_sel:DWORD
	v_ashrrev_i32_e32 v126, s25, v127
	v_lshlrev_b32_e32 v128, 2, v128
	v_and_b32_e32 v127, 0x3030303, v126
	v_bfe_u32 v126, v126, 24, 2
	v_and_b32_e32 v128, 0x4040404, v128
	v_sub_u16_e32 v129, v127, v128
	v_sub_u16_sdwa v133, v127, v128 dst_sel:BYTE_1 dst_unused:UNUSED_PAD src0_sel:BYTE_1 src1_sel:BYTE_1
	v_sub_u16_sdwa v126, v126, v128 dst_sel:BYTE_1 dst_unused:UNUSED_PAD src0_sel:DWORD src1_sel:BYTE_3
	v_sub_u16_sdwa v127, v127, v128 dst_sel:DWORD dst_unused:UNUSED_PAD src0_sel:WORD_1 src1_sel:WORD_1
	v_or_b32_sdwa v129, v129, v133 dst_sel:DWORD dst_unused:UNUSED_PAD src0_sel:BYTE_0 src1_sel:DWORD
	v_or_b32_sdwa v126, v127, v126 dst_sel:WORD_1 dst_unused:UNUSED_PAD src0_sel:BYTE_0 src1_sel:DWORD
	v_add_u32_e32 v128, 0x4208, v132
	v_or_b32_sdwa v133, v129, v126 dst_sel:DWORD dst_unused:UNUSED_PAD src0_sel:WORD_0 src1_sel:DWORD
	ds_read2_b32 v[126:127], v130 offset0:2 offset1:3
	ds_read2_b32 v[128:129], v128 offset1:1
	s_waitcnt lgkmcnt(1)
	v_ashrrev_i32_e32 v126, s25, v126
	s_waitcnt lgkmcnt(0)
	v_ashrrev_i32_e32 v128, s3, v128
	v_lshlrev_b32_e32 v128, 2, v128
	v_and_b32_e32 v134, 0x3030303, v126
	v_bfe_u32 v126, v126, 24, 2
	v_and_b32_e32 v128, 0x4040404, v128
	v_sub_u16_e32 v135, v134, v128
	v_sub_u16_sdwa v136, v134, v128 dst_sel:BYTE_1 dst_unused:UNUSED_PAD src0_sel:BYTE_1 src1_sel:BYTE_1
	v_sub_u16_sdwa v126, v126, v128 dst_sel:BYTE_1 dst_unused:UNUSED_PAD src0_sel:DWORD src1_sel:BYTE_3
	v_sub_u16_sdwa v128, v134, v128 dst_sel:DWORD dst_unused:UNUSED_PAD src0_sel:WORD_1 src1_sel:WORD_1
	v_or_b32_sdwa v135, v135, v136 dst_sel:DWORD dst_unused:UNUSED_PAD src0_sel:BYTE_0 src1_sel:DWORD
	v_or_b32_sdwa v126, v128, v126 dst_sel:WORD_1 dst_unused:UNUSED_PAD src0_sel:BYTE_0 src1_sel:DWORD
	v_ashrrev_i32_e32 v128, s3, v129
	v_or_b32_sdwa v134, v135, v126 dst_sel:DWORD dst_unused:UNUSED_PAD src0_sel:WORD_0 src1_sel:DWORD
	v_ashrrev_i32_e32 v126, s25, v127
	v_lshlrev_b32_e32 v128, 2, v128
	v_and_b32_e32 v127, 0x3030303, v126
	v_bfe_u32 v126, v126, 24, 2
	v_and_b32_e32 v128, 0x4040404, v128
	v_sub_u16_e32 v129, v127, v128
	v_sub_u16_sdwa v135, v127, v128 dst_sel:BYTE_1 dst_unused:UNUSED_PAD src0_sel:BYTE_1 src1_sel:BYTE_1
	v_sub_u16_sdwa v126, v126, v128 dst_sel:BYTE_1 dst_unused:UNUSED_PAD src0_sel:DWORD src1_sel:BYTE_3
	v_sub_u16_sdwa v127, v127, v128 dst_sel:DWORD dst_unused:UNUSED_PAD src0_sel:WORD_1 src1_sel:WORD_1
	v_or_b32_sdwa v129, v129, v135 dst_sel:DWORD dst_unused:UNUSED_PAD src0_sel:BYTE_0 src1_sel:DWORD
	v_or_b32_sdwa v126, v127, v126 dst_sel:WORD_1 dst_unused:UNUSED_PAD src0_sel:BYTE_0 src1_sel:DWORD
	v_add_u32_e32 v128, 0x4210, v132
	v_or_b32_sdwa v135, v129, v126 dst_sel:DWORD dst_unused:UNUSED_PAD src0_sel:WORD_0 src1_sel:DWORD
	ds_read2_b32 v[126:127], v130 offset0:4 offset1:5
	ds_read2_b32 v[128:129], v128 offset1:1
	s_waitcnt lgkmcnt(1)
	v_ashrrev_i32_e32 v126, s25, v126
	s_waitcnt lgkmcnt(0)
	v_ashrrev_i32_e32 v128, s3, v128
	v_lshlrev_b32_e32 v128, 2, v128
	;; [unrolled: 31-line block ×3, first 2 shown]
	v_and_b32_e32 v130, 0x3030303, v126
	v_bfe_u32 v126, v126, 24, 2
	v_and_b32_e32 v128, 0x4040404, v128
	v_sub_u16_e32 v132, v130, v128
	v_sub_u16_sdwa v138, v130, v128 dst_sel:BYTE_1 dst_unused:UNUSED_PAD src0_sel:BYTE_1 src1_sel:BYTE_1
	v_sub_u16_sdwa v126, v126, v128 dst_sel:BYTE_1 dst_unused:UNUSED_PAD src0_sel:DWORD src1_sel:BYTE_3
	v_sub_u16_sdwa v128, v130, v128 dst_sel:DWORD dst_unused:UNUSED_PAD src0_sel:WORD_1 src1_sel:WORD_1
	v_or_b32_sdwa v132, v132, v138 dst_sel:DWORD dst_unused:UNUSED_PAD src0_sel:BYTE_0 src1_sel:DWORD
	v_or_b32_sdwa v126, v128, v126 dst_sel:WORD_1 dst_unused:UNUSED_PAD src0_sel:BYTE_0 src1_sel:DWORD
	v_ashrrev_i32_e32 v129, s3, v129
	v_or_b32_sdwa v128, v132, v126 dst_sel:DWORD dst_unused:UNUSED_PAD src0_sel:WORD_0 src1_sel:DWORD
	v_ashrrev_i32_e32 v126, s25, v127
	v_lshlrev_b32_e32 v129, 2, v129
	v_and_b32_e32 v127, 0x3030303, v126
	v_bfe_u32 v126, v126, 24, 2
	v_and_b32_e32 v129, 0x4040404, v129
	v_sub_u16_e32 v130, v127, v129
	v_sub_u16_sdwa v132, v127, v129 dst_sel:BYTE_1 dst_unused:UNUSED_PAD src0_sel:BYTE_1 src1_sel:BYTE_1
	v_sub_u16_sdwa v126, v126, v129 dst_sel:BYTE_1 dst_unused:UNUSED_PAD src0_sel:DWORD src1_sel:BYTE_3
	v_sub_u16_sdwa v127, v127, v129 dst_sel:DWORD dst_unused:UNUSED_PAD src0_sel:WORD_1 src1_sel:WORD_1
	v_or_b32_sdwa v130, v130, v132 dst_sel:DWORD dst_unused:UNUSED_PAD src0_sel:BYTE_0 src1_sel:DWORD
	v_or_b32_sdwa v126, v127, v126 dst_sel:WORD_1 dst_unused:UNUSED_PAD src0_sel:BYTE_0 src1_sel:DWORD
	v_add_u32_e32 v129, s36, v39
	v_or_b32_sdwa v127, v130, v126 dst_sel:DWORD dst_unused:UNUSED_PAD src0_sel:WORD_0 src1_sel:DWORD
	v_add_u32_e32 v126, s34, v91
	ds_read_b32 v129, v129
	ds_read_u16 v126, v126 offset:26354
	v_mov_b32_e32 v130, 0
	v_dot4c_i32_i8_e32 v130, v131, v6
	v_dot4c_i32_i8_e32 v130, v133, v7
	;; [unrolled: 1-line block ×4, first 2 shown]
	s_waitcnt lgkmcnt(0)
	v_lshrrev_b16_e32 v131, 8, v126
	v_bfe_i32 v126, v126, 0, 8
	v_add_lshl_u32 v132, v41, s33, 2
	v_mul_lo_u32 v126, v130, v126
	v_mov_b32_e32 v130, 0
	v_dot4c_i32_i8_e32 v130, v136, v2
	v_dot4c_i32_i8_e32 v130, v137, v3
	;; [unrolled: 1-line block ×4, first 2 shown]
	v_bfe_i32 v127, v131, 0, 8
	v_add_u32_e32 v128, 0x4200, v132
	s_nop 0
	v_mad_u64_u32 v[126:127], s[38:39], v130, v127, v[126:127]
	v_cvt_f32_i32_e32 v126, v126
	v_mul_f32_e32 v127, v125, v129
	v_add_u32_e32 v130, s35, v43
	ds_read2_b32 v[128:129], v128 offset1:1
	v_fmac_f32_e32 v61, v127, v126
	ds_read2_b32 v[126:127], v130 offset1:1
	s_waitcnt lgkmcnt(1)
	v_ashrrev_i32_e32 v128, s3, v128
	v_lshlrev_b32_e32 v128, 2, v128
	s_waitcnt lgkmcnt(0)
	v_ashrrev_i32_e32 v126, s25, v126
	v_and_b32_e32 v131, 0x3030303, v126
	v_bfe_u32 v126, v126, 24, 2
	v_and_b32_e32 v128, 0x4040404, v128
	v_sub_u16_e32 v133, v131, v128
	v_sub_u16_sdwa v134, v131, v128 dst_sel:BYTE_1 dst_unused:UNUSED_PAD src0_sel:BYTE_1 src1_sel:BYTE_1
	v_sub_u16_sdwa v126, v126, v128 dst_sel:BYTE_1 dst_unused:UNUSED_PAD src0_sel:DWORD src1_sel:BYTE_3
	v_sub_u16_sdwa v128, v131, v128 dst_sel:DWORD dst_unused:UNUSED_PAD src0_sel:WORD_1 src1_sel:WORD_1
	v_or_b32_sdwa v133, v133, v134 dst_sel:DWORD dst_unused:UNUSED_PAD src0_sel:BYTE_0 src1_sel:DWORD
	v_or_b32_sdwa v126, v128, v126 dst_sel:WORD_1 dst_unused:UNUSED_PAD src0_sel:BYTE_0 src1_sel:DWORD
	v_ashrrev_i32_e32 v128, s3, v129
	v_or_b32_sdwa v131, v133, v126 dst_sel:DWORD dst_unused:UNUSED_PAD src0_sel:WORD_0 src1_sel:DWORD
	v_ashrrev_i32_e32 v126, s25, v127
	v_lshlrev_b32_e32 v128, 2, v128
	v_and_b32_e32 v127, 0x3030303, v126
	v_bfe_u32 v126, v126, 24, 2
	v_and_b32_e32 v128, 0x4040404, v128
	v_sub_u16_e32 v129, v127, v128
	v_sub_u16_sdwa v133, v127, v128 dst_sel:BYTE_1 dst_unused:UNUSED_PAD src0_sel:BYTE_1 src1_sel:BYTE_1
	v_sub_u16_sdwa v126, v126, v128 dst_sel:BYTE_1 dst_unused:UNUSED_PAD src0_sel:DWORD src1_sel:BYTE_3
	v_sub_u16_sdwa v127, v127, v128 dst_sel:DWORD dst_unused:UNUSED_PAD src0_sel:WORD_1 src1_sel:WORD_1
	v_or_b32_sdwa v129, v129, v133 dst_sel:DWORD dst_unused:UNUSED_PAD src0_sel:BYTE_0 src1_sel:DWORD
	v_or_b32_sdwa v126, v127, v126 dst_sel:WORD_1 dst_unused:UNUSED_PAD src0_sel:BYTE_0 src1_sel:DWORD
	v_add_u32_e32 v128, 0x4208, v132
	v_or_b32_sdwa v133, v129, v126 dst_sel:DWORD dst_unused:UNUSED_PAD src0_sel:WORD_0 src1_sel:DWORD
	ds_read2_b32 v[126:127], v130 offset0:2 offset1:3
	ds_read2_b32 v[128:129], v128 offset1:1
	s_waitcnt lgkmcnt(1)
	v_ashrrev_i32_e32 v126, s25, v126
	s_waitcnt lgkmcnt(0)
	v_ashrrev_i32_e32 v128, s3, v128
	v_lshlrev_b32_e32 v128, 2, v128
	v_and_b32_e32 v134, 0x3030303, v126
	v_bfe_u32 v126, v126, 24, 2
	v_and_b32_e32 v128, 0x4040404, v128
	v_sub_u16_e32 v135, v134, v128
	v_sub_u16_sdwa v136, v134, v128 dst_sel:BYTE_1 dst_unused:UNUSED_PAD src0_sel:BYTE_1 src1_sel:BYTE_1
	v_sub_u16_sdwa v126, v126, v128 dst_sel:BYTE_1 dst_unused:UNUSED_PAD src0_sel:DWORD src1_sel:BYTE_3
	v_sub_u16_sdwa v128, v134, v128 dst_sel:DWORD dst_unused:UNUSED_PAD src0_sel:WORD_1 src1_sel:WORD_1
	v_or_b32_sdwa v135, v135, v136 dst_sel:DWORD dst_unused:UNUSED_PAD src0_sel:BYTE_0 src1_sel:DWORD
	v_or_b32_sdwa v126, v128, v126 dst_sel:WORD_1 dst_unused:UNUSED_PAD src0_sel:BYTE_0 src1_sel:DWORD
	v_ashrrev_i32_e32 v128, s3, v129
	v_or_b32_sdwa v134, v135, v126 dst_sel:DWORD dst_unused:UNUSED_PAD src0_sel:WORD_0 src1_sel:DWORD
	v_ashrrev_i32_e32 v126, s25, v127
	v_lshlrev_b32_e32 v128, 2, v128
	v_and_b32_e32 v127, 0x3030303, v126
	v_bfe_u32 v126, v126, 24, 2
	v_and_b32_e32 v128, 0x4040404, v128
	v_sub_u16_e32 v129, v127, v128
	v_sub_u16_sdwa v135, v127, v128 dst_sel:BYTE_1 dst_unused:UNUSED_PAD src0_sel:BYTE_1 src1_sel:BYTE_1
	v_sub_u16_sdwa v126, v126, v128 dst_sel:BYTE_1 dst_unused:UNUSED_PAD src0_sel:DWORD src1_sel:BYTE_3
	v_sub_u16_sdwa v127, v127, v128 dst_sel:DWORD dst_unused:UNUSED_PAD src0_sel:WORD_1 src1_sel:WORD_1
	v_or_b32_sdwa v129, v129, v135 dst_sel:DWORD dst_unused:UNUSED_PAD src0_sel:BYTE_0 src1_sel:DWORD
	v_or_b32_sdwa v126, v127, v126 dst_sel:WORD_1 dst_unused:UNUSED_PAD src0_sel:BYTE_0 src1_sel:DWORD
	v_add_u32_e32 v128, 0x4210, v132
	v_or_b32_sdwa v135, v129, v126 dst_sel:DWORD dst_unused:UNUSED_PAD src0_sel:WORD_0 src1_sel:DWORD
	ds_read2_b32 v[126:127], v130 offset0:4 offset1:5
	ds_read2_b32 v[128:129], v128 offset1:1
	s_waitcnt lgkmcnt(1)
	v_ashrrev_i32_e32 v126, s25, v126
	s_waitcnt lgkmcnt(0)
	v_ashrrev_i32_e32 v128, s3, v128
	v_lshlrev_b32_e32 v128, 2, v128
	;; [unrolled: 31-line block ×3, first 2 shown]
	v_and_b32_e32 v130, 0x3030303, v126
	v_bfe_u32 v126, v126, 24, 2
	v_and_b32_e32 v128, 0x4040404, v128
	v_sub_u16_e32 v132, v130, v128
	v_sub_u16_sdwa v138, v130, v128 dst_sel:BYTE_1 dst_unused:UNUSED_PAD src0_sel:BYTE_1 src1_sel:BYTE_1
	v_sub_u16_sdwa v126, v126, v128 dst_sel:BYTE_1 dst_unused:UNUSED_PAD src0_sel:DWORD src1_sel:BYTE_3
	v_sub_u16_sdwa v128, v130, v128 dst_sel:DWORD dst_unused:UNUSED_PAD src0_sel:WORD_1 src1_sel:WORD_1
	v_or_b32_sdwa v132, v132, v138 dst_sel:DWORD dst_unused:UNUSED_PAD src0_sel:BYTE_0 src1_sel:DWORD
	v_or_b32_sdwa v126, v128, v126 dst_sel:WORD_1 dst_unused:UNUSED_PAD src0_sel:BYTE_0 src1_sel:DWORD
	v_ashrrev_i32_e32 v129, s3, v129
	v_or_b32_sdwa v128, v132, v126 dst_sel:DWORD dst_unused:UNUSED_PAD src0_sel:WORD_0 src1_sel:DWORD
	v_ashrrev_i32_e32 v126, s25, v127
	v_lshlrev_b32_e32 v129, 2, v129
	v_and_b32_e32 v127, 0x3030303, v126
	v_bfe_u32 v126, v126, 24, 2
	v_and_b32_e32 v129, 0x4040404, v129
	v_sub_u16_e32 v130, v127, v129
	v_sub_u16_sdwa v132, v127, v129 dst_sel:BYTE_1 dst_unused:UNUSED_PAD src0_sel:BYTE_1 src1_sel:BYTE_1
	v_sub_u16_sdwa v126, v126, v129 dst_sel:BYTE_1 dst_unused:UNUSED_PAD src0_sel:DWORD src1_sel:BYTE_3
	v_sub_u16_sdwa v127, v127, v129 dst_sel:DWORD dst_unused:UNUSED_PAD src0_sel:WORD_1 src1_sel:WORD_1
	v_or_b32_sdwa v130, v130, v132 dst_sel:DWORD dst_unused:UNUSED_PAD src0_sel:BYTE_0 src1_sel:DWORD
	v_or_b32_sdwa v126, v127, v126 dst_sel:WORD_1 dst_unused:UNUSED_PAD src0_sel:BYTE_0 src1_sel:DWORD
	v_add_u32_e32 v129, s36, v45
	v_or_b32_sdwa v127, v130, v126 dst_sel:DWORD dst_unused:UNUSED_PAD src0_sel:WORD_0 src1_sel:DWORD
	v_add_u32_e32 v126, s34, v89
	ds_read_b32 v129, v129
	ds_read_u16 v126, v126 offset:27378
	v_mov_b32_e32 v130, 0
	v_dot4c_i32_i8_e32 v130, v131, v6
	v_dot4c_i32_i8_e32 v130, v133, v7
	;; [unrolled: 1-line block ×4, first 2 shown]
	s_waitcnt lgkmcnt(0)
	v_lshrrev_b16_e32 v131, 8, v126
	v_bfe_i32 v126, v126, 0, 8
	v_add_lshl_u32 v132, v47, s33, 2
	v_mul_lo_u32 v126, v130, v126
	v_mov_b32_e32 v130, 0
	v_dot4c_i32_i8_e32 v130, v136, v2
	v_dot4c_i32_i8_e32 v130, v137, v3
	;; [unrolled: 1-line block ×4, first 2 shown]
	v_bfe_i32 v127, v131, 0, 8
	v_add_u32_e32 v128, 0x4200, v132
	s_nop 0
	v_mad_u64_u32 v[126:127], s[38:39], v130, v127, v[126:127]
	v_cvt_f32_i32_e32 v126, v126
	v_mul_f32_e32 v127, v125, v129
	v_add_u32_e32 v130, s35, v49
	ds_read2_b32 v[128:129], v128 offset1:1
	v_fmac_f32_e32 v59, v127, v126
	ds_read2_b32 v[126:127], v130 offset1:1
	s_waitcnt lgkmcnt(1)
	v_ashrrev_i32_e32 v128, s3, v128
	v_lshlrev_b32_e32 v128, 2, v128
	s_waitcnt lgkmcnt(0)
	v_ashrrev_i32_e32 v126, s25, v126
	v_and_b32_e32 v131, 0x3030303, v126
	v_bfe_u32 v126, v126, 24, 2
	v_and_b32_e32 v128, 0x4040404, v128
	v_sub_u16_e32 v133, v131, v128
	v_sub_u16_sdwa v134, v131, v128 dst_sel:BYTE_1 dst_unused:UNUSED_PAD src0_sel:BYTE_1 src1_sel:BYTE_1
	v_sub_u16_sdwa v126, v126, v128 dst_sel:BYTE_1 dst_unused:UNUSED_PAD src0_sel:DWORD src1_sel:BYTE_3
	v_sub_u16_sdwa v128, v131, v128 dst_sel:DWORD dst_unused:UNUSED_PAD src0_sel:WORD_1 src1_sel:WORD_1
	v_or_b32_sdwa v133, v133, v134 dst_sel:DWORD dst_unused:UNUSED_PAD src0_sel:BYTE_0 src1_sel:DWORD
	v_or_b32_sdwa v126, v128, v126 dst_sel:WORD_1 dst_unused:UNUSED_PAD src0_sel:BYTE_0 src1_sel:DWORD
	v_ashrrev_i32_e32 v128, s3, v129
	v_or_b32_sdwa v131, v133, v126 dst_sel:DWORD dst_unused:UNUSED_PAD src0_sel:WORD_0 src1_sel:DWORD
	v_ashrrev_i32_e32 v126, s25, v127
	v_lshlrev_b32_e32 v128, 2, v128
	v_and_b32_e32 v127, 0x3030303, v126
	v_bfe_u32 v126, v126, 24, 2
	v_and_b32_e32 v128, 0x4040404, v128
	v_sub_u16_e32 v129, v127, v128
	v_sub_u16_sdwa v133, v127, v128 dst_sel:BYTE_1 dst_unused:UNUSED_PAD src0_sel:BYTE_1 src1_sel:BYTE_1
	v_sub_u16_sdwa v126, v126, v128 dst_sel:BYTE_1 dst_unused:UNUSED_PAD src0_sel:DWORD src1_sel:BYTE_3
	v_sub_u16_sdwa v127, v127, v128 dst_sel:DWORD dst_unused:UNUSED_PAD src0_sel:WORD_1 src1_sel:WORD_1
	v_or_b32_sdwa v129, v129, v133 dst_sel:DWORD dst_unused:UNUSED_PAD src0_sel:BYTE_0 src1_sel:DWORD
	v_or_b32_sdwa v126, v127, v126 dst_sel:WORD_1 dst_unused:UNUSED_PAD src0_sel:BYTE_0 src1_sel:DWORD
	v_add_u32_e32 v128, 0x4208, v132
	v_or_b32_sdwa v133, v129, v126 dst_sel:DWORD dst_unused:UNUSED_PAD src0_sel:WORD_0 src1_sel:DWORD
	ds_read2_b32 v[126:127], v130 offset0:2 offset1:3
	ds_read2_b32 v[128:129], v128 offset1:1
	s_waitcnt lgkmcnt(1)
	v_ashrrev_i32_e32 v126, s25, v126
	s_waitcnt lgkmcnt(0)
	v_ashrrev_i32_e32 v128, s3, v128
	v_lshlrev_b32_e32 v128, 2, v128
	v_and_b32_e32 v134, 0x3030303, v126
	v_bfe_u32 v126, v126, 24, 2
	v_and_b32_e32 v128, 0x4040404, v128
	v_sub_u16_e32 v135, v134, v128
	v_sub_u16_sdwa v136, v134, v128 dst_sel:BYTE_1 dst_unused:UNUSED_PAD src0_sel:BYTE_1 src1_sel:BYTE_1
	v_sub_u16_sdwa v126, v126, v128 dst_sel:BYTE_1 dst_unused:UNUSED_PAD src0_sel:DWORD src1_sel:BYTE_3
	v_sub_u16_sdwa v128, v134, v128 dst_sel:DWORD dst_unused:UNUSED_PAD src0_sel:WORD_1 src1_sel:WORD_1
	v_or_b32_sdwa v135, v135, v136 dst_sel:DWORD dst_unused:UNUSED_PAD src0_sel:BYTE_0 src1_sel:DWORD
	v_or_b32_sdwa v126, v128, v126 dst_sel:WORD_1 dst_unused:UNUSED_PAD src0_sel:BYTE_0 src1_sel:DWORD
	v_ashrrev_i32_e32 v128, s3, v129
	v_or_b32_sdwa v134, v135, v126 dst_sel:DWORD dst_unused:UNUSED_PAD src0_sel:WORD_0 src1_sel:DWORD
	v_ashrrev_i32_e32 v126, s25, v127
	v_lshlrev_b32_e32 v128, 2, v128
	v_and_b32_e32 v127, 0x3030303, v126
	v_bfe_u32 v126, v126, 24, 2
	v_and_b32_e32 v128, 0x4040404, v128
	v_sub_u16_e32 v129, v127, v128
	v_sub_u16_sdwa v135, v127, v128 dst_sel:BYTE_1 dst_unused:UNUSED_PAD src0_sel:BYTE_1 src1_sel:BYTE_1
	v_sub_u16_sdwa v126, v126, v128 dst_sel:BYTE_1 dst_unused:UNUSED_PAD src0_sel:DWORD src1_sel:BYTE_3
	v_sub_u16_sdwa v127, v127, v128 dst_sel:DWORD dst_unused:UNUSED_PAD src0_sel:WORD_1 src1_sel:WORD_1
	v_or_b32_sdwa v129, v129, v135 dst_sel:DWORD dst_unused:UNUSED_PAD src0_sel:BYTE_0 src1_sel:DWORD
	v_or_b32_sdwa v126, v127, v126 dst_sel:WORD_1 dst_unused:UNUSED_PAD src0_sel:BYTE_0 src1_sel:DWORD
	v_add_u32_e32 v128, 0x4210, v132
	v_or_b32_sdwa v135, v129, v126 dst_sel:DWORD dst_unused:UNUSED_PAD src0_sel:WORD_0 src1_sel:DWORD
	ds_read2_b32 v[126:127], v130 offset0:4 offset1:5
	ds_read2_b32 v[128:129], v128 offset1:1
	s_waitcnt lgkmcnt(1)
	v_ashrrev_i32_e32 v126, s25, v126
	s_waitcnt lgkmcnt(0)
	v_ashrrev_i32_e32 v128, s3, v128
	v_lshlrev_b32_e32 v128, 2, v128
	v_and_b32_e32 v136, 0x3030303, v126
	v_bfe_u32 v126, v126, 24, 2
	v_and_b32_e32 v128, 0x4040404, v128
	v_sub_u16_e32 v137, v136, v128
	v_sub_u16_sdwa v138, v136, v128 dst_sel:BYTE_1 dst_unused:UNUSED_PAD src0_sel:BYTE_1 src1_sel:BYTE_1
	v_sub_u16_sdwa v126, v126, v128 dst_sel:BYTE_1 dst_unused:UNUSED_PAD src0_sel:DWORD src1_sel:BYTE_3
	v_sub_u16_sdwa v128, v136, v128 dst_sel:DWORD dst_unused:UNUSED_PAD src0_sel:WORD_1 src1_sel:WORD_1
	v_or_b32_sdwa v137, v137, v138 dst_sel:DWORD dst_unused:UNUSED_PAD src0_sel:BYTE_0 src1_sel:DWORD
	v_or_b32_sdwa v126, v128, v126 dst_sel:WORD_1 dst_unused:UNUSED_PAD src0_sel:BYTE_0 src1_sel:DWORD
	v_ashrrev_i32_e32 v128, s3, v129
	v_or_b32_sdwa v136, v137, v126 dst_sel:DWORD dst_unused:UNUSED_PAD src0_sel:WORD_0 src1_sel:DWORD
	v_ashrrev_i32_e32 v126, s25, v127
	v_lshlrev_b32_e32 v128, 2, v128
	v_and_b32_e32 v127, 0x3030303, v126
	v_bfe_u32 v126, v126, 24, 2
	v_and_b32_e32 v128, 0x4040404, v128
	v_sub_u16_e32 v129, v127, v128
	v_sub_u16_sdwa v137, v127, v128 dst_sel:BYTE_1 dst_unused:UNUSED_PAD src0_sel:BYTE_1 src1_sel:BYTE_1
	v_sub_u16_sdwa v126, v126, v128 dst_sel:BYTE_1 dst_unused:UNUSED_PAD src0_sel:DWORD src1_sel:BYTE_3
	v_sub_u16_sdwa v127, v127, v128 dst_sel:DWORD dst_unused:UNUSED_PAD src0_sel:WORD_1 src1_sel:WORD_1
	v_or_b32_sdwa v129, v129, v137 dst_sel:DWORD dst_unused:UNUSED_PAD src0_sel:BYTE_0 src1_sel:DWORD
	v_or_b32_sdwa v126, v127, v126 dst_sel:WORD_1 dst_unused:UNUSED_PAD src0_sel:BYTE_0 src1_sel:DWORD
	v_add_u32_e32 v128, 0x4218, v132
	v_or_b32_sdwa v137, v129, v126 dst_sel:DWORD dst_unused:UNUSED_PAD src0_sel:WORD_0 src1_sel:DWORD
	ds_read2_b32 v[126:127], v130 offset0:6 offset1:7
	ds_read2_b32 v[128:129], v128 offset1:1
	s_waitcnt lgkmcnt(1)
	v_ashrrev_i32_e32 v126, s25, v126
	s_waitcnt lgkmcnt(0)
	v_ashrrev_i32_e32 v128, s3, v128
	v_lshlrev_b32_e32 v128, 2, v128
	v_and_b32_e32 v130, 0x3030303, v126
	v_bfe_u32 v126, v126, 24, 2
	v_and_b32_e32 v128, 0x4040404, v128
	v_ashrrev_i32_e32 v129, s3, v129
	v_sub_u16_e32 v132, v130, v128
	v_sub_u16_sdwa v138, v130, v128 dst_sel:BYTE_1 dst_unused:UNUSED_PAD src0_sel:BYTE_1 src1_sel:BYTE_1
	v_sub_u16_sdwa v126, v126, v128 dst_sel:BYTE_1 dst_unused:UNUSED_PAD src0_sel:DWORD src1_sel:BYTE_3
	v_sub_u16_sdwa v128, v130, v128 dst_sel:DWORD dst_unused:UNUSED_PAD src0_sel:WORD_1 src1_sel:WORD_1
	v_ashrrev_i32_e32 v127, s25, v127
	v_lshlrev_b32_e32 v129, 2, v129
	v_or_b32_sdwa v132, v132, v138 dst_sel:DWORD dst_unused:UNUSED_PAD src0_sel:BYTE_0 src1_sel:DWORD
	v_or_b32_sdwa v126, v128, v126 dst_sel:WORD_1 dst_unused:UNUSED_PAD src0_sel:BYTE_0 src1_sel:DWORD
	v_and_b32_e32 v128, 0x3030303, v127
	v_bfe_u32 v127, v127, 24, 2
	v_and_b32_e32 v129, 0x4040404, v129
	v_or_b32_sdwa v126, v132, v126 dst_sel:DWORD dst_unused:UNUSED_PAD src0_sel:WORD_0 src1_sel:DWORD
	v_sub_u16_e32 v130, v128, v129
	v_sub_u16_sdwa v132, v128, v129 dst_sel:BYTE_1 dst_unused:UNUSED_PAD src0_sel:BYTE_1 src1_sel:BYTE_1
	v_sub_u16_sdwa v127, v127, v129 dst_sel:BYTE_1 dst_unused:UNUSED_PAD src0_sel:DWORD src1_sel:BYTE_3
	v_sub_u16_sdwa v128, v128, v129 dst_sel:DWORD dst_unused:UNUSED_PAD src0_sel:WORD_1 src1_sel:WORD_1
	v_or_b32_sdwa v130, v130, v132 dst_sel:DWORD dst_unused:UNUSED_PAD src0_sel:BYTE_0 src1_sel:DWORD
	v_or_b32_sdwa v127, v128, v127 dst_sel:WORD_1 dst_unused:UNUSED_PAD src0_sel:BYTE_0 src1_sel:DWORD
	v_add_u32_e32 v128, s34, v87
	v_or_b32_sdwa v127, v130, v127 dst_sel:DWORD dst_unused:UNUSED_PAD src0_sel:WORD_0 src1_sel:DWORD
	v_add_u32_e32 v129, s36, v51
	v_mov_b32_e32 v130, 0
	ds_read_b32 v129, v129
	v_dot4c_i32_i8_e32 v130, v131, v6
	ds_read_u16 v6, v128 offset:28402
	v_dot4c_i32_i8_e32 v130, v133, v7
	v_dot4c_i32_i8_e32 v130, v134, v8
	v_mov_b32_e32 v8, 0
	v_dot4c_i32_i8_e32 v8, v136, v2
	v_dot4c_i32_i8_e32 v8, v137, v3
	;; [unrolled: 1-line block ×3, first 2 shown]
	s_waitcnt lgkmcnt(0)
	v_lshrrev_b16_e32 v7, 8, v6
	v_bfe_i32 v6, v6, 0, 8
	v_dot4c_i32_i8_e32 v8, v126, v4
	v_mul_lo_u32 v6, v130, v6
	v_dot4c_i32_i8_e32 v8, v127, v5
	v_bfe_i32 v2, v7, 0, 8
	s_add_i32 s3, s3, 1
	s_cmp_lt_u32 s24, 30
	v_mad_u64_u32 v[2:3], s[34:35], v8, v2, v[6:7]
	v_cvt_f32_i32_e32 v2, v2
	v_mul_f32_e32 v3, v125, v129
	s_mov_b32 s34, s24
	v_fmac_f32_e32 v11, v3, v2
	s_cbranch_scc1 .LBB190_36
; %bb.37:                               ;   in Loop: Header=BB190_5 Depth=1
	s_barrier
	s_branch .LBB190_4
.LBB190_38:
	v_mov_b32_e32 v59, 0
	v_mov_b32_e32 v61, 0
	;; [unrolled: 1-line block ×3, first 2 shown]
.LBB190_39:
	s_mul_i32 s0, s10, s7
	s_waitcnt vmcnt(0)
	v_cmp_gt_i32_e32 vcc, s0, v1
	s_and_saveexec_b64 s[0:1], vcc
	s_cbranch_execz .LBB190_48
; %bb.40:
	v_and_b32_e32 v0, 0x3ff, v0
	v_add_u32_e32 v2, s11, v0
	v_mul_lo_u32 v0, v1, s9
	v_cmp_gt_u32_e32 vcc, s9, v2
	s_and_saveexec_b64 s[0:1], vcc
	s_cbranch_execz .LBB190_42
; %bb.41:
	v_add_u32_e32 v4, v0, v2
	v_mov_b32_e32 v5, 0
	v_lshl_add_u64 v[4:5], v[4:5], 2, s[16:17]
	global_store_dword v[4:5], v65, off
.LBB190_42:
	s_or_b64 exec, exec, s[0:1]
	v_add_u32_e32 v1, 32, v2
	v_cmp_gt_u32_e32 vcc, s9, v1
	s_and_saveexec_b64 s[0:1], vcc
	s_cbranch_execz .LBB190_44
; %bb.43:
	v_add_u32_e32 v4, v0, v1
	v_mov_b32_e32 v5, 0
	v_lshl_add_u64 v[4:5], v[4:5], 2, s[16:17]
	global_store_dword v[4:5], v61, off
.LBB190_44:
	s_or_b64 exec, exec, s[0:1]
	v_add_u32_e32 v1, 64, v2
	;; [unrolled: 11-line block ×3, first 2 shown]
	v_cmp_gt_u32_e32 vcc, s9, v1
	s_and_b64 exec, exec, vcc
	s_cbranch_execz .LBB190_48
; %bb.47:
	v_add_u32_e32 v0, v0, v1
	v_mov_b32_e32 v1, 0
	v_lshl_add_u64 v[0:1], v[0:1], 2, s[16:17]
	global_store_dword v[0:1], v11, off
.LBB190_48:
	s_endpgm
	.section	.rodata,"a",@progbits
	.p2align	6, 0x0
	.amdhsa_kernel _ZL8moe_q3_KIfLb1EEvPKvS1_PT_PKiS5_S5_iiiiiii
		.amdhsa_group_segment_fixed_size 31776
		.amdhsa_private_segment_fixed_size 0
		.amdhsa_kernarg_size 76
		.amdhsa_user_sgpr_count 2
		.amdhsa_user_sgpr_dispatch_ptr 0
		.amdhsa_user_sgpr_queue_ptr 0
		.amdhsa_user_sgpr_kernarg_segment_ptr 1
		.amdhsa_user_sgpr_dispatch_id 0
		.amdhsa_user_sgpr_kernarg_preload_length 0
		.amdhsa_user_sgpr_kernarg_preload_offset 0
		.amdhsa_user_sgpr_private_segment_size 0
		.amdhsa_uses_dynamic_stack 0
		.amdhsa_enable_private_segment 0
		.amdhsa_system_sgpr_workgroup_id_x 1
		.amdhsa_system_sgpr_workgroup_id_y 1
		.amdhsa_system_sgpr_workgroup_id_z 0
		.amdhsa_system_sgpr_workgroup_info 0
		.amdhsa_system_vgpr_workitem_id 1
		.amdhsa_next_free_vgpr 153
		.amdhsa_next_free_sgpr 42
		.amdhsa_accum_offset 156
		.amdhsa_reserve_vcc 1
		.amdhsa_float_round_mode_32 0
		.amdhsa_float_round_mode_16_64 0
		.amdhsa_float_denorm_mode_32 3
		.amdhsa_float_denorm_mode_16_64 3
		.amdhsa_dx10_clamp 1
		.amdhsa_ieee_mode 1
		.amdhsa_fp16_overflow 0
		.amdhsa_tg_split 0
		.amdhsa_exception_fp_ieee_invalid_op 0
		.amdhsa_exception_fp_denorm_src 0
		.amdhsa_exception_fp_ieee_div_zero 0
		.amdhsa_exception_fp_ieee_overflow 0
		.amdhsa_exception_fp_ieee_underflow 0
		.amdhsa_exception_fp_ieee_inexact 0
		.amdhsa_exception_int_div_zero 0
	.end_amdhsa_kernel
	.section	.text._ZL8moe_q3_KIfLb1EEvPKvS1_PT_PKiS5_S5_iiiiiii,"axG",@progbits,_ZL8moe_q3_KIfLb1EEvPKvS1_PT_PKiS5_S5_iiiiiii,comdat
.Lfunc_end190:
	.size	_ZL8moe_q3_KIfLb1EEvPKvS1_PT_PKiS5_S5_iiiiiii, .Lfunc_end190-_ZL8moe_q3_KIfLb1EEvPKvS1_PT_PKiS5_S5_iiiiiii
                                        ; -- End function
	.section	.AMDGPU.csdata,"",@progbits
; Kernel info:
; codeLenInByte = 20376
; NumSgprs: 48
; NumVgprs: 153
; NumAgprs: 0
; TotalNumVgprs: 153
; ScratchSize: 0
; MemoryBound: 0
; FloatMode: 240
; IeeeMode: 1
; LDSByteSize: 31776 bytes/workgroup (compile time only)
; SGPRBlocks: 5
; VGPRBlocks: 19
; NumSGPRsForWavesPerEU: 48
; NumVGPRsForWavesPerEU: 153
; AccumOffset: 156
; Occupancy: 2
; WaveLimiterHint : 1
; COMPUTE_PGM_RSRC2:SCRATCH_EN: 0
; COMPUTE_PGM_RSRC2:USER_SGPR: 2
; COMPUTE_PGM_RSRC2:TRAP_HANDLER: 0
; COMPUTE_PGM_RSRC2:TGID_X_EN: 1
; COMPUTE_PGM_RSRC2:TGID_Y_EN: 1
; COMPUTE_PGM_RSRC2:TGID_Z_EN: 0
; COMPUTE_PGM_RSRC2:TIDIG_COMP_CNT: 1
; COMPUTE_PGM_RSRC3_GFX90A:ACCUM_OFFSET: 38
; COMPUTE_PGM_RSRC3_GFX90A:TG_SPLIT: 0
	.section	.text._ZL8moe_q4_KIfLb0EEvPKvS1_PT_PKiS5_S5_iiiiiii,"axG",@progbits,_ZL8moe_q4_KIfLb0EEvPKvS1_PT_PKiS5_S5_iiiiiii,comdat
	.globl	_ZL8moe_q4_KIfLb0EEvPKvS1_PT_PKiS5_S5_iiiiiii ; -- Begin function _ZL8moe_q4_KIfLb0EEvPKvS1_PT_PKiS5_S5_iiiiiii
	.p2align	8
	.type	_ZL8moe_q4_KIfLb0EEvPKvS1_PT_PKiS5_S5_iiiiiii,@function
_ZL8moe_q4_KIfLb0EEvPKvS1_PT_PKiS5_S5_iiiiiii: ; @_ZL8moe_q4_KIfLb0EEvPKvS1_PT_PKiS5_S5_iiiiiii
; %bb.0:
	s_load_dwordx4 s[4:7], s[0:1], 0x18
	s_mov_b32 s8, s3
	s_mov_b32 s9, 0
	s_lshl_b64 s[10:11], s[8:9], 2
	s_waitcnt lgkmcnt(0)
	s_add_u32 s6, s6, s10
	s_addc_u32 s7, s7, s11
	s_load_dword s3, s[6:7], 0x0
	s_waitcnt lgkmcnt(0)
	s_cmpk_gt_u32 s3, 0xff
	s_cbranch_scc1 .LBB191_28
; %bb.1:
	s_load_dwordx2 s[6:7], s[0:1], 0x28
	s_waitcnt lgkmcnt(0)
	s_load_dword s7, s[6:7], 0x0
	s_lshl_b32 s6, s8, 3
	s_waitcnt lgkmcnt(0)
	s_cmp_gt_u32 s6, s7
	s_cbranch_scc1 .LBB191_28
; %bb.2:
	v_bfe_u32 v2, v0, 10, 10
	v_mov_b32_e32 v4, s4
	v_mov_b32_e32 v5, s5
	v_add_u32_e32 v52, s6, v2
	v_mov_b32_e32 v53, 0
	v_lshl_add_u64 v[4:5], v[52:53], 2, v[4:5]
	global_load_dword v1, v[4:5], off
	s_load_dwordx2 s[14:15], s[0:1], 0x30
	s_load_dwordx2 s[12:13], s[0:1], 0x10
	s_load_dwordx4 s[4:7], s[0:1], 0x3c
	s_lshl_b32 s24, s2, 7
	s_mov_b32 s22, 0
	s_waitcnt lgkmcnt(0)
	s_cmpk_lt_i32 s15, 0x100
	s_cbranch_scc1 .LBB191_18
; %bb.3:
	s_load_dwordx4 s[8:11], s[0:1], 0x0
	s_ashr_i32 s0, s15, 31
	s_lshr_b32 s0, s0, 24
	s_add_i32 s0, s15, s0
	s_ashr_i32 s25, s0, 8
	s_ashr_i32 s0, s5, 31
	s_lshr_b32 s0, s0, 27
	s_add_i32 s0, s5, s0
	v_and_b32_e32 v24, 0x3ff, v0
	s_ashr_i32 s5, s0, 5
	v_lshlrev_b32_e32 v6, 2, v24
	s_movk_i32 s0, 0x84
	v_mad_u32_u24 v92, v2, s0, v6
	s_lshl_b32 s0, s25, 3
	v_mov_b32_e32 v4, s0
	v_mad_i32_i24 v8, s25, v2, v4
	v_add_u32_e32 v9, s0, v8
	v_add_u32_e32 v10, s0, v9
	;; [unrolled: 1-line block ×10, first 2 shown]
	v_lshlrev_b32_e32 v4, 5, v2
	v_add_u32_e32 v19, s0, v18
	v_add_u32_e32 v25, v4, v24
	;; [unrolled: 1-line block ×3, first 2 shown]
	v_and_b32_e32 v5, 0x7f, v25
	v_lshrrev_b32_e32 v26, 3, v25
	v_add_u32_e32 v21, s0, v20
	v_mul_i32_i24_e32 v52, s25, v5
	v_and_b32_e32 v26, 12, v26
	v_lshlrev_b32_e32 v5, 2, v5
	s_movk_i32 s0, 0x4e40
	v_and_b32_e32 v28, 3, v24
	v_add3_u32 v108, v5, v26, s0
	v_lshlrev_b32_e32 v5, 3, v2
	v_lshrrev_b32_e32 v26, 2, v24
	v_add_u32_e32 v29, 0xfe, v28
	v_cmp_gt_u32_e32 vcc, 2, v28
	v_add_u32_e32 v27, v26, v5
	v_add_u16_e32 v5, v26, v5
	v_cndmask_b32_e32 v29, v29, v28, vcc
	s_mul_i32 s16, s3, s14
	v_and_b32_e32 v29, 0xff, v29
	v_cmp_ne_u32_e32 vcc, 0, v28
	v_cmp_lt_u32_e64 s[2:3], 1, v28
	v_and_b32_e32 v27, 0x7f, v27
	v_lshlrev_b32_e32 v28, 2, v28
	v_lshrrev_b16_e32 v5, 1, v5
	v_addc_co_u32_e32 v53, vcc, 0, v29, vcc
	v_lshlrev_b32_e32 v110, 1, v29
	v_lshl_or_b32 v29, v27, 4, v28
	v_and_b32_e32 v5, 60, v5
	s_movk_i32 s1, 0x4200
	v_add3_u32 v111, v29, v5, s1
	v_xor_b32_e32 v5, 64, v27
	v_mul_i32_i24_e32 v63, s25, v5
	v_lshl_or_b32 v26, v5, 4, v28
	v_lshrrev_b32_e32 v5, 1, v5
	v_mov_b32_e32 v23, 0
	v_and_b32_e32 v5, 60, v5
	v_add3_u32 v112, v26, v5, s1
	v_and_or_b32 v28, v24, 31, v4
	v_and_b32_e32 v4, 28, v6
	v_mov_b32_e32 v5, v23
	s_movk_i32 s1, 0xffe4
	v_mul_i32_i24_e32 v62, s25, v27
	s_waitcnt lgkmcnt(0)
	v_lshl_add_u64 v[26:27], s[10:11], 0, v[4:5]
	v_mov_b32_e32 v4, 0x4a40
	v_mad_i32_i24 v5, v2, s1, v25
	v_mov_b32_e32 v25, 0x5050
	v_lshrrev_b32_e32 v115, 3, v24
	v_lshrrev_b32_e32 v3, 5, v24
	v_lshl_add_u32 v113, v28, 2, v4
	v_lshl_add_u32 v114, v5, 2, v25
	;; [unrolled: 1-line block ×3, first 2 shown]
	v_add_u32_e32 v4, v115, v6
	v_mov_b32_e32 v5, 0x4200
	v_lshl_add_u32 v118, v4, 2, v5
	v_lshlrev_b32_e32 v4, 2, v3
	v_add3_u32 v120, v4, v6, s0
	v_add_u32_e32 v4, 32, v24
	v_lshrrev_b32_e32 v121, 3, v4
	v_lshl_add_u32 v4, v4, 2, v121
	v_lshl_add_u32 v122, v4, 2, v5
	v_and_b32_e32 v4, 60, v121
	v_add3_u32 v123, v6, v4, s0
	v_add_u32_e32 v4, 64, v24
	v_lshrrev_b32_e32 v25, 3, v4
	v_lshl_add_u32 v4, v4, 2, v25
	s_abs_i32 s18, s7
	v_lshl_add_u32 v124, v4, 2, v5
	v_and_b32_e32 v4, 60, v25
	v_cvt_f32_u32_e32 v28, s18
	v_add3_u32 v125, v6, v4, s0
	v_add_u32_e32 v4, 0x60, v24
	v_lshrrev_b32_e32 v25, 3, v4
	v_lshl_add_u32 v4, v4, 2, v25
	v_lshl_add_u32 v126, v4, 2, v5
	v_rcp_iflag_f32_e32 v5, v28
	v_and_b32_e32 v4, 60, v25
	v_add3_u32 v127, v6, v4, s0
	s_sub_i32 s0, 0, s18
	v_mul_f32_e32 v5, 0x4f7ffffe, v5
	v_cvt_u32_f32_e32 v5, v5
	v_and_b32_e32 v22, 0x7c, v6
	v_and_b32_e32 v30, 4, v6
	s_waitcnt vmcnt(0)
	v_sub_u32_e32 v6, 0, v1
	v_mul_lo_u32 v25, s0, v5
	v_mul_hi_u32 v25, v5, v25
	v_max_i32_e32 v6, v1, v6
	v_add_u32_e32 v5, v5, v25
	v_mul_hi_u32 v5, v6, v5
	v_mul_lo_u32 v25, v5, s18
	v_sub_u32_e32 v6, v6, v25
	v_add_u32_e32 v25, 1, v5
	v_cmp_le_u32_e64 s[0:1], s18, v6
	v_xor_b32_e32 v4, s7, v1
	v_ashrrev_i32_e32 v4, 31, v4
	v_cndmask_b32_e64 v5, v5, v25, s[0:1]
	v_subrev_u32_e32 v25, s18, v6
	v_cndmask_b32_e64 v6, v6, v25, s[0:1]
	v_add_u32_e32 v25, 1, v5
	v_cmp_le_u32_e64 s[0:1], s18, v6
	s_mul_i32 s14, s25, s24
	s_mul_hi_i32 s27, s14, 0x90
	v_cndmask_b32_e64 v5, v5, v25, s[0:1]
	v_xor_b32_e32 v5, v5, v4
	v_sub_u32_e32 v4, v5, v4
	s_mul_i32 s26, s14, 0x90
	v_cmp_gt_i32_e64 s[0:1], s4, v4
	v_mul_lo_u32 v28, v4, s5
	s_movk_i32 s23, 0x90
	v_mov_b64_e32 v[4:5], s[26:27]
	v_mul_i32_i24_e32 v7, s25, v2
	v_mad_u64_u32 v[4:5], s[28:29], v3, s23, v[4:5]
	v_mad_u64_u32 v[6:7], s[28:29], v7, s23, v[4:5]
	v_lshl_add_u64 v[6:7], v[6:7], 0, v[22:23]
	v_lshl_add_u64 v[6:7], v[6:7], 0, s[8:9]
	v_cndmask_b32_e64 v109, 0, v30, s[2:3]
	v_lshl_add_u64 v[30:31], v[6:7], 0, 16
	v_mad_u64_u32 v[6:7], s[28:29], v8, s23, v[4:5]
	v_lshl_add_u64 v[6:7], v[6:7], 0, v[22:23]
	v_lshl_add_u64 v[6:7], v[6:7], 0, s[8:9]
	v_lshl_add_u64 v[32:33], v[6:7], 0, 16
	v_mad_u64_u32 v[6:7], s[28:29], v9, s23, v[4:5]
	v_lshl_add_u64 v[6:7], v[6:7], 0, v[22:23]
	v_lshl_add_u64 v[6:7], v[6:7], 0, s[8:9]
	;; [unrolled: 4-line block ×13, first 2 shown]
	v_lshl_add_u64 v[58:59], v[6:7], 0, 16
	v_mad_u64_u32 v[6:7], s[28:29], v21, s23, v[4:5]
	s_mul_i32 s28, s25, 0x78
	s_ashr_i32 s17, s16, 31
	v_mov_b32_e32 v3, s28
	v_lshlrev_b32_e32 v117, 4, v2
	s_add_u32 s20, s10, 0x90
	v_mad_i32_i24 v2, s25, v2, v3
	s_addc_u32 s21, s11, 0
	v_mad_u64_u32 v[2:3], s[28:29], v2, s23, v[4:5]
	v_lshl_add_u64 v[2:3], v[2:3], 0, v[22:23]
	s_add_u32 s26, s8, s26
	v_lshl_add_u64 v[6:7], v[6:7], 0, v[22:23]
	v_lshl_add_u64 v[2:3], v[2:3], 0, s[8:9]
	s_addc_u32 s27, s9, s27
	v_lshl_add_u64 v[6:7], v[6:7], 0, s[8:9]
	v_lshl_add_u64 v[64:65], v[2:3], 0, 16
	v_mov_b64_e32 v[2:3], s[26:27]
	v_lshl_add_u64 v[60:61], v[6:7], 0, 16
	v_mad_u64_u32 v[66:67], s[26:27], v52, s23, v[2:3]
	v_mad_u64_u32 v[2:3], s[26:27], v62, s23, 0
	v_mov_b32_e32 v6, 0x90
	v_mad_i64_i32 v[2:3], s[26:27], s14, v6, v[2:3]
	v_lshlrev_b32_e32 v22, 2, v53
	v_lshl_add_u64 v[4:5], v[2:3], 0, v[22:23]
	v_lshl_add_u64 v[4:5], v[4:5], 0, s[8:9]
	;; [unrolled: 1-line block ×3, first 2 shown]
	v_cndmask_b32_e64 v4, 0, 1, s[2:3]
	v_lshlrev_b32_e32 v7, 2, v4
	v_or_b32_e32 v2, v2, v7
	v_lshl_add_u64 v[2:3], v[2:3], 0, s[8:9]
	v_lshl_add_u64 v[70:71], v[2:3], 0, 4
	v_mad_u64_u32 v[2:3], s[2:3], v63, s23, 0
	v_mad_i64_i32 v[2:3], s[2:3], s14, v6, v[2:3]
	v_lshl_add_u64 v[4:5], v[2:3], 0, v[22:23]
	v_or_b32_e32 v2, v2, v7
	v_lshl_add_u64 v[4:5], v[4:5], 0, s[8:9]
	v_lshl_add_u64 v[2:3], v[2:3], 0, s[8:9]
	s_mov_b32 s23, s22
	v_add_u32_e32 v93, 0x420, v92
	v_add_u32_e32 v94, 0x840, v92
	;; [unrolled: 1-line block ×15, first 2 shown]
	v_cmp_gt_u32_e32 vcc, 4, v24
	v_mul_u32_u24_e32 v119, 0x84, v24
	v_ashrrev_i32_e32 v29, 31, v28
	s_mov_b64 s[18:19], 0x90
	v_lshl_add_u64 v[72:73], v[4:5], 0, 4
	v_lshl_add_u64 v[74:75], v[2:3], 0, 4
	s_movk_i32 s14, 0x80
	v_mov_b64_e32 v[62:63], s[22:23]
	s_mov_b32 s22, 0x30303030
	v_mov_b32_e32 v53, v23
	s_branch .LBB191_6
.LBB191_4:                              ;   in Loop: Header=BB191_6 Depth=1
	s_or_b64 exec, exec, s[8:9]
	s_waitcnt lgkmcnt(0)
	s_barrier
	ds_read_b128 v[2:5], v117 offset:20560
	ds_read2_b32 v[76:77], v119 offset0:16 offset1:17
	ds_read_b128 v[18:21], v116
	ds_read_b128 v[14:17], v116 offset:16
	ds_read_b128 v[10:13], v116 offset:32
	;; [unrolled: 1-line block ×3, first 2 shown]
	ds_read_b32 v25, v120
	ds_read2_b32 v[78:79], v119 offset0:18 offset1:19
	s_waitcnt lgkmcnt(6)
	v_and_b32_e32 v22, 0xf0f0f0f, v76
	v_mov_b32_e32 v128, 0
	s_waitcnt lgkmcnt(5)
	v_dot4c_i32_i8_e32 v128, v22, v18
	v_and_b32_e32 v22, 0xf0f0f0f, v77
	ds_read2_b32 v[80:81], v119 offset0:20 offset1:21
	ds_read2_b32 v[86:87], v119 offset0:22 offset1:23
	;; [unrolled: 1-line block ×3, first 2 shown]
	v_dot4c_i32_i8_e32 v128, v22, v19
	s_waitcnt lgkmcnt(3)
	v_and_b32_e32 v22, 0xf0f0f0f, v78
	v_dot4c_i32_i8_e32 v128, v22, v20
	v_and_b32_e32 v22, 0xf0f0f0f, v79
	v_dot4c_i32_i8_e32 v128, v22, v21
	s_waitcnt lgkmcnt(2)
	v_and_b32_e32 v22, 0xf0f0f0f, v80
	v_dot4c_i32_i8_e32 v128, v22, v14
	v_and_b32_e32 v22, 0xf0f0f0f, v81
	;; [unrolled: 5-line block ×3, first 2 shown]
	v_dot4c_i32_i8_e32 v128, v22, v17
	v_lshrrev_b32_e32 v22, 4, v76
	v_and_b32_e32 v22, 0xf0f0f0f, v22
	v_mov_b32_e32 v141, 0
	v_dot4c_i32_i8_e32 v141, v22, v10
	v_lshrrev_b32_e32 v22, 4, v77
	v_and_b32_e32 v22, 0xf0f0f0f, v22
	v_dot4c_i32_i8_e32 v141, v22, v11
	v_lshrrev_b32_e32 v22, 4, v78
	v_and_b32_e32 v22, 0xf0f0f0f, v22
	;; [unrolled: 3-line block ×6, first 2 shown]
	v_add_u32_e32 v52, 0x10c0, v119
	ds_read2_b32 v[84:85], v118 offset0:1 offset1:3
	v_dot4c_i32_i8_e32 v141, v22, v8
	v_lshrrev_b32_e32 v22, 4, v87
	ds_read2_b32 v[86:87], v119 offset0:26 offset1:27
	ds_read2_b32 v[88:89], v119 offset0:28 offset1:29
	;; [unrolled: 1-line block ×3, first 2 shown]
	ds_read2_b32 v[76:77], v52 offset1:1
	v_mov_b32_e32 v130, 0
	v_and_b32_e32 v22, 0xf0f0f0f, v22
	v_dot4c_i32_i8_e32 v141, v22, v9
	v_cvt_f32_f16_e32 v22, v25
	s_waitcnt lgkmcnt(0)
	v_and_b32_e32 v78, 0xf0f0f0f, v76
	v_dot4c_i32_i8_e32 v130, v78, v18
	v_and_b32_e32 v78, 0xf0f0f0f, v77
	v_dot4c_i32_i8_e32 v130, v78, v19
	v_add_u32_e32 v78, 0x10c8, v119
	v_cvt_f32_f16_sdwa v52, v25 dst_sel:DWORD dst_unused:UNUSED_PAD src0_sel:WORD_1
	ds_read_b32 v131, v123 offset:128
	ds_read_b32 v129, v125 offset:256
	;; [unrolled: 1-line block ×3, first 2 shown]
	ds_read2_b32 v[78:79], v78 offset1:1
	v_add_u32_e32 v80, 0x10d0, v119
	v_add_u32_e32 v136, 0x2140, v119
	;; [unrolled: 1-line block ×3, first 2 shown]
	ds_read2_b32 v[132:133], v80 offset1:1
	ds_read2_b32 v[134:135], v81 offset1:1
	;; [unrolled: 1-line block ×3, first 2 shown]
	s_waitcnt lgkmcnt(3)
	v_and_b32_e32 v80, 0xf0f0f0f, v78
	v_dot4c_i32_i8_e32 v130, v80, v20
	v_and_b32_e32 v80, 0xf0f0f0f, v79
	v_dot4c_i32_i8_e32 v130, v80, v21
	s_waitcnt lgkmcnt(2)
	v_and_b32_e32 v80, 0xf0f0f0f, v132
	v_dot4c_i32_i8_e32 v130, v80, v14
	v_and_b32_e32 v80, 0xf0f0f0f, v133
	v_dot4c_i32_i8_e32 v130, v80, v15
	ds_read2_b32 v[80:81], v122 offset0:1 offset1:3
	s_waitcnt lgkmcnt(2)
	v_and_b32_e32 v138, 0xf0f0f0f, v134
	v_dot4c_i32_i8_e32 v130, v138, v16
	v_and_b32_e32 v138, 0xf0f0f0f, v135
	v_dot4c_i32_i8_e32 v130, v138, v17
	s_waitcnt lgkmcnt(0)
	v_and_b32_e32 v138, 0xff, v80
	v_lshrrev_b32_e32 v76, 4, v76
	v_and_b32_e32 v76, 0xf0f0f0f, v76
	v_mul_lo_u32 v130, v130, v138
	v_cvt_f32_i32_e32 v143, v130
	v_mov_b32_e32 v130, 0
	v_dot4c_i32_i8_e32 v130, v76, v10
	v_lshrrev_b32_e32 v76, 4, v77
	v_and_b32_e32 v76, 0xf0f0f0f, v76
	v_dot4c_i32_i8_e32 v130, v76, v11
	v_lshrrev_b32_e32 v76, 4, v78
	v_and_b32_e32 v76, 0xf0f0f0f, v76
	;; [unrolled: 3-line block ×7, first 2 shown]
	v_dot4c_i32_i8_e32 v130, v76, v9
	v_bfe_u32 v76, v80, 8, 8
	v_mov_b32_e32 v147, 0
	v_mov_b32_e32 v149, 0
	v_mul_lo_u32 v76, v130, v76
	v_cvt_f32_i32_e32 v145, v76
	v_and_b32_e32 v76, 0xf0f0f0f, v136
	v_dot4c_i32_i8_e32 v147, v76, v18
	v_and_b32_e32 v76, 0xf0f0f0f, v137
	v_dot4c_i32_i8_e32 v147, v76, v19
	v_add_u32_e32 v76, 0x2148, v119
	ds_read2_b32 v[78:79], v76 offset1:1
	v_lshrrev_b32_e32 v136, 4, v136
	v_and_b32_e32 v136, 0xf0f0f0f, v136
	v_add_u32_e32 v77, 0x2150, v119
	v_add_u32_e32 v76, 0x31c0, v119
	v_dot4c_i32_i8_e32 v149, v136, v10
	v_lshrrev_b32_e32 v136, 4, v137
	v_add_u32_e32 v130, 0x2158, v119
	ds_read2_b32 v[132:133], v77 offset1:1
	ds_read2_b32 v[134:135], v130 offset1:1
	;; [unrolled: 1-line block ×3, first 2 shown]
	s_waitcnt lgkmcnt(3)
	v_and_b32_e32 v76, 0xf0f0f0f, v78
	v_and_b32_e32 v136, 0xf0f0f0f, v136
	v_lshrrev_b32_e32 v78, 4, v78
	v_dot4c_i32_i8_e32 v149, v136, v11
	v_and_b32_e32 v78, 0xf0f0f0f, v78
	v_dot4c_i32_i8_e32 v149, v78, v12
	v_lshrrev_b32_e32 v78, 4, v79
	v_and_b32_e32 v78, 0xf0f0f0f, v78
	v_dot4c_i32_i8_e32 v147, v76, v20
	v_and_b32_e32 v76, 0xf0f0f0f, v79
	v_dot4c_i32_i8_e32 v149, v78, v13
	s_waitcnt lgkmcnt(2)
	v_lshrrev_b32_e32 v78, 4, v132
	v_dot4c_i32_i8_e32 v147, v76, v21
	v_and_b32_e32 v76, 0xf0f0f0f, v132
	v_and_b32_e32 v78, 0xf0f0f0f, v78
	v_dot4c_i32_i8_e32 v147, v76, v14
	v_and_b32_e32 v76, 0xf0f0f0f, v133
	v_dot4c_i32_i8_e32 v149, v78, v6
	v_lshrrev_b32_e32 v78, 4, v133
	v_dot4c_i32_i8_e32 v147, v76, v15
	ds_read2_b32 v[76:77], v124 offset0:1 offset1:3
	v_and_b32_e32 v78, 0xf0f0f0f, v78
	v_dot4c_i32_i8_e32 v149, v78, v7
	s_waitcnt lgkmcnt(2)
	v_lshrrev_b32_e32 v78, 4, v134
	v_and_b32_e32 v78, 0xf0f0f0f, v78
	v_dot4c_i32_i8_e32 v149, v78, v8
	v_lshrrev_b32_e32 v78, 4, v135
	v_and_b32_e32 v78, 0xf0f0f0f, v78
	v_dot4c_i32_i8_e32 v149, v78, v9
	s_waitcnt lgkmcnt(0)
	v_bfe_u32 v78, v76, 8, 8
	v_mov_b32_e32 v151, 0
	v_and_b32_e32 v130, 0xf0f0f0f, v134
	v_mul_lo_u32 v78, v149, v78
	v_cvt_f32_i32_e32 v149, v78
	v_and_b32_e32 v78, 0xf0f0f0f, v138
	v_dot4c_i32_i8_e32 v151, v78, v18
	v_and_b32_e32 v18, 0xf0f0f0f, v139
	v_dot4c_i32_i8_e32 v151, v18, v19
	v_add_u32_e32 v18, 0x31c8, v119
	ds_read2_b32 v[18:19], v18 offset1:1
	v_add_u32_e32 v78, 0x31d0, v119
	v_add_u32_e32 v136, 0x10e0, v119
	v_dot4c_i32_i8_e32 v147, v130, v16
	v_and_b32_e32 v130, 0xf0f0f0f, v135
	v_add_u32_e32 v79, 0x31d8, v119
	ds_read2_b32 v[132:133], v78 offset1:1
	ds_read2_b32 v[134:135], v79 offset1:1
	;; [unrolled: 1-line block ×3, first 2 shown]
	s_waitcnt lgkmcnt(3)
	v_and_b32_e32 v78, 0xf0f0f0f, v18
	v_dot4c_i32_i8_e32 v151, v78, v20
	v_and_b32_e32 v20, 0xf0f0f0f, v19
	ds_read2_b32 v[78:79], v126 offset0:1 offset1:3
	v_dot4c_i32_i8_e32 v151, v20, v21
	s_waitcnt lgkmcnt(3)
	v_and_b32_e32 v20, 0xf0f0f0f, v132
	v_dot4c_i32_i8_e32 v151, v20, v14
	v_and_b32_e32 v14, 0xf0f0f0f, v133
	v_dot4c_i32_i8_e32 v151, v14, v15
	s_waitcnt lgkmcnt(2)
	v_and_b32_e32 v14, 0xf0f0f0f, v134
	v_dot4c_i32_i8_e32 v151, v14, v16
	v_and_b32_e32 v14, 0xf0f0f0f, v135
	v_dot4c_i32_i8_e32 v151, v14, v17
	s_waitcnt lgkmcnt(0)
	v_and_b32_e32 v14, 0xff, v78
	v_mov_b32_e32 v15, 0
	v_dot4c_i32_i8_e32 v147, v130, v17
	v_mul_lo_u32 v14, v151, v14
	v_cvt_f32_i32_e32 v151, v14
	v_lshrrev_b32_e32 v14, 4, v138
	v_and_b32_e32 v14, 0xf0f0f0f, v14
	v_dot4c_i32_i8_e32 v15, v14, v10
	v_lshrrev_b32_e32 v10, 4, v139
	v_and_b32_e32 v10, 0xf0f0f0f, v10
	v_dot4c_i32_i8_e32 v15, v10, v11
	;; [unrolled: 3-line block ×8, first 2 shown]
	v_bfe_u32 v6, v78, 8, 8
	v_and_b32_e32 v132, 0xf0f0f0f, v82
	v_mov_b32_e32 v133, 0
	v_mul_lo_u32 v6, v15, v6
	v_cvt_f32_i32_e32 v138, v6
	ds_read_b128 v[18:21], v116 offset:64
	ds_read_b128 v[14:17], v116 offset:80
	;; [unrolled: 1-line block ×4, first 2 shown]
	v_lshrrev_b32_e32 v82, 4, v82
	s_waitcnt lgkmcnt(3)
	v_dot4c_i32_i8_e32 v133, v132, v18
	v_and_b32_e32 v132, 0xf0f0f0f, v83
	v_dot4c_i32_i8_e32 v133, v132, v19
	v_and_b32_e32 v132, 0xf0f0f0f, v86
	;; [unrolled: 2-line block ×4, first 2 shown]
	s_waitcnt lgkmcnt(2)
	v_dot4c_i32_i8_e32 v133, v132, v14
	v_and_b32_e32 v132, 0xf0f0f0f, v89
	v_dot4c_i32_i8_e32 v133, v132, v15
	v_and_b32_e32 v132, 0xf0f0f0f, v90
	;; [unrolled: 2-line block ×4, first 2 shown]
	v_mov_b32_e32 v132, 0
	s_waitcnt lgkmcnt(1)
	v_dot4c_i32_i8_e32 v132, v82, v10
	v_lshrrev_b32_e32 v82, 4, v83
	v_and_b32_e32 v82, 0xf0f0f0f, v82
	v_dot4c_i32_i8_e32 v132, v82, v11
	v_lshrrev_b32_e32 v82, 4, v86
	v_and_b32_e32 v82, 0xf0f0f0f, v82
	;; [unrolled: 3-line block ×4, first 2 shown]
	s_waitcnt lgkmcnt(0)
	v_dot4c_i32_i8_e32 v132, v82, v6
	v_lshrrev_b32_e32 v82, 4, v89
	v_and_b32_e32 v82, 0xf0f0f0f, v82
	v_dot4c_i32_i8_e32 v132, v82, v7
	v_lshrrev_b32_e32 v82, 4, v90
	v_cvt_f32_f16_e32 v87, v4
	v_cvt_f32_f16_sdwa v83, v4 dst_sel:DWORD dst_unused:UNUSED_PAD src0_sel:WORD_1
	v_and_b32_e32 v4, 0xff, v84
	v_bfe_u32 v88, v84, 16, 8
	v_and_b32_e32 v82, 0xf0f0f0f, v82
	v_mul_lo_u32 v4, v128, v4
	v_mul_lo_u32 v88, v133, v88
	v_dot4c_i32_i8_e32 v132, v82, v8
	v_lshrrev_b32_e32 v82, 4, v91
	v_cvt_f32_f16_e32 v86, v2
	v_cvt_f32_i32_e32 v91, v88
	v_cvt_f32_i32_e32 v90, v4
	v_and_b32_e32 v82, 0xf0f0f0f, v82
	v_lshrrev_b32_e32 v140, 24, v84
	v_dot4c_i32_i8_e32 v132, v82, v9
	v_bfe_u32 v84, v84, 8, 8
	v_pk_fma_f32 v[90:91], v[86:87], v[90:91], 0 op_sel_hi:[1,1,0]
	v_mul_lo_u32 v84, v141, v84
	v_mul_lo_u32 v86, v132, v140
	v_cvt_f32_f16_sdwa v82, v2 dst_sel:DWORD dst_unused:UNUSED_PAD src0_sel:WORD_1
	v_cvt_f32_f16_e32 v89, v5
	v_cvt_f32_f16_e32 v88, v3
	v_cvt_f32_i32_e32 v133, v86
	v_cvt_f32_i32_e32 v132, v84
	v_and_b32_e32 v148, 0xff, v76
	v_cvt_f32_f16_sdwa v5, v5 dst_sel:DWORD dst_unused:UNUSED_PAD src0_sel:WORD_1
	v_cvt_f32_f16_sdwa v4, v3 dst_sel:DWORD dst_unused:UNUSED_PAD src0_sel:WORD_1
	v_mul_lo_u32 v147, v147, v148
	v_cvt_f32_i32_e32 v147, v147
	v_cvt_f32_ubyte2_e32 v135, v85
	v_cvt_f32_ubyte0_e32 v134, v85
	v_pk_fma_f32 v[134:135], v[82:83], v[134:135], 0 op_sel_hi:[1,1,0]
	v_pk_fma_f32 v[90:91], v[88:89], v[132:133], v[90:91]
	v_cvt_f32_ubyte3_e32 v133, v85
	v_cvt_f32_ubyte1_e32 v132, v85
	v_cvt_f32_ubyte0_e32 v148, v77
	v_pk_fma_f32 v[84:85], v[4:5], v[132:133], v[134:135]
	v_cvt_f32_ubyte0_e32 v144, v81
	v_cvt_f32_ubyte1_e32 v150, v77
	v_cvt_f32_ubyte0_e32 v153, v79
	v_pk_mul_f32 v[84:85], v[84:85], v[52:53] op_sel_hi:[1,0]
	v_fma_mix_f32 v82, v2, v148, 0 op_sel:[1,0,0] op_sel_hi:[1,0,0]
	v_cvt_f32_ubyte1_e32 v139, v79
	v_pk_fma_f32 v[84:85], v[90:91], v[22:23], v[84:85] op_sel_hi:[1,0,1] neg_lo:[0,0,1] neg_hi:[0,0,1]
	v_fma_mix_f32 v4, v2, v143, 0 op_sel_hi:[1,0,0]
	v_fma_mix_f32 v22, v2, v144, 0 op_sel:[1,0,0] op_sel_hi:[1,0,0]
	v_fma_mix_f32 v52, v2, v147, 0 op_sel_hi:[1,0,0]
	v_fma_mix_f32 v128, v3, v150, v82 op_sel:[1,0,0] op_sel_hi:[1,0,0]
	v_fma_mix_f32 v82, v2, v151, 0 op_sel_hi:[1,0,0]
	v_fma_mix_f32 v2, v2, v153, 0 op_sel:[1,0,0] op_sel_hi:[1,0,0]
	v_fma_mix_f32 v140, v3, v138, v82 op_sel_hi:[1,0,0]
	v_fma_mix_f32 v141, v3, v139, v2 op_sel:[1,0,0] op_sel_hi:[1,0,0]
	v_and_b32_e32 v2, 0xf0f0f0f, v136
	v_mov_b32_e32 v82, 0
	v_dot4c_i32_i8_e32 v82, v2, v18
	v_and_b32_e32 v2, 0xf0f0f0f, v137
	v_cvt_f32_ubyte1_e32 v146, v81
	v_dot4c_i32_i8_e32 v82, v2, v19
	v_add_u32_e32 v2, 0x10e8, v119
	v_fma_mix_f32 v4, v3, v145, v4 op_sel_hi:[1,0,0]
	v_fma_mix_f32 v22, v3, v146, v22 op_sel:[1,0,0] op_sel_hi:[1,0,0]
	v_fma_mix_f32 v52, v3, v149, v52 op_sel_hi:[1,0,0]
	ds_read2_b32 v[2:3], v2 offset1:1
	v_add_u32_e32 v86, 0x10f0, v119
	v_add_u32_e32 v134, 0x2160, v119
	;; [unrolled: 1-line block ×3, first 2 shown]
	ds_read2_b32 v[90:91], v86 offset1:1
	ds_read2_b32 v[132:133], v88 offset1:1
	;; [unrolled: 1-line block ×3, first 2 shown]
	s_waitcnt lgkmcnt(3)
	v_and_b32_e32 v86, 0xf0f0f0f, v2
	v_dot4c_i32_i8_e32 v82, v86, v20
	v_and_b32_e32 v86, 0xf0f0f0f, v3
	v_dot4c_i32_i8_e32 v82, v86, v21
	s_waitcnt lgkmcnt(2)
	v_and_b32_e32 v86, 0xf0f0f0f, v90
	v_dot4c_i32_i8_e32 v82, v86, v14
	v_and_b32_e32 v86, 0xf0f0f0f, v91
	v_dot4c_i32_i8_e32 v82, v86, v15
	s_waitcnt lgkmcnt(1)
	v_and_b32_e32 v86, 0xf0f0f0f, v132
	v_dot4c_i32_i8_e32 v82, v86, v16
	v_and_b32_e32 v86, 0xf0f0f0f, v133
	v_lshrrev_b32_e32 v142, 24, v80
	v_dot4c_i32_i8_e32 v82, v86, v17
	v_bfe_u32 v80, v80, 16, 8
	v_lshrrev_b32_e32 v2, 4, v2
	v_and_b32_e32 v2, 0xf0f0f0f, v2
	v_mul_lo_u32 v80, v82, v80
	v_cvt_f32_i32_e32 v138, v80
	v_lshrrev_b32_e32 v80, 4, v136
	v_and_b32_e32 v80, 0xf0f0f0f, v80
	v_mov_b32_e32 v82, 0
	v_dot4c_i32_i8_e32 v82, v80, v10
	v_lshrrev_b32_e32 v80, 4, v137
	v_and_b32_e32 v80, 0xf0f0f0f, v80
	v_dot4c_i32_i8_e32 v82, v80, v11
	v_dot4c_i32_i8_e32 v82, v2, v12
	v_lshrrev_b32_e32 v2, 4, v3
	v_and_b32_e32 v2, 0xf0f0f0f, v2
	v_dot4c_i32_i8_e32 v82, v2, v13
	v_lshrrev_b32_e32 v2, 4, v90
	v_and_b32_e32 v2, 0xf0f0f0f, v2
	;; [unrolled: 3-line block ×5, first 2 shown]
	v_dot4c_i32_i8_e32 v82, v2, v9
	v_cvt_f32_f16_sdwa v3, v131 dst_sel:DWORD dst_unused:UNUSED_PAD src0_sel:WORD_1
	v_cvt_f32_ubyte2_e32 v139, v81
	v_cvt_f32_ubyte3_e32 v81, v81
	v_mul_lo_u32 v2, v82, v142
	v_cvt_f32_i32_e32 v80, v2
	v_cvt_f32_f16_e32 v2, v131
	v_mul_f32_e32 v22, v22, v3
	v_mov_b32_e32 v82, v87
	v_fma_mix_f32 v91, v4, v131, -v22 op_sel_hi:[0,1,0]
	v_pk_fma_f32 v[86:87], v[82:83], v[138:139], 0 op_sel_hi:[1,1,0]
	v_mov_b32_e32 v4, v89
	v_pk_fma_f32 v[80:81], v[4:5], v[80:81], v[86:87]
	v_mov_b32_e32 v90, v84
	v_pk_mul_f32 v[86:87], v[80:81], v[2:3]
	v_pk_add_f32 v[62:63], v[62:63], v[90:91]
	v_mov_b32_e32 v87, v86
	v_pk_fma_f32 v[2:3], v[80:81], v[2:3], v[86:87] neg_lo:[1,0,0] neg_hi:[1,0,0]
	v_mov_b32_e32 v22, 0
	v_mov_b32_e32 v2, v85
	v_pk_add_f32 v[62:63], v[62:63], v[2:3]
	s_waitcnt lgkmcnt(0)
	v_and_b32_e32 v2, 0xf0f0f0f, v134
	v_dot4c_i32_i8_e32 v22, v2, v18
	v_and_b32_e32 v2, 0xf0f0f0f, v135
	v_dot4c_i32_i8_e32 v22, v2, v19
	v_add_u32_e32 v2, 0x2168, v119
	ds_read2_b32 v[2:3], v2 offset1:1
	v_add_u32_e32 v80, 0x2170, v119
	v_add_u32_e32 v84, 0x2178, v119
	;; [unrolled: 1-line block ×3, first 2 shown]
	ds_read2_b32 v[80:81], v80 offset1:1
	ds_read2_b32 v[84:85], v84 offset1:1
	;; [unrolled: 1-line block ×3, first 2 shown]
	s_waitcnt lgkmcnt(3)
	v_and_b32_e32 v88, 0xf0f0f0f, v2
	v_dot4c_i32_i8_e32 v22, v88, v20
	v_and_b32_e32 v88, 0xf0f0f0f, v3
	v_dot4c_i32_i8_e32 v22, v88, v21
	s_waitcnt lgkmcnt(2)
	v_and_b32_e32 v88, 0xf0f0f0f, v80
	v_dot4c_i32_i8_e32 v22, v88, v14
	v_and_b32_e32 v88, 0xf0f0f0f, v81
	v_dot4c_i32_i8_e32 v22, v88, v15
	s_waitcnt lgkmcnt(1)
	v_and_b32_e32 v88, 0xf0f0f0f, v84
	v_dot4c_i32_i8_e32 v22, v88, v16
	v_and_b32_e32 v88, 0xf0f0f0f, v85
	v_lshrrev_b32_e32 v130, 24, v76
	v_dot4c_i32_i8_e32 v22, v88, v17
	v_bfe_u32 v76, v76, 16, 8
	v_lshrrev_b32_e32 v2, 4, v2
	v_and_b32_e32 v2, 0xf0f0f0f, v2
	v_mul_lo_u32 v22, v22, v76
	v_cvt_f32_i32_e32 v88, v22
	v_lshrrev_b32_e32 v22, 4, v134
	v_and_b32_e32 v22, 0xf0f0f0f, v22
	v_mov_b32_e32 v76, 0
	v_dot4c_i32_i8_e32 v76, v22, v10
	v_lshrrev_b32_e32 v22, 4, v135
	v_and_b32_e32 v22, 0xf0f0f0f, v22
	v_dot4c_i32_i8_e32 v76, v22, v11
	v_dot4c_i32_i8_e32 v76, v2, v12
	v_lshrrev_b32_e32 v2, 4, v3
	v_and_b32_e32 v2, 0xf0f0f0f, v2
	v_dot4c_i32_i8_e32 v76, v2, v13
	v_lshrrev_b32_e32 v2, 4, v80
	v_and_b32_e32 v2, 0xf0f0f0f, v2
	;; [unrolled: 3-line block ×5, first 2 shown]
	v_cvt_f32_f16_sdwa v3, v129 dst_sel:DWORD dst_unused:UNUSED_PAD src0_sel:WORD_1
	v_dot4c_i32_i8_e32 v76, v2, v9
	v_cvt_f32_ubyte2_e32 v89, v77
	v_cvt_f32_ubyte3_e32 v77, v77
	v_mul_f32_e32 v22, v128, v3
	v_mul_lo_u32 v2, v76, v130
	v_cvt_f32_i32_e32 v76, v2
	v_cvt_f32_f16_e32 v2, v129
	v_fma_mix_f32 v22, v52, v129, -v22 op_sel_hi:[0,1,0]
	v_add_f32_e32 v52, v23, v22
	v_pk_fma_f32 v[22:23], v[82:83], v[88:89], 0 op_sel_hi:[1,1,0]
	v_lshrrev_b32_e32 v152, 24, v78
	v_pk_fma_f32 v[22:23], v[4:5], v[76:77], v[22:23]
	s_nop 0
	v_pk_mul_f32 v[2:3], v[22:23], v[2:3]
	v_mov_b32_e32 v22, 0
	v_sub_f32_e32 v2, v2, v3
	v_add_f32_e32 v23, v52, v2
	s_waitcnt lgkmcnt(0)
	v_and_b32_e32 v2, 0xf0f0f0f, v86
	v_dot4c_i32_i8_e32 v22, v2, v18
	v_and_b32_e32 v2, 0xf0f0f0f, v87
	v_dot4c_i32_i8_e32 v22, v2, v19
	v_add_u32_e32 v2, 0x31e8, v119
	ds_read2_b32 v[2:3], v2 offset1:1
	v_add_u32_e32 v18, 0x31f0, v119
	v_add_u32_e32 v52, 0x31f8, v119
	ds_read2_b32 v[18:19], v18 offset1:1
	ds_read2_b32 v[76:77], v52 offset1:1
	s_waitcnt lgkmcnt(0)
	v_and_b32_e32 v52, 0xf0f0f0f, v2
	v_dot4c_i32_i8_e32 v22, v52, v20
	v_and_b32_e32 v20, 0xf0f0f0f, v3
	v_dot4c_i32_i8_e32 v22, v20, v21
	;; [unrolled: 2-line block ×5, first 2 shown]
	v_and_b32_e32 v14, 0xf0f0f0f, v77
	v_lshrrev_b32_e32 v16, 4, v86
	v_dot4c_i32_i8_e32 v22, v14, v17
	v_and_b32_e32 v16, 0xf0f0f0f, v16
	v_mov_b32_e32 v17, 0
	v_dot4c_i32_i8_e32 v17, v16, v10
	v_lshrrev_b32_e32 v10, 4, v87
	v_and_b32_e32 v10, 0xf0f0f0f, v10
	v_lshrrev_b32_e32 v2, 4, v2
	v_dot4c_i32_i8_e32 v17, v10, v11
	v_and_b32_e32 v2, 0xf0f0f0f, v2
	v_dot4c_i32_i8_e32 v17, v2, v12
	v_lshrrev_b32_e32 v2, 4, v3
	v_and_b32_e32 v2, 0xf0f0f0f, v2
	v_dot4c_i32_i8_e32 v17, v2, v13
	v_lshrrev_b32_e32 v2, 4, v18
	;; [unrolled: 3-line block ×5, first 2 shown]
	v_bfe_u32 v14, v78, 16, 8
	v_and_b32_e32 v2, 0xf0f0f0f, v2
	v_cvt_f32_f16_sdwa v3, v25 dst_sel:DWORD dst_unused:UNUSED_PAD src0_sel:WORD_1
	v_mul_lo_u32 v14, v22, v14
	v_dot4c_i32_i8_e32 v17, v2, v9
	v_cvt_f32_i32_e32 v14, v14
	v_mul_f32_e32 v8, v141, v3
	v_cvt_f32_ubyte2_e32 v15, v79
	v_mul_lo_u32 v2, v17, v152
	v_cvt_f32_i32_e32 v6, v2
	v_cvt_f32_f16_e32 v2, v25
	v_fma_mix_f32 v8, v140, v25, -v8 op_sel_hi:[0,1,0]
	v_cvt_f32_ubyte3_e32 v7, v79
	v_add_f32_e32 v10, v53, v8
	v_pk_fma_f32 v[8:9], v[82:83], v[14:15], 0 op_sel_hi:[1,1,0]
	s_barrier
	v_pk_fma_f32 v[4:5], v[4:5], v[6:7], v[8:9]
	s_nop 0
	v_pk_mul_f32 v[2:3], v[4:5], v[2:3]
	s_nop 0
	v_sub_f32_e32 v2, v2, v3
	v_add_f32_e32 v53, v10, v2
.LBB191_5:                              ;   in Loop: Header=BB191_6 Depth=1
	s_add_i32 s25, s25, -1
	s_addk_i32 s14, 0x100
	v_add_u32_e32 v24, 8, v24
	v_add_u32_e32 v121, 8, v121
	;; [unrolled: 1-line block ×3, first 2 shown]
	v_lshl_add_u64 v[30:31], v[30:31], 0, s[18:19]
	v_lshl_add_u64 v[32:33], v[32:33], 0, s[18:19]
	;; [unrolled: 1-line block ×20, first 2 shown]
	s_cmp_eq_u32 s25, 0
	v_lshl_add_u64 v[74:75], v[74:75], 0, s[18:19]
	s_cbranch_scc1 .LBB191_19
.LBB191_6:                              ; =>This Inner Loop Header: Depth=1
	v_lshl_add_u64 v[2:3], v[30:31], 0, s[16:17]
	global_load_dword v4, v[2:3], off
	v_lshl_add_u64 v[2:3], v[32:33], 0, s[16:17]
	global_load_dword v5, v[2:3], off
	;; [unrolled: 2-line block ×21, first 2 shown]
	s_add_i32 s2, s14, 0xffffff80
	s_cmp_lt_i32 s2, s15
	s_waitcnt vmcnt(20)
	ds_write_b32 v92, v4
	s_waitcnt vmcnt(19)
	ds_write_b32 v93, v5
	;; [unrolled: 2-line block ×17, first 2 shown]
	s_waitcnt vmcnt(3)
	v_ashrrev_i32_e32 v3, v109, v21
	v_and_b32_e32 v3, 0xf0f0f0f, v3
	s_waitcnt vmcnt(2)
	v_ashrrev_i32_e32 v4, v110, v22
	v_and_or_b32 v3, v4, s22, v3
	s_waitcnt vmcnt(1)
	v_ashrrev_i32_e32 v5, v109, v25
	v_and_b32_e32 v5, 0xf0f0f0f, v5
	s_waitcnt vmcnt(0)
	v_ashrrev_i32_e32 v2, v110, v2
	v_and_or_b32 v2, v2, s22, v5
	ds_write_b32 v111, v3
	ds_write_b32 v112, v2
	s_cbranch_scc0 .LBB191_5
; %bb.7:                                ;   in Loop: Header=BB191_6 Depth=1
	v_cmp_gt_i32_e64 s[2:3], s5, v115
	s_and_b64 s[8:9], s[0:1], s[2:3]
	s_and_saveexec_b64 s[2:3], s[8:9]
	s_cbranch_execz .LBB191_9
; %bb.8:                                ;   in Loop: Header=BB191_6 Depth=1
	v_add_u32_e32 v2, v28, v115
	v_mad_i64_i32 v[2:3], s[8:9], v2, 36, v[26:27]
	global_load_dword v2, v[2:3], off offset:4
	s_waitcnt vmcnt(0)
	ds_write_b32 v113, v2
.LBB191_9:                              ;   in Loop: Header=BB191_6 Depth=1
	s_or_b64 exec, exec, s[2:3]
	s_and_saveexec_b64 s[8:9], vcc
	s_cbranch_execz .LBB191_12
; %bb.10:                               ;   in Loop: Header=BB191_6 Depth=1
	v_cmp_gt_i32_e64 s[2:3], s5, v24
	s_and_b64 s[2:3], s[0:1], s[2:3]
	s_and_b64 exec, exec, s[2:3]
	s_cbranch_execz .LBB191_12
; %bb.11:                               ;   in Loop: Header=BB191_6 Depth=1
	v_add_u32_e32 v2, v28, v24
	v_mad_i64_i32 v[2:3], s[2:3], v2, 36, s[10:11]
	global_load_dword v2, v[2:3], off
	s_waitcnt vmcnt(0)
	ds_write_b32 v114, v2
.LBB191_12:                             ;   in Loop: Header=BB191_6 Depth=1
	s_or_b64 exec, exec, s[8:9]
	s_waitcnt lgkmcnt(0)
	s_barrier
	ds_read_b128 v[2:5], v117 offset:20560
	ds_read2_b32 v[76:77], v119 offset1:1
	ds_read_b128 v[18:21], v116
	ds_read_b128 v[14:17], v116 offset:16
	ds_read_b128 v[10:13], v116 offset:32
	;; [unrolled: 1-line block ×3, first 2 shown]
	ds_read_b32 v25, v120
	ds_read2_b32 v[78:79], v119 offset0:2 offset1:3
	s_waitcnt lgkmcnt(6)
	v_and_b32_e32 v22, 0xf0f0f0f, v76
	v_mov_b32_e32 v128, 0
	s_waitcnt lgkmcnt(5)
	v_dot4c_i32_i8_e32 v128, v22, v18
	v_and_b32_e32 v22, 0xf0f0f0f, v77
	ds_read2_b32 v[80:81], v119 offset0:4 offset1:5
	ds_read2_b32 v[86:87], v119 offset0:6 offset1:7
	;; [unrolled: 1-line block ×3, first 2 shown]
	v_dot4c_i32_i8_e32 v128, v22, v19
	s_waitcnt lgkmcnt(3)
	v_and_b32_e32 v22, 0xf0f0f0f, v78
	v_dot4c_i32_i8_e32 v128, v22, v20
	v_and_b32_e32 v22, 0xf0f0f0f, v79
	v_dot4c_i32_i8_e32 v128, v22, v21
	s_waitcnt lgkmcnt(2)
	v_and_b32_e32 v22, 0xf0f0f0f, v80
	v_dot4c_i32_i8_e32 v128, v22, v14
	v_and_b32_e32 v22, 0xf0f0f0f, v81
	;; [unrolled: 5-line block ×3, first 2 shown]
	v_dot4c_i32_i8_e32 v128, v22, v17
	v_lshrrev_b32_e32 v22, 4, v76
	v_and_b32_e32 v22, 0xf0f0f0f, v22
	v_mov_b32_e32 v141, 0
	v_dot4c_i32_i8_e32 v141, v22, v10
	v_lshrrev_b32_e32 v22, 4, v77
	v_and_b32_e32 v22, 0xf0f0f0f, v22
	v_dot4c_i32_i8_e32 v141, v22, v11
	v_lshrrev_b32_e32 v22, 4, v78
	v_and_b32_e32 v22, 0xf0f0f0f, v22
	;; [unrolled: 3-line block ×6, first 2 shown]
	v_add_u32_e32 v52, 0x1080, v119
	ds_read2_b32 v[84:85], v118 offset1:2
	v_dot4c_i32_i8_e32 v141, v22, v8
	v_lshrrev_b32_e32 v22, 4, v87
	ds_read2_b32 v[86:87], v119 offset0:10 offset1:11
	ds_read2_b32 v[88:89], v119 offset0:12 offset1:13
	;; [unrolled: 1-line block ×3, first 2 shown]
	ds_read2_b32 v[76:77], v52 offset1:1
	v_mov_b32_e32 v130, 0
	v_and_b32_e32 v22, 0xf0f0f0f, v22
	v_dot4c_i32_i8_e32 v141, v22, v9
	v_cvt_f32_f16_e32 v22, v25
	s_waitcnt lgkmcnt(0)
	v_and_b32_e32 v78, 0xf0f0f0f, v76
	v_dot4c_i32_i8_e32 v130, v78, v18
	v_and_b32_e32 v78, 0xf0f0f0f, v77
	v_dot4c_i32_i8_e32 v130, v78, v19
	v_add_u32_e32 v78, 0x1088, v119
	v_cvt_f32_f16_sdwa v52, v25 dst_sel:DWORD dst_unused:UNUSED_PAD src0_sel:WORD_1
	ds_read_b32 v131, v123 offset:128
	ds_read_b32 v129, v125 offset:256
	;; [unrolled: 1-line block ×3, first 2 shown]
	ds_read2_b32 v[78:79], v78 offset1:1
	v_add_u32_e32 v80, 0x1090, v119
	v_add_u32_e32 v136, 0x2100, v119
	;; [unrolled: 1-line block ×3, first 2 shown]
	ds_read2_b32 v[132:133], v80 offset1:1
	ds_read2_b32 v[134:135], v81 offset1:1
	;; [unrolled: 1-line block ×3, first 2 shown]
	s_waitcnt lgkmcnt(3)
	v_and_b32_e32 v80, 0xf0f0f0f, v78
	v_dot4c_i32_i8_e32 v130, v80, v20
	v_and_b32_e32 v80, 0xf0f0f0f, v79
	v_dot4c_i32_i8_e32 v130, v80, v21
	s_waitcnt lgkmcnt(2)
	v_and_b32_e32 v80, 0xf0f0f0f, v132
	v_dot4c_i32_i8_e32 v130, v80, v14
	v_and_b32_e32 v80, 0xf0f0f0f, v133
	v_dot4c_i32_i8_e32 v130, v80, v15
	ds_read2_b32 v[80:81], v122 offset1:2
	s_waitcnt lgkmcnt(2)
	v_and_b32_e32 v138, 0xf0f0f0f, v134
	v_dot4c_i32_i8_e32 v130, v138, v16
	v_and_b32_e32 v138, 0xf0f0f0f, v135
	v_dot4c_i32_i8_e32 v130, v138, v17
	s_waitcnt lgkmcnt(0)
	v_and_b32_e32 v138, 0xff, v80
	v_lshrrev_b32_e32 v76, 4, v76
	v_and_b32_e32 v76, 0xf0f0f0f, v76
	v_mul_lo_u32 v130, v130, v138
	v_cvt_f32_i32_e32 v143, v130
	v_mov_b32_e32 v130, 0
	v_dot4c_i32_i8_e32 v130, v76, v10
	v_lshrrev_b32_e32 v76, 4, v77
	v_and_b32_e32 v76, 0xf0f0f0f, v76
	v_dot4c_i32_i8_e32 v130, v76, v11
	v_lshrrev_b32_e32 v76, 4, v78
	v_and_b32_e32 v76, 0xf0f0f0f, v76
	;; [unrolled: 3-line block ×7, first 2 shown]
	v_dot4c_i32_i8_e32 v130, v76, v9
	v_bfe_u32 v76, v80, 8, 8
	v_mov_b32_e32 v147, 0
	v_mov_b32_e32 v149, 0
	v_mul_lo_u32 v76, v130, v76
	v_cvt_f32_i32_e32 v145, v76
	v_and_b32_e32 v76, 0xf0f0f0f, v136
	v_dot4c_i32_i8_e32 v147, v76, v18
	v_and_b32_e32 v76, 0xf0f0f0f, v137
	v_dot4c_i32_i8_e32 v147, v76, v19
	v_add_u32_e32 v76, 0x2108, v119
	ds_read2_b32 v[78:79], v76 offset1:1
	v_lshrrev_b32_e32 v136, 4, v136
	v_and_b32_e32 v136, 0xf0f0f0f, v136
	v_add_u32_e32 v77, 0x2110, v119
	v_add_u32_e32 v76, 0x3180, v119
	v_dot4c_i32_i8_e32 v149, v136, v10
	v_lshrrev_b32_e32 v136, 4, v137
	v_add_u32_e32 v130, 0x2118, v119
	ds_read2_b32 v[132:133], v77 offset1:1
	ds_read2_b32 v[134:135], v130 offset1:1
	;; [unrolled: 1-line block ×3, first 2 shown]
	s_waitcnt lgkmcnt(3)
	v_and_b32_e32 v76, 0xf0f0f0f, v78
	v_and_b32_e32 v136, 0xf0f0f0f, v136
	v_lshrrev_b32_e32 v78, 4, v78
	v_dot4c_i32_i8_e32 v149, v136, v11
	v_and_b32_e32 v78, 0xf0f0f0f, v78
	v_dot4c_i32_i8_e32 v149, v78, v12
	v_lshrrev_b32_e32 v78, 4, v79
	v_and_b32_e32 v78, 0xf0f0f0f, v78
	v_dot4c_i32_i8_e32 v147, v76, v20
	v_and_b32_e32 v76, 0xf0f0f0f, v79
	v_dot4c_i32_i8_e32 v149, v78, v13
	s_waitcnt lgkmcnt(2)
	v_lshrrev_b32_e32 v78, 4, v132
	v_dot4c_i32_i8_e32 v147, v76, v21
	v_and_b32_e32 v76, 0xf0f0f0f, v132
	v_and_b32_e32 v78, 0xf0f0f0f, v78
	v_dot4c_i32_i8_e32 v147, v76, v14
	v_and_b32_e32 v76, 0xf0f0f0f, v133
	v_dot4c_i32_i8_e32 v149, v78, v6
	v_lshrrev_b32_e32 v78, 4, v133
	v_dot4c_i32_i8_e32 v147, v76, v15
	ds_read2_b32 v[76:77], v124 offset1:2
	v_and_b32_e32 v78, 0xf0f0f0f, v78
	v_dot4c_i32_i8_e32 v149, v78, v7
	s_waitcnt lgkmcnt(2)
	v_lshrrev_b32_e32 v78, 4, v134
	v_and_b32_e32 v78, 0xf0f0f0f, v78
	v_dot4c_i32_i8_e32 v149, v78, v8
	v_lshrrev_b32_e32 v78, 4, v135
	v_and_b32_e32 v78, 0xf0f0f0f, v78
	v_dot4c_i32_i8_e32 v149, v78, v9
	s_waitcnt lgkmcnt(0)
	v_bfe_u32 v78, v76, 8, 8
	v_mov_b32_e32 v151, 0
	v_and_b32_e32 v130, 0xf0f0f0f, v134
	v_mul_lo_u32 v78, v149, v78
	v_cvt_f32_i32_e32 v149, v78
	v_and_b32_e32 v78, 0xf0f0f0f, v138
	v_dot4c_i32_i8_e32 v151, v78, v18
	v_and_b32_e32 v18, 0xf0f0f0f, v139
	v_dot4c_i32_i8_e32 v151, v18, v19
	v_add_u32_e32 v18, 0x3188, v119
	ds_read2_b32 v[18:19], v18 offset1:1
	v_add_u32_e32 v78, 0x3190, v119
	v_add_u32_e32 v136, 0x10a0, v119
	v_dot4c_i32_i8_e32 v147, v130, v16
	v_and_b32_e32 v130, 0xf0f0f0f, v135
	v_add_u32_e32 v79, 0x3198, v119
	ds_read2_b32 v[132:133], v78 offset1:1
	ds_read2_b32 v[134:135], v79 offset1:1
	ds_read2_b32 v[136:137], v136 offset1:1
	s_waitcnt lgkmcnt(3)
	v_and_b32_e32 v78, 0xf0f0f0f, v18
	v_dot4c_i32_i8_e32 v151, v78, v20
	v_and_b32_e32 v20, 0xf0f0f0f, v19
	ds_read2_b32 v[78:79], v126 offset1:2
	v_dot4c_i32_i8_e32 v151, v20, v21
	s_waitcnt lgkmcnt(3)
	v_and_b32_e32 v20, 0xf0f0f0f, v132
	v_dot4c_i32_i8_e32 v151, v20, v14
	v_and_b32_e32 v14, 0xf0f0f0f, v133
	v_dot4c_i32_i8_e32 v151, v14, v15
	s_waitcnt lgkmcnt(2)
	v_and_b32_e32 v14, 0xf0f0f0f, v134
	v_dot4c_i32_i8_e32 v151, v14, v16
	v_and_b32_e32 v14, 0xf0f0f0f, v135
	v_dot4c_i32_i8_e32 v151, v14, v17
	s_waitcnt lgkmcnt(0)
	v_and_b32_e32 v14, 0xff, v78
	v_mov_b32_e32 v15, 0
	v_dot4c_i32_i8_e32 v147, v130, v17
	v_mul_lo_u32 v14, v151, v14
	v_cvt_f32_i32_e32 v151, v14
	v_lshrrev_b32_e32 v14, 4, v138
	v_and_b32_e32 v14, 0xf0f0f0f, v14
	v_dot4c_i32_i8_e32 v15, v14, v10
	v_lshrrev_b32_e32 v10, 4, v139
	v_and_b32_e32 v10, 0xf0f0f0f, v10
	v_dot4c_i32_i8_e32 v15, v10, v11
	;; [unrolled: 3-line block ×8, first 2 shown]
	v_bfe_u32 v6, v78, 8, 8
	v_and_b32_e32 v132, 0xf0f0f0f, v82
	v_mov_b32_e32 v133, 0
	v_mul_lo_u32 v6, v15, v6
	v_cvt_f32_i32_e32 v138, v6
	ds_read_b128 v[18:21], v116 offset:64
	ds_read_b128 v[14:17], v116 offset:80
	;; [unrolled: 1-line block ×4, first 2 shown]
	v_lshrrev_b32_e32 v82, 4, v82
	s_waitcnt lgkmcnt(3)
	v_dot4c_i32_i8_e32 v133, v132, v18
	v_and_b32_e32 v132, 0xf0f0f0f, v83
	v_dot4c_i32_i8_e32 v133, v132, v19
	v_and_b32_e32 v132, 0xf0f0f0f, v86
	;; [unrolled: 2-line block ×4, first 2 shown]
	s_waitcnt lgkmcnt(2)
	v_dot4c_i32_i8_e32 v133, v132, v14
	v_and_b32_e32 v132, 0xf0f0f0f, v89
	v_dot4c_i32_i8_e32 v133, v132, v15
	v_and_b32_e32 v132, 0xf0f0f0f, v90
	;; [unrolled: 2-line block ×4, first 2 shown]
	v_mov_b32_e32 v132, 0
	s_waitcnt lgkmcnt(1)
	v_dot4c_i32_i8_e32 v132, v82, v10
	v_lshrrev_b32_e32 v82, 4, v83
	v_and_b32_e32 v82, 0xf0f0f0f, v82
	v_dot4c_i32_i8_e32 v132, v82, v11
	v_lshrrev_b32_e32 v82, 4, v86
	v_and_b32_e32 v82, 0xf0f0f0f, v82
	v_dot4c_i32_i8_e32 v132, v82, v12
	v_lshrrev_b32_e32 v82, 4, v87
	v_and_b32_e32 v82, 0xf0f0f0f, v82
	v_dot4c_i32_i8_e32 v132, v82, v13
	v_lshrrev_b32_e32 v82, 4, v88
	v_and_b32_e32 v82, 0xf0f0f0f, v82
	s_waitcnt lgkmcnt(0)
	v_dot4c_i32_i8_e32 v132, v82, v6
	v_lshrrev_b32_e32 v82, 4, v89
	v_and_b32_e32 v82, 0xf0f0f0f, v82
	v_dot4c_i32_i8_e32 v132, v82, v7
	v_lshrrev_b32_e32 v82, 4, v90
	v_cvt_f32_f16_e32 v87, v4
	v_cvt_f32_f16_sdwa v83, v4 dst_sel:DWORD dst_unused:UNUSED_PAD src0_sel:WORD_1
	v_and_b32_e32 v4, 0xff, v84
	v_bfe_u32 v88, v84, 16, 8
	v_and_b32_e32 v82, 0xf0f0f0f, v82
	v_mul_lo_u32 v4, v128, v4
	v_mul_lo_u32 v88, v133, v88
	v_dot4c_i32_i8_e32 v132, v82, v8
	v_lshrrev_b32_e32 v82, 4, v91
	v_cvt_f32_f16_e32 v86, v2
	v_cvt_f32_i32_e32 v91, v88
	v_cvt_f32_i32_e32 v90, v4
	v_and_b32_e32 v82, 0xf0f0f0f, v82
	v_lshrrev_b32_e32 v140, 24, v84
	v_dot4c_i32_i8_e32 v132, v82, v9
	v_bfe_u32 v84, v84, 8, 8
	v_pk_fma_f32 v[90:91], v[86:87], v[90:91], 0 op_sel_hi:[1,1,0]
	v_mul_lo_u32 v84, v141, v84
	v_mul_lo_u32 v86, v132, v140
	v_cvt_f32_f16_sdwa v82, v2 dst_sel:DWORD dst_unused:UNUSED_PAD src0_sel:WORD_1
	v_cvt_f32_f16_e32 v89, v5
	v_cvt_f32_f16_e32 v88, v3
	v_cvt_f32_i32_e32 v133, v86
	v_cvt_f32_i32_e32 v132, v84
	v_and_b32_e32 v148, 0xff, v76
	v_cvt_f32_f16_sdwa v5, v5 dst_sel:DWORD dst_unused:UNUSED_PAD src0_sel:WORD_1
	v_cvt_f32_f16_sdwa v4, v3 dst_sel:DWORD dst_unused:UNUSED_PAD src0_sel:WORD_1
	v_mul_lo_u32 v147, v147, v148
	v_cvt_f32_i32_e32 v147, v147
	v_cvt_f32_ubyte2_e32 v135, v85
	v_cvt_f32_ubyte0_e32 v134, v85
	v_pk_fma_f32 v[134:135], v[82:83], v[134:135], 0 op_sel_hi:[1,1,0]
	v_pk_fma_f32 v[90:91], v[88:89], v[132:133], v[90:91]
	v_cvt_f32_ubyte3_e32 v133, v85
	v_cvt_f32_ubyte1_e32 v132, v85
	v_cvt_f32_ubyte0_e32 v148, v77
	v_pk_fma_f32 v[84:85], v[4:5], v[132:133], v[134:135]
	v_cvt_f32_ubyte0_e32 v144, v81
	v_cvt_f32_ubyte1_e32 v150, v77
	v_cvt_f32_ubyte0_e32 v153, v79
	v_pk_mul_f32 v[84:85], v[84:85], v[52:53] op_sel_hi:[1,0]
	v_fma_mix_f32 v82, v2, v148, 0 op_sel:[1,0,0] op_sel_hi:[1,0,0]
	v_cvt_f32_ubyte1_e32 v139, v79
	v_pk_fma_f32 v[84:85], v[90:91], v[22:23], v[84:85] op_sel_hi:[1,0,1] neg_lo:[0,0,1] neg_hi:[0,0,1]
	v_fma_mix_f32 v4, v2, v143, 0 op_sel_hi:[1,0,0]
	v_fma_mix_f32 v22, v2, v144, 0 op_sel:[1,0,0] op_sel_hi:[1,0,0]
	v_fma_mix_f32 v52, v2, v147, 0 op_sel_hi:[1,0,0]
	v_fma_mix_f32 v128, v3, v150, v82 op_sel:[1,0,0] op_sel_hi:[1,0,0]
	;; [unrolled: 2-line block ×4, first 2 shown]
	v_and_b32_e32 v2, 0xf0f0f0f, v136
	v_mov_b32_e32 v82, 0
	v_dot4c_i32_i8_e32 v82, v2, v18
	v_and_b32_e32 v2, 0xf0f0f0f, v137
	v_cvt_f32_ubyte1_e32 v146, v81
	v_dot4c_i32_i8_e32 v82, v2, v19
	v_add_u32_e32 v2, 0x10a8, v119
	v_fma_mix_f32 v4, v3, v145, v4 op_sel_hi:[1,0,0]
	v_fma_mix_f32 v22, v3, v146, v22 op_sel:[1,0,0] op_sel_hi:[1,0,0]
	v_fma_mix_f32 v52, v3, v149, v52 op_sel_hi:[1,0,0]
	ds_read2_b32 v[2:3], v2 offset1:1
	v_add_u32_e32 v86, 0x10b0, v119
	v_add_u32_e32 v134, 0x2120, v119
	;; [unrolled: 1-line block ×3, first 2 shown]
	ds_read2_b32 v[90:91], v86 offset1:1
	ds_read2_b32 v[132:133], v88 offset1:1
	;; [unrolled: 1-line block ×3, first 2 shown]
	s_waitcnt lgkmcnt(3)
	v_and_b32_e32 v86, 0xf0f0f0f, v2
	v_dot4c_i32_i8_e32 v82, v86, v20
	v_and_b32_e32 v86, 0xf0f0f0f, v3
	v_dot4c_i32_i8_e32 v82, v86, v21
	s_waitcnt lgkmcnt(2)
	v_and_b32_e32 v86, 0xf0f0f0f, v90
	v_dot4c_i32_i8_e32 v82, v86, v14
	v_and_b32_e32 v86, 0xf0f0f0f, v91
	v_dot4c_i32_i8_e32 v82, v86, v15
	s_waitcnt lgkmcnt(1)
	v_and_b32_e32 v86, 0xf0f0f0f, v132
	v_dot4c_i32_i8_e32 v82, v86, v16
	v_and_b32_e32 v86, 0xf0f0f0f, v133
	v_lshrrev_b32_e32 v142, 24, v80
	v_dot4c_i32_i8_e32 v82, v86, v17
	v_bfe_u32 v80, v80, 16, 8
	v_lshrrev_b32_e32 v2, 4, v2
	v_and_b32_e32 v2, 0xf0f0f0f, v2
	v_mul_lo_u32 v80, v82, v80
	v_cvt_f32_i32_e32 v138, v80
	v_lshrrev_b32_e32 v80, 4, v136
	v_and_b32_e32 v80, 0xf0f0f0f, v80
	v_mov_b32_e32 v82, 0
	v_dot4c_i32_i8_e32 v82, v80, v10
	v_lshrrev_b32_e32 v80, 4, v137
	v_and_b32_e32 v80, 0xf0f0f0f, v80
	v_dot4c_i32_i8_e32 v82, v80, v11
	v_dot4c_i32_i8_e32 v82, v2, v12
	v_lshrrev_b32_e32 v2, 4, v3
	v_and_b32_e32 v2, 0xf0f0f0f, v2
	v_dot4c_i32_i8_e32 v82, v2, v13
	v_lshrrev_b32_e32 v2, 4, v90
	v_and_b32_e32 v2, 0xf0f0f0f, v2
	;; [unrolled: 3-line block ×5, first 2 shown]
	v_dot4c_i32_i8_e32 v82, v2, v9
	v_cvt_f32_f16_sdwa v3, v131 dst_sel:DWORD dst_unused:UNUSED_PAD src0_sel:WORD_1
	v_cvt_f32_ubyte2_e32 v139, v81
	v_cvt_f32_ubyte3_e32 v81, v81
	v_mul_lo_u32 v2, v82, v142
	v_cvt_f32_i32_e32 v80, v2
	v_cvt_f32_f16_e32 v2, v131
	v_mul_f32_e32 v22, v22, v3
	v_mov_b32_e32 v82, v87
	v_fma_mix_f32 v91, v4, v131, -v22 op_sel_hi:[0,1,0]
	v_pk_fma_f32 v[86:87], v[82:83], v[138:139], 0 op_sel_hi:[1,1,0]
	v_mov_b32_e32 v4, v89
	v_pk_fma_f32 v[80:81], v[4:5], v[80:81], v[86:87]
	v_mov_b32_e32 v90, v84
	v_pk_mul_f32 v[86:87], v[80:81], v[2:3]
	v_pk_add_f32 v[62:63], v[62:63], v[90:91]
	v_mov_b32_e32 v87, v86
	v_pk_fma_f32 v[2:3], v[80:81], v[2:3], v[86:87] neg_lo:[1,0,0] neg_hi:[1,0,0]
	v_mov_b32_e32 v22, 0
	v_mov_b32_e32 v2, v85
	v_pk_add_f32 v[62:63], v[62:63], v[2:3]
	s_waitcnt lgkmcnt(0)
	v_and_b32_e32 v2, 0xf0f0f0f, v134
	v_dot4c_i32_i8_e32 v22, v2, v18
	v_and_b32_e32 v2, 0xf0f0f0f, v135
	v_dot4c_i32_i8_e32 v22, v2, v19
	v_add_u32_e32 v2, 0x2128, v119
	ds_read2_b32 v[2:3], v2 offset1:1
	v_add_u32_e32 v80, 0x2130, v119
	v_add_u32_e32 v84, 0x2138, v119
	;; [unrolled: 1-line block ×3, first 2 shown]
	ds_read2_b32 v[80:81], v80 offset1:1
	ds_read2_b32 v[84:85], v84 offset1:1
	ds_read2_b32 v[86:87], v86 offset1:1
	s_waitcnt lgkmcnt(3)
	v_and_b32_e32 v88, 0xf0f0f0f, v2
	v_dot4c_i32_i8_e32 v22, v88, v20
	v_and_b32_e32 v88, 0xf0f0f0f, v3
	v_dot4c_i32_i8_e32 v22, v88, v21
	s_waitcnt lgkmcnt(2)
	v_and_b32_e32 v88, 0xf0f0f0f, v80
	v_dot4c_i32_i8_e32 v22, v88, v14
	v_and_b32_e32 v88, 0xf0f0f0f, v81
	v_dot4c_i32_i8_e32 v22, v88, v15
	s_waitcnt lgkmcnt(1)
	v_and_b32_e32 v88, 0xf0f0f0f, v84
	v_dot4c_i32_i8_e32 v22, v88, v16
	v_and_b32_e32 v88, 0xf0f0f0f, v85
	v_lshrrev_b32_e32 v130, 24, v76
	v_dot4c_i32_i8_e32 v22, v88, v17
	v_bfe_u32 v76, v76, 16, 8
	v_lshrrev_b32_e32 v2, 4, v2
	v_and_b32_e32 v2, 0xf0f0f0f, v2
	v_mul_lo_u32 v22, v22, v76
	v_cvt_f32_i32_e32 v88, v22
	v_lshrrev_b32_e32 v22, 4, v134
	v_and_b32_e32 v22, 0xf0f0f0f, v22
	v_mov_b32_e32 v76, 0
	v_dot4c_i32_i8_e32 v76, v22, v10
	v_lshrrev_b32_e32 v22, 4, v135
	v_and_b32_e32 v22, 0xf0f0f0f, v22
	v_dot4c_i32_i8_e32 v76, v22, v11
	v_dot4c_i32_i8_e32 v76, v2, v12
	v_lshrrev_b32_e32 v2, 4, v3
	v_and_b32_e32 v2, 0xf0f0f0f, v2
	v_dot4c_i32_i8_e32 v76, v2, v13
	v_lshrrev_b32_e32 v2, 4, v80
	v_and_b32_e32 v2, 0xf0f0f0f, v2
	;; [unrolled: 3-line block ×5, first 2 shown]
	v_cvt_f32_f16_sdwa v3, v129 dst_sel:DWORD dst_unused:UNUSED_PAD src0_sel:WORD_1
	v_dot4c_i32_i8_e32 v76, v2, v9
	v_cvt_f32_ubyte2_e32 v89, v77
	v_cvt_f32_ubyte3_e32 v77, v77
	v_mul_f32_e32 v22, v128, v3
	v_mul_lo_u32 v2, v76, v130
	v_cvt_f32_i32_e32 v76, v2
	v_cvt_f32_f16_e32 v2, v129
	v_fma_mix_f32 v22, v52, v129, -v22 op_sel_hi:[0,1,0]
	v_add_f32_e32 v52, v23, v22
	v_pk_fma_f32 v[22:23], v[82:83], v[88:89], 0 op_sel_hi:[1,1,0]
	v_lshrrev_b32_e32 v152, 24, v78
	v_pk_fma_f32 v[22:23], v[4:5], v[76:77], v[22:23]
	s_cmp_ge_i32 s14, s15
	v_pk_mul_f32 v[2:3], v[22:23], v[2:3]
	v_mov_b32_e32 v22, 0
	v_sub_f32_e32 v2, v2, v3
	v_add_f32_e32 v23, v52, v2
	s_waitcnt lgkmcnt(0)
	v_and_b32_e32 v2, 0xf0f0f0f, v86
	v_dot4c_i32_i8_e32 v22, v2, v18
	v_and_b32_e32 v2, 0xf0f0f0f, v87
	v_dot4c_i32_i8_e32 v22, v2, v19
	v_add_u32_e32 v2, 0x31a8, v119
	ds_read2_b32 v[2:3], v2 offset1:1
	v_add_u32_e32 v18, 0x31b0, v119
	v_add_u32_e32 v52, 0x31b8, v119
	ds_read2_b32 v[18:19], v18 offset1:1
	ds_read2_b32 v[76:77], v52 offset1:1
	s_waitcnt lgkmcnt(0)
	v_and_b32_e32 v52, 0xf0f0f0f, v2
	v_dot4c_i32_i8_e32 v22, v52, v20
	v_and_b32_e32 v20, 0xf0f0f0f, v3
	v_dot4c_i32_i8_e32 v22, v20, v21
	;; [unrolled: 2-line block ×5, first 2 shown]
	v_and_b32_e32 v14, 0xf0f0f0f, v77
	v_lshrrev_b32_e32 v16, 4, v86
	v_dot4c_i32_i8_e32 v22, v14, v17
	v_and_b32_e32 v16, 0xf0f0f0f, v16
	v_mov_b32_e32 v17, 0
	v_dot4c_i32_i8_e32 v17, v16, v10
	v_lshrrev_b32_e32 v10, 4, v87
	v_and_b32_e32 v10, 0xf0f0f0f, v10
	v_lshrrev_b32_e32 v2, 4, v2
	v_dot4c_i32_i8_e32 v17, v10, v11
	v_and_b32_e32 v2, 0xf0f0f0f, v2
	v_dot4c_i32_i8_e32 v17, v2, v12
	v_lshrrev_b32_e32 v2, 4, v3
	v_and_b32_e32 v2, 0xf0f0f0f, v2
	v_dot4c_i32_i8_e32 v17, v2, v13
	v_lshrrev_b32_e32 v2, 4, v18
	;; [unrolled: 3-line block ×5, first 2 shown]
	v_bfe_u32 v14, v78, 16, 8
	v_and_b32_e32 v2, 0xf0f0f0f, v2
	v_cvt_f32_f16_sdwa v3, v25 dst_sel:DWORD dst_unused:UNUSED_PAD src0_sel:WORD_1
	v_mul_lo_u32 v14, v22, v14
	v_dot4c_i32_i8_e32 v17, v2, v9
	v_cvt_f32_i32_e32 v14, v14
	v_mul_f32_e32 v8, v141, v3
	v_cvt_f32_ubyte2_e32 v15, v79
	v_mul_lo_u32 v2, v17, v152
	v_cvt_f32_i32_e32 v6, v2
	v_cvt_f32_f16_e32 v2, v25
	v_fma_mix_f32 v8, v140, v25, -v8 op_sel_hi:[0,1,0]
	v_cvt_f32_ubyte3_e32 v7, v79
	v_add_f32_e32 v10, v53, v8
	v_pk_fma_f32 v[8:9], v[82:83], v[14:15], 0 op_sel_hi:[1,1,0]
	s_barrier
	v_pk_fma_f32 v[4:5], v[4:5], v[6:7], v[8:9]
	s_nop 0
	v_pk_mul_f32 v[2:3], v[4:5], v[2:3]
	s_nop 0
	v_sub_f32_e32 v2, v2, v3
	v_add_f32_e32 v53, v10, v2
	s_cbranch_scc1 .LBB191_5
; %bb.13:                               ;   in Loop: Header=BB191_6 Depth=1
	v_cmp_gt_i32_e64 s[2:3], s5, v121
	s_and_b64 s[8:9], s[0:1], s[2:3]
	s_and_saveexec_b64 s[2:3], s[8:9]
	s_cbranch_execz .LBB191_15
; %bb.14:                               ;   in Loop: Header=BB191_6 Depth=1
	v_add_u32_e32 v2, v28, v121
	v_mad_i64_i32 v[2:3], s[8:9], v2, 36, v[26:27]
	global_load_dword v2, v[2:3], off offset:4
	s_waitcnt vmcnt(0)
	ds_write_b32 v113, v2
.LBB191_15:                             ;   in Loop: Header=BB191_6 Depth=1
	s_or_b64 exec, exec, s[2:3]
	s_and_saveexec_b64 s[8:9], vcc
	s_cbranch_execz .LBB191_4
; %bb.16:                               ;   in Loop: Header=BB191_6 Depth=1
	v_add_u32_e32 v2, 4, v24
	v_cmp_gt_i32_e64 s[2:3], s5, v2
	s_and_b64 s[2:3], s[0:1], s[2:3]
	s_and_b64 exec, exec, s[2:3]
	s_cbranch_execz .LBB191_4
; %bb.17:                               ;   in Loop: Header=BB191_6 Depth=1
	v_ashrrev_i32_e32 v25, 31, v24
	v_lshl_add_u64 v[2:3], v[28:29], 0, v[24:25]
	v_mad_u64_u32 v[4:5], s[2:3], v2, 36, s[20:21]
	v_mad_i32_i24 v5, v3, 36, v5
	global_load_dword v2, v[4:5], off
	s_waitcnt vmcnt(0)
	ds_write_b32 v114, v2
	s_branch .LBB191_4
.LBB191_18:
	v_mov_b32_e32 v23, 0
	v_mov_b32_e32 v63, 0
	;; [unrolled: 1-line block ×3, first 2 shown]
.LBB191_19:
	s_mul_i32 s0, s7, s4
	s_waitcnt vmcnt(0)
	v_cmp_gt_i32_e32 vcc, s0, v1
	s_and_saveexec_b64 s[0:1], vcc
	s_cbranch_execz .LBB191_28
; %bb.20:
	v_and_b32_e32 v0, 0x3ff, v0
	v_add_u32_e32 v2, s24, v0
	v_mul_lo_u32 v0, v1, s6
	v_cmp_gt_u32_e32 vcc, s6, v2
	s_and_saveexec_b64 s[0:1], vcc
	s_cbranch_execz .LBB191_22
; %bb.21:
	v_add_u32_e32 v4, v0, v2
	v_mov_b32_e32 v5, 0
	v_lshl_add_u64 v[4:5], v[4:5], 2, s[12:13]
	global_store_dword v[4:5], v62, off
.LBB191_22:
	s_or_b64 exec, exec, s[0:1]
	v_add_u32_e32 v1, 32, v2
	v_cmp_gt_u32_e32 vcc, s6, v1
	s_and_saveexec_b64 s[0:1], vcc
	s_cbranch_execz .LBB191_24
; %bb.23:
	v_add_u32_e32 v4, v0, v1
	v_mov_b32_e32 v5, 0
	v_lshl_add_u64 v[4:5], v[4:5], 2, s[12:13]
	global_store_dword v[4:5], v63, off
.LBB191_24:
	s_or_b64 exec, exec, s[0:1]
	v_add_u32_e32 v1, 64, v2
	;; [unrolled: 11-line block ×3, first 2 shown]
	v_cmp_gt_u32_e32 vcc, s6, v1
	s_and_b64 exec, exec, vcc
	s_cbranch_execz .LBB191_28
; %bb.27:
	v_add_u32_e32 v0, v0, v1
	v_mov_b32_e32 v1, 0
	v_lshl_add_u64 v[0:1], v[0:1], 2, s[12:13]
	global_store_dword v[0:1], v53, off
.LBB191_28:
	s_endpgm
	.section	.rodata,"a",@progbits
	.p2align	6, 0x0
	.amdhsa_kernel _ZL8moe_q4_KIfLb0EEvPKvS1_PT_PKiS5_S5_iiiiiii
		.amdhsa_group_segment_fixed_size 20688
		.amdhsa_private_segment_fixed_size 0
		.amdhsa_kernarg_size 76
		.amdhsa_user_sgpr_count 2
		.amdhsa_user_sgpr_dispatch_ptr 0
		.amdhsa_user_sgpr_queue_ptr 0
		.amdhsa_user_sgpr_kernarg_segment_ptr 1
		.amdhsa_user_sgpr_dispatch_id 0
		.amdhsa_user_sgpr_kernarg_preload_length 0
		.amdhsa_user_sgpr_kernarg_preload_offset 0
		.amdhsa_user_sgpr_private_segment_size 0
		.amdhsa_uses_dynamic_stack 0
		.amdhsa_enable_private_segment 0
		.amdhsa_system_sgpr_workgroup_id_x 1
		.amdhsa_system_sgpr_workgroup_id_y 1
		.amdhsa_system_sgpr_workgroup_id_z 0
		.amdhsa_system_sgpr_workgroup_info 0
		.amdhsa_system_vgpr_workitem_id 1
		.amdhsa_next_free_vgpr 154
		.amdhsa_next_free_sgpr 30
		.amdhsa_accum_offset 156
		.amdhsa_reserve_vcc 1
		.amdhsa_float_round_mode_32 0
		.amdhsa_float_round_mode_16_64 0
		.amdhsa_float_denorm_mode_32 3
		.amdhsa_float_denorm_mode_16_64 3
		.amdhsa_dx10_clamp 1
		.amdhsa_ieee_mode 1
		.amdhsa_fp16_overflow 0
		.amdhsa_tg_split 0
		.amdhsa_exception_fp_ieee_invalid_op 0
		.amdhsa_exception_fp_denorm_src 0
		.amdhsa_exception_fp_ieee_div_zero 0
		.amdhsa_exception_fp_ieee_overflow 0
		.amdhsa_exception_fp_ieee_underflow 0
		.amdhsa_exception_fp_ieee_inexact 0
		.amdhsa_exception_int_div_zero 0
	.end_amdhsa_kernel
	.section	.text._ZL8moe_q4_KIfLb0EEvPKvS1_PT_PKiS5_S5_iiiiiii,"axG",@progbits,_ZL8moe_q4_KIfLb0EEvPKvS1_PT_PKiS5_S5_iiiiiii,comdat
.Lfunc_end191:
	.size	_ZL8moe_q4_KIfLb0EEvPKvS1_PT_PKiS5_S5_iiiiiii, .Lfunc_end191-_ZL8moe_q4_KIfLb0EEvPKvS1_PT_PKiS5_S5_iiiiiii
                                        ; -- End function
	.section	.AMDGPU.csdata,"",@progbits
; Kernel info:
; codeLenInByte = 9912
; NumSgprs: 36
; NumVgprs: 154
; NumAgprs: 0
; TotalNumVgprs: 154
; ScratchSize: 0
; MemoryBound: 0
; FloatMode: 240
; IeeeMode: 1
; LDSByteSize: 20688 bytes/workgroup (compile time only)
; SGPRBlocks: 4
; VGPRBlocks: 19
; NumSGPRsForWavesPerEU: 36
; NumVGPRsForWavesPerEU: 154
; AccumOffset: 156
; Occupancy: 3
; WaveLimiterHint : 1
; COMPUTE_PGM_RSRC2:SCRATCH_EN: 0
; COMPUTE_PGM_RSRC2:USER_SGPR: 2
; COMPUTE_PGM_RSRC2:TRAP_HANDLER: 0
; COMPUTE_PGM_RSRC2:TGID_X_EN: 1
; COMPUTE_PGM_RSRC2:TGID_Y_EN: 1
; COMPUTE_PGM_RSRC2:TGID_Z_EN: 0
; COMPUTE_PGM_RSRC2:TIDIG_COMP_CNT: 1
; COMPUTE_PGM_RSRC3_GFX90A:ACCUM_OFFSET: 38
; COMPUTE_PGM_RSRC3_GFX90A:TG_SPLIT: 0
	.section	.text._ZL8moe_q4_KIfLb1EEvPKvS1_PT_PKiS5_S5_iiiiiii,"axG",@progbits,_ZL8moe_q4_KIfLb1EEvPKvS1_PT_PKiS5_S5_iiiiiii,comdat
	.globl	_ZL8moe_q4_KIfLb1EEvPKvS1_PT_PKiS5_S5_iiiiiii ; -- Begin function _ZL8moe_q4_KIfLb1EEvPKvS1_PT_PKiS5_S5_iiiiiii
	.p2align	8
	.type	_ZL8moe_q4_KIfLb1EEvPKvS1_PT_PKiS5_S5_iiiiiii,@function
_ZL8moe_q4_KIfLb1EEvPKvS1_PT_PKiS5_S5_iiiiiii: ; @_ZL8moe_q4_KIfLb1EEvPKvS1_PT_PKiS5_S5_iiiiiii
; %bb.0:
	s_load_dwordx4 s[4:7], s[0:1], 0x18
	s_mov_b32 s8, s3
	s_mov_b32 s9, 0
	s_lshl_b64 s[10:11], s[8:9], 2
	s_waitcnt lgkmcnt(0)
	s_add_u32 s6, s6, s10
	s_addc_u32 s7, s7, s11
	s_load_dword s3, s[6:7], 0x0
	s_waitcnt lgkmcnt(0)
	s_cmpk_gt_u32 s3, 0xff
	s_cbranch_scc1 .LBB192_28
; %bb.1:
	s_load_dwordx2 s[6:7], s[0:1], 0x28
	s_waitcnt lgkmcnt(0)
	s_load_dword s7, s[6:7], 0x0
	s_lshl_b32 s6, s8, 3
	s_waitcnt lgkmcnt(0)
	s_cmp_gt_u32 s6, s7
	s_cbranch_scc1 .LBB192_28
; %bb.2:
	v_bfe_u32 v2, v0, 10, 10
	v_mov_b32_e32 v4, s4
	v_mov_b32_e32 v5, s5
	v_add_u32_e32 v26, s6, v2
	v_mov_b32_e32 v27, 0
	v_lshl_add_u64 v[4:5], v[26:27], 2, v[4:5]
	global_load_dword v1, v[4:5], off
	s_load_dwordx8 s[4:11], s[0:1], 0x30
	s_load_dwordx2 s[16:17], s[0:1], 0x10
	s_waitcnt lgkmcnt(0)
	s_lshl_b32 s11, s2, 7
	s_mov_b32 s24, 0
	s_cmpk_lt_i32 s5, 0x100
	s_cbranch_scc1 .LBB192_18
; %bb.3:
	s_load_dwordx4 s[12:15], s[0:1], 0x0
	s_ashr_i32 s0, s5, 31
	s_lshr_b32 s0, s0, 24
	s_add_i32 s0, s5, s0
	s_ashr_i32 s26, s0, 8
	s_ashr_i32 s0, s8, 31
	s_lshr_b32 s0, s0, 27
	s_add_i32 s0, s8, s0
	s_ashr_i32 s8, s0, 5
	s_not_b32 s0, s11
	s_add_i32 s6, s0, s6
	v_and_b32_e32 v24, 0x3ff, v0
	v_lshrrev_b32_e32 v5, 5, v24
	v_lshlrev_b32_e32 v4, 2, v24
	v_min_i32_e32 v3, s6, v2
	s_movk_i32 s2, 0x84
	v_mul_lo_u32 v8, v3, s26
	v_mad_u64_u32 v[26:27], s[0:1], v3, s2, v[4:5]
	v_add_u32_e32 v3, 8, v2
	v_min_i32_e32 v3, s6, v3
	v_mul_lo_u32 v9, v3, s26
	v_mad_u64_u32 v[28:29], s[0:1], v3, s2, v[4:5]
	v_add_u32_e32 v3, 16, v2
	v_min_i32_e32 v3, s6, v3
	;; [unrolled: 4-line block ×15, first 2 shown]
	v_mul_lo_u32 v27, v3, s26
	v_mad_u64_u32 v[56:57], s[0:1], v3, s2, v[4:5]
	v_lshlrev_b32_e32 v3, 5, v2
	v_add_u32_e32 v37, v3, v24
	v_and_b32_e32 v6, 0x7f, v37
	v_min_i32_e32 v6, s6, v6
	v_ashrrev_i32_e32 v7, 31, v6
	v_lshrrev_b32_e32 v7, 27, v7
	v_add_u32_e32 v7, v6, v7
	v_ashrrev_i32_e32 v7, 5, v7
	v_mul_lo_u32 v92, v6, s26
	v_lshlrev_b32_e32 v7, 2, v7
	v_lshlrev_b32_e32 v6, 2, v6
	s_movk_i32 s0, 0x4e40
	v_add3_u32 v29, v7, v6, s0
	v_lshrrev_b32_e32 v6, 2, v24
	v_lshl_add_u32 v6, v2, 3, v6
	v_and_b32_e32 v6, 0x7f, v6
	v_min_i32_e32 v35, s6, v6
	v_ashrrev_i32_e32 v39, 31, v35
	v_xor_b32_e32 v6, 64, v6
	v_lshrrev_b32_e32 v39, 29, v39
	v_min_i32_e32 v6, s6, v6
	v_mul_lo_u32 v98, v35, s26
	v_add_u32_e32 v39, v35, v39
	v_lshlrev_b32_e32 v107, 4, v35
	v_ashrrev_i32_e32 v35, 31, v6
	v_lshrrev_b32_e32 v35, 29, v35
	v_and_b32_e32 v7, 3, v24
	v_add_u32_e32 v35, v6, v35
	v_add_u32_e32 v31, 0xfe, v7
	v_cmp_gt_u32_e32 vcc, 2, v7
	v_ashrrev_i32_e32 v39, 3, v39
	v_ashrrev_i32_e32 v35, 3, v35
	s_mul_i32 s18, s3, s4
	v_mov_b32_e32 v23, 0
	v_cndmask_b32_e32 v31, v31, v7, vcc
	v_cmp_ne_u32_e32 vcc, 0, v7
	v_cmp_lt_u32_e64 s[2:3], 1, v7
	v_lshlrev_b32_e32 v39, 2, v39
	v_lshlrev_b32_e32 v7, 2, v7
	s_movk_i32 s1, 0x4200
	v_lshlrev_b32_e32 v35, 2, v35
	v_add3_u32 v106, v39, v7, s1
	v_mul_lo_u32 v102, v6, s26
	v_add3_u32 v108, v35, v7, s1
	v_lshlrev_b32_e32 v109, 4, v6
	v_and_b32_e32 v6, 28, v4
	v_mov_b32_e32 v7, v23
	v_and_or_b32 v3, v24, 31, v3
	s_waitcnt lgkmcnt(0)
	v_lshl_add_u64 v[58:59], s[14:15], 0, v[6:7]
	v_mov_b32_e32 v6, 0x4a40
	s_movk_i32 s1, 0xffe4
	v_lshl_add_u32 v35, v3, 2, v6
	v_mad_i32_i24 v3, v2, s1, v37
	v_mov_b32_e32 v7, 0x5050
	v_lshrrev_b32_e32 v39, 3, v24
	v_lshl_add_u32 v37, v3, 2, v7
	v_lshl_add_u32 v41, v2, 7, v6
	v_lshlrev_b32_e32 v43, 4, v2
	v_add_u32_e32 v2, v39, v4
	v_mov_b32_e32 v3, 0x4200
	v_lshl_add_u32 v45, v2, 2, v3
	v_lshlrev_b32_e32 v2, 2, v5
	v_add3_u32 v49, v2, v4, s0
	v_add_u32_e32 v2, 32, v24
	v_lshrrev_b32_e32 v51, 3, v2
	v_lshl_add_u32 v2, v2, 2, v51
	v_lshl_add_u32 v53, v2, 2, v3
	v_and_b32_e32 v2, 60, v51
	v_add3_u32 v55, v4, v2, s0
	v_add_u32_e32 v2, 64, v24
	v_lshrrev_b32_e32 v6, 3, v2
	v_lshl_add_u32 v2, v2, 2, v6
	s_abs_i32 s6, s10
	v_lshl_add_u32 v57, v2, 2, v3
	v_and_b32_e32 v2, 60, v6
	v_cvt_f32_u32_e32 v7, s6
	v_add3_u32 v124, v4, v2, s0
	v_add_u32_e32 v2, 0x60, v24
	v_lshrrev_b32_e32 v6, 3, v2
	v_lshl_add_u32 v2, v2, 2, v6
	v_lshl_add_u32 v125, v2, 2, v3
	v_rcp_iflag_f32_e32 v3, v7
	v_and_b32_e32 v2, 60, v6
	v_add3_u32 v126, v4, v2, s0
	s_sub_i32 s0, 0, s6
	v_mul_f32_e32 v3, 0x4f7ffffe, v3
	v_cvt_u32_f32_e32 v3, v3
	v_and_b32_e32 v22, 0x7c, v4
	v_and_b32_e32 v33, 0xff, v31
	;; [unrolled: 1-line block ×3, first 2 shown]
	v_mul_lo_u32 v6, s0, v3
	s_waitcnt vmcnt(0)
	v_sub_u32_e32 v4, 0, v1
	v_mul_hi_u32 v6, v3, v6
	v_max_i32_e32 v4, v1, v4
	v_add_u32_e32 v3, v3, v6
	v_mul_hi_u32 v3, v4, v3
	v_mul_lo_u32 v6, v3, s6
	v_sub_u32_e32 v4, v4, v6
	v_add_u32_e32 v6, 1, v3
	v_cmp_le_u32_e64 s[0:1], s6, v4
	v_xor_b32_e32 v2, s10, v1
	v_ashrrev_i32_e32 v2, 31, v2
	v_cndmask_b32_e64 v3, v3, v6, s[0:1]
	v_subrev_u32_e32 v6, s6, v4
	v_cndmask_b32_e64 v4, v4, v6, s[0:1]
	v_add_u32_e32 v6, 1, v3
	v_cmp_le_u32_e64 s[0:1], s6, v4
	s_mul_i32 s4, s26, s11
	s_mul_hi_i32 s29, s4, 0x90
	v_cndmask_b32_e64 v3, v3, v6, s[0:1]
	v_xor_b32_e32 v3, v3, v2
	v_sub_u32_e32 v2, v3, v2
	s_mul_i32 s28, s4, 0x90
	v_cmp_gt_i32_e64 s[0:1], s7, v2
	v_mul_lo_u32 v60, v2, s8
	s_movk_i32 s6, 0x90
	v_mov_b64_e32 v[2:3], s[28:29]
	v_mad_u64_u32 v[2:3], s[30:31], v5, s6, v[2:3]
	v_mad_i64_i32 v[4:5], s[30:31], v8, s6, v[2:3]
	v_lshl_add_u64 v[4:5], v[4:5], 0, v[22:23]
	v_lshl_add_u64 v[4:5], v[4:5], 0, s[12:13]
	v_lshl_add_u64 v[62:63], v[4:5], 0, 16
	v_mad_i64_i32 v[4:5], s[30:31], v9, s6, v[2:3]
	v_lshl_add_u64 v[4:5], v[4:5], 0, v[22:23]
	v_lshl_add_u64 v[4:5], v[4:5], 0, s[12:13]
	v_lshl_add_u64 v[64:65], v[4:5], 0, 16
	;; [unrolled: 4-line block ×13, first 2 shown]
	v_mad_i64_i32 v[4:5], s[30:31], v21, s6, v[2:3]
	s_ashr_i32 s19, s18, 31
	v_lshl_add_u64 v[4:5], v[4:5], 0, v[22:23]
	s_add_u32 s22, s14, 0x90
	v_lshl_add_u64 v[4:5], v[4:5], 0, s[12:13]
	s_addc_u32 s23, s15, 0
	v_lshl_add_u64 v[88:89], v[4:5], 0, 16
	v_mad_i64_i32 v[4:5], s[30:31], v25, s6, v[2:3]
	v_mad_i64_i32 v[2:3], s[30:31], v27, s6, v[2:3]
	v_lshl_add_u64 v[2:3], v[2:3], 0, v[22:23]
	s_add_u32 s28, s12, s28
	v_lshl_add_u64 v[2:3], v[2:3], 0, s[12:13]
	s_addc_u32 s29, s13, s29
	v_lshl_add_u64 v[94:95], v[2:3], 0, 16
	v_mov_b64_e32 v[2:3], s[28:29]
	v_addc_co_u32_e32 v93, vcc, 0, v33, vcc
	v_lshl_add_u64 v[4:5], v[4:5], 0, v[22:23]
	v_mad_i64_i32 v[96:97], s[28:29], v92, s6, v[2:3]
	v_mad_i64_i32 v[2:3], s[28:29], v98, s6, 0
	v_mov_b32_e32 v6, 0x90
	v_lshl_add_u64 v[4:5], v[4:5], 0, s[12:13]
	v_mad_i64_i32 v[2:3], s[28:29], s4, v6, v[2:3]
	v_lshlrev_b32_e32 v22, 2, v93
	v_lshl_add_u64 v[90:91], v[4:5], 0, 16
	v_lshl_add_u64 v[4:5], v[2:3], 0, v[22:23]
	v_lshl_add_u64 v[4:5], v[4:5], 0, s[12:13]
	v_lshl_add_u64 v[98:99], v[4:5], 0, 4
	v_cndmask_b32_e64 v4, 0, 1, s[2:3]
	v_lshlrev_b32_e32 v7, 2, v4
	v_or_b32_e32 v2, v2, v7
	v_lshl_add_u64 v[2:3], v[2:3], 0, s[12:13]
	v_cndmask_b32_e64 v31, 0, v31, s[2:3]
	v_lshl_add_u64 v[100:101], v[2:3], 0, 4
	v_mad_i64_i32 v[2:3], s[2:3], v102, s6, 0
	v_mad_i64_i32 v[2:3], s[2:3], s4, v6, v[2:3]
	v_lshl_add_u64 v[4:5], v[2:3], 0, v[22:23]
	v_or_b32_e32 v2, v2, v7
	v_lshl_add_u64 v[4:5], v[4:5], 0, s[12:13]
	v_lshl_add_u64 v[2:3], v[2:3], 0, s[12:13]
	s_mov_b32 s25, s24
	v_lshlrev_b32_e32 v33, 1, v33
	v_cmp_gt_u32_e32 vcc, 4, v24
	v_mul_u32_u24_e32 v47, 0x84, v24
	v_ashrrev_i32_e32 v61, 31, v60
	s_mov_b64 s[20:21], 0x90
	v_lshl_add_u64 v[102:103], v[4:5], 0, 4
	v_lshl_add_u64 v[104:105], v[2:3], 0, 4
	s_movk_i32 s4, 0x80
	v_mov_b64_e32 v[92:93], s[24:25]
	s_mov_b32 s6, 0x30303030
	v_add_u32_e32 v127, v106, v107
	v_add_u32_e32 v128, v108, v109
	v_mov_b32_e32 v27, v23
	s_branch .LBB192_6
.LBB192_4:                              ;   in Loop: Header=BB192_6 Depth=1
	s_or_b64 exec, exec, s[12:13]
	s_waitcnt lgkmcnt(0)
	s_barrier
	ds_read_b128 v[2:5], v43 offset:20560
	ds_read2_b32 v[106:107], v47 offset0:16 offset1:17
	ds_read_b128 v[18:21], v41
	ds_read_b128 v[14:17], v41 offset:16
	ds_read_b128 v[10:13], v41 offset:32
	ds_read_b128 v[6:9], v41 offset:48
	ds_read_b32 v25, v49
	ds_read2_b32 v[108:109], v47 offset0:18 offset1:19
	s_waitcnt lgkmcnt(6)
	v_and_b32_e32 v22, 0xf0f0f0f, v106
	v_mov_b32_e32 v129, 0
	s_waitcnt lgkmcnt(5)
	v_dot4c_i32_i8_e32 v129, v22, v18
	v_and_b32_e32 v22, 0xf0f0f0f, v107
	ds_read2_b32 v[110:111], v47 offset0:20 offset1:21
	ds_read2_b32 v[116:117], v47 offset0:22 offset1:23
	;; [unrolled: 1-line block ×3, first 2 shown]
	v_dot4c_i32_i8_e32 v129, v22, v19
	s_waitcnt lgkmcnt(3)
	v_and_b32_e32 v22, 0xf0f0f0f, v108
	v_dot4c_i32_i8_e32 v129, v22, v20
	v_and_b32_e32 v22, 0xf0f0f0f, v109
	v_dot4c_i32_i8_e32 v129, v22, v21
	s_waitcnt lgkmcnt(2)
	v_and_b32_e32 v22, 0xf0f0f0f, v110
	v_dot4c_i32_i8_e32 v129, v22, v14
	v_and_b32_e32 v22, 0xf0f0f0f, v111
	;; [unrolled: 5-line block ×3, first 2 shown]
	v_dot4c_i32_i8_e32 v129, v22, v17
	v_lshrrev_b32_e32 v22, 4, v106
	v_and_b32_e32 v22, 0xf0f0f0f, v22
	v_mov_b32_e32 v141, 0
	v_dot4c_i32_i8_e32 v141, v22, v10
	v_lshrrev_b32_e32 v22, 4, v107
	v_and_b32_e32 v22, 0xf0f0f0f, v22
	v_dot4c_i32_i8_e32 v141, v22, v11
	v_lshrrev_b32_e32 v22, 4, v108
	v_and_b32_e32 v22, 0xf0f0f0f, v22
	;; [unrolled: 3-line block ×3, first 2 shown]
	v_add_u32_e32 v106, 0x10c0, v47
	ds_read2_b32 v[114:115], v45 offset0:1 offset1:3
	v_dot4c_i32_i8_e32 v141, v22, v13
	v_lshrrev_b32_e32 v22, 4, v110
	ds_read2_b32 v[118:119], v47 offset0:26 offset1:27
	ds_read2_b32 v[120:121], v47 offset0:28 offset1:29
	;; [unrolled: 1-line block ×3, first 2 shown]
	ds_read2_b32 v[106:107], v106 offset1:1
	v_and_b32_e32 v22, 0xf0f0f0f, v22
	v_dot4c_i32_i8_e32 v141, v22, v6
	v_lshrrev_b32_e32 v22, 4, v111
	v_and_b32_e32 v22, 0xf0f0f0f, v22
	v_dot4c_i32_i8_e32 v141, v22, v7
	v_lshrrev_b32_e32 v22, 4, v116
	v_and_b32_e32 v22, 0xf0f0f0f, v22
	s_waitcnt lgkmcnt(0)
	v_and_b32_e32 v108, 0xf0f0f0f, v106
	v_mov_b32_e32 v130, 0
	v_dot4c_i32_i8_e32 v141, v22, v8
	v_lshrrev_b32_e32 v22, 4, v117
	v_dot4c_i32_i8_e32 v130, v108, v18
	v_and_b32_e32 v108, 0xf0f0f0f, v107
	v_and_b32_e32 v22, 0xf0f0f0f, v22
	v_dot4c_i32_i8_e32 v130, v108, v19
	v_add_u32_e32 v108, 0x10c8, v47
	v_dot4c_i32_i8_e32 v141, v22, v9
	v_cvt_f32_f16_e32 v22, v25
	v_cvt_f32_f16_sdwa v116, v25 dst_sel:DWORD dst_unused:UNUSED_PAD src0_sel:WORD_1
	ds_read_b32 v131, v55 offset:128
	ds_read_b32 v117, v124 offset:256
	;; [unrolled: 1-line block ×3, first 2 shown]
	ds_read2_b32 v[108:109], v108 offset1:1
	v_add_u32_e32 v110, 0x10d0, v47
	v_add_u32_e32 v136, 0x2140, v47
	;; [unrolled: 1-line block ×3, first 2 shown]
	ds_read2_b32 v[132:133], v110 offset1:1
	ds_read2_b32 v[134:135], v111 offset1:1
	;; [unrolled: 1-line block ×3, first 2 shown]
	s_waitcnt lgkmcnt(3)
	v_and_b32_e32 v110, 0xf0f0f0f, v108
	v_dot4c_i32_i8_e32 v130, v110, v20
	v_and_b32_e32 v110, 0xf0f0f0f, v109
	v_dot4c_i32_i8_e32 v130, v110, v21
	s_waitcnt lgkmcnt(2)
	v_and_b32_e32 v110, 0xf0f0f0f, v132
	v_dot4c_i32_i8_e32 v130, v110, v14
	v_and_b32_e32 v110, 0xf0f0f0f, v133
	v_dot4c_i32_i8_e32 v130, v110, v15
	ds_read2_b32 v[110:111], v53 offset0:1 offset1:3
	s_waitcnt lgkmcnt(2)
	v_and_b32_e32 v138, 0xf0f0f0f, v134
	v_dot4c_i32_i8_e32 v130, v138, v16
	v_and_b32_e32 v138, 0xf0f0f0f, v135
	v_dot4c_i32_i8_e32 v130, v138, v17
	s_waitcnt lgkmcnt(0)
	v_and_b32_e32 v138, 0xff, v110
	v_lshrrev_b32_e32 v106, 4, v106
	v_and_b32_e32 v106, 0xf0f0f0f, v106
	v_mul_lo_u32 v130, v130, v138
	v_cvt_f32_i32_e32 v143, v130
	v_mov_b32_e32 v130, 0
	v_dot4c_i32_i8_e32 v130, v106, v10
	v_lshrrev_b32_e32 v106, 4, v107
	v_and_b32_e32 v106, 0xf0f0f0f, v106
	v_dot4c_i32_i8_e32 v130, v106, v11
	v_lshrrev_b32_e32 v106, 4, v108
	v_and_b32_e32 v106, 0xf0f0f0f, v106
	;; [unrolled: 3-line block ×7, first 2 shown]
	v_dot4c_i32_i8_e32 v130, v106, v9
	v_bfe_u32 v106, v110, 8, 8
	v_mov_b32_e32 v147, 0
	v_mov_b32_e32 v149, 0
	v_mul_lo_u32 v106, v130, v106
	v_cvt_f32_i32_e32 v145, v106
	v_and_b32_e32 v106, 0xf0f0f0f, v136
	v_dot4c_i32_i8_e32 v147, v106, v18
	v_and_b32_e32 v106, 0xf0f0f0f, v137
	v_dot4c_i32_i8_e32 v147, v106, v19
	v_add_u32_e32 v106, 0x2148, v47
	ds_read2_b32 v[108:109], v106 offset1:1
	v_lshrrev_b32_e32 v136, 4, v136
	v_and_b32_e32 v136, 0xf0f0f0f, v136
	v_add_u32_e32 v107, 0x2150, v47
	v_add_u32_e32 v106, 0x31c0, v47
	v_dot4c_i32_i8_e32 v149, v136, v10
	v_lshrrev_b32_e32 v136, 4, v137
	v_add_u32_e32 v130, 0x2158, v47
	ds_read2_b32 v[132:133], v107 offset1:1
	ds_read2_b32 v[134:135], v130 offset1:1
	;; [unrolled: 1-line block ×3, first 2 shown]
	s_waitcnt lgkmcnt(3)
	v_and_b32_e32 v106, 0xf0f0f0f, v108
	v_and_b32_e32 v136, 0xf0f0f0f, v136
	v_lshrrev_b32_e32 v108, 4, v108
	v_dot4c_i32_i8_e32 v149, v136, v11
	v_and_b32_e32 v108, 0xf0f0f0f, v108
	v_dot4c_i32_i8_e32 v149, v108, v12
	v_lshrrev_b32_e32 v108, 4, v109
	v_and_b32_e32 v108, 0xf0f0f0f, v108
	v_dot4c_i32_i8_e32 v147, v106, v20
	v_and_b32_e32 v106, 0xf0f0f0f, v109
	v_dot4c_i32_i8_e32 v149, v108, v13
	s_waitcnt lgkmcnt(2)
	v_lshrrev_b32_e32 v108, 4, v132
	v_dot4c_i32_i8_e32 v147, v106, v21
	v_and_b32_e32 v106, 0xf0f0f0f, v132
	v_and_b32_e32 v108, 0xf0f0f0f, v108
	v_dot4c_i32_i8_e32 v147, v106, v14
	v_and_b32_e32 v106, 0xf0f0f0f, v133
	v_dot4c_i32_i8_e32 v149, v108, v6
	v_lshrrev_b32_e32 v108, 4, v133
	v_dot4c_i32_i8_e32 v147, v106, v15
	ds_read2_b32 v[106:107], v57 offset0:1 offset1:3
	v_and_b32_e32 v108, 0xf0f0f0f, v108
	v_dot4c_i32_i8_e32 v149, v108, v7
	s_waitcnt lgkmcnt(2)
	v_lshrrev_b32_e32 v108, 4, v134
	v_and_b32_e32 v108, 0xf0f0f0f, v108
	v_dot4c_i32_i8_e32 v149, v108, v8
	v_lshrrev_b32_e32 v108, 4, v135
	v_and_b32_e32 v108, 0xf0f0f0f, v108
	v_dot4c_i32_i8_e32 v149, v108, v9
	s_waitcnt lgkmcnt(0)
	v_bfe_u32 v108, v106, 8, 8
	v_mov_b32_e32 v151, 0
	v_and_b32_e32 v130, 0xf0f0f0f, v134
	v_mul_lo_u32 v108, v149, v108
	v_cvt_f32_i32_e32 v149, v108
	v_and_b32_e32 v108, 0xf0f0f0f, v138
	v_dot4c_i32_i8_e32 v151, v108, v18
	v_and_b32_e32 v18, 0xf0f0f0f, v139
	v_dot4c_i32_i8_e32 v151, v18, v19
	v_add_u32_e32 v18, 0x31c8, v47
	ds_read2_b32 v[18:19], v18 offset1:1
	v_add_u32_e32 v108, 0x31d0, v47
	v_add_u32_e32 v136, 0x10e0, v47
	v_dot4c_i32_i8_e32 v147, v130, v16
	v_and_b32_e32 v130, 0xf0f0f0f, v135
	v_add_u32_e32 v109, 0x31d8, v47
	ds_read2_b32 v[132:133], v108 offset1:1
	ds_read2_b32 v[134:135], v109 offset1:1
	;; [unrolled: 1-line block ×3, first 2 shown]
	s_waitcnt lgkmcnt(3)
	v_and_b32_e32 v108, 0xf0f0f0f, v18
	v_dot4c_i32_i8_e32 v151, v108, v20
	v_and_b32_e32 v20, 0xf0f0f0f, v19
	ds_read2_b32 v[108:109], v125 offset0:1 offset1:3
	v_dot4c_i32_i8_e32 v151, v20, v21
	s_waitcnt lgkmcnt(3)
	v_and_b32_e32 v20, 0xf0f0f0f, v132
	v_dot4c_i32_i8_e32 v151, v20, v14
	v_and_b32_e32 v14, 0xf0f0f0f, v133
	v_dot4c_i32_i8_e32 v151, v14, v15
	s_waitcnt lgkmcnt(2)
	v_and_b32_e32 v14, 0xf0f0f0f, v134
	v_dot4c_i32_i8_e32 v151, v14, v16
	v_and_b32_e32 v14, 0xf0f0f0f, v135
	v_dot4c_i32_i8_e32 v151, v14, v17
	s_waitcnt lgkmcnt(0)
	v_and_b32_e32 v14, 0xff, v108
	v_mov_b32_e32 v15, 0
	v_dot4c_i32_i8_e32 v147, v130, v17
	v_mul_lo_u32 v14, v151, v14
	v_cvt_f32_i32_e32 v151, v14
	v_lshrrev_b32_e32 v14, 4, v138
	v_and_b32_e32 v14, 0xf0f0f0f, v14
	v_dot4c_i32_i8_e32 v15, v14, v10
	v_lshrrev_b32_e32 v10, 4, v139
	v_and_b32_e32 v10, 0xf0f0f0f, v10
	v_dot4c_i32_i8_e32 v15, v10, v11
	;; [unrolled: 3-line block ×8, first 2 shown]
	v_bfe_u32 v6, v108, 8, 8
	v_and_b32_e32 v132, 0xf0f0f0f, v112
	v_mov_b32_e32 v133, 0
	v_mul_lo_u32 v6, v15, v6
	v_cvt_f32_i32_e32 v138, v6
	ds_read_b128 v[18:21], v41 offset:64
	ds_read_b128 v[14:17], v41 offset:80
	;; [unrolled: 1-line block ×4, first 2 shown]
	v_lshrrev_b32_e32 v112, 4, v112
	s_waitcnt lgkmcnt(3)
	v_dot4c_i32_i8_e32 v133, v132, v18
	v_and_b32_e32 v132, 0xf0f0f0f, v113
	v_dot4c_i32_i8_e32 v133, v132, v19
	v_and_b32_e32 v132, 0xf0f0f0f, v118
	;; [unrolled: 2-line block ×4, first 2 shown]
	s_waitcnt lgkmcnt(2)
	v_dot4c_i32_i8_e32 v133, v132, v14
	v_and_b32_e32 v132, 0xf0f0f0f, v121
	v_dot4c_i32_i8_e32 v133, v132, v15
	v_and_b32_e32 v132, 0xf0f0f0f, v122
	;; [unrolled: 2-line block ×4, first 2 shown]
	v_mov_b32_e32 v132, 0
	s_waitcnt lgkmcnt(1)
	v_dot4c_i32_i8_e32 v132, v112, v10
	v_lshrrev_b32_e32 v112, 4, v113
	v_and_b32_e32 v112, 0xf0f0f0f, v112
	v_dot4c_i32_i8_e32 v132, v112, v11
	v_lshrrev_b32_e32 v112, 4, v118
	v_and_b32_e32 v112, 0xf0f0f0f, v112
	;; [unrolled: 3-line block ×4, first 2 shown]
	s_waitcnt lgkmcnt(0)
	v_dot4c_i32_i8_e32 v132, v112, v6
	v_lshrrev_b32_e32 v112, 4, v121
	v_and_b32_e32 v112, 0xf0f0f0f, v112
	v_dot4c_i32_i8_e32 v132, v112, v7
	v_lshrrev_b32_e32 v112, 4, v122
	v_cvt_f32_f16_e32 v119, v4
	v_cvt_f32_f16_sdwa v113, v4 dst_sel:DWORD dst_unused:UNUSED_PAD src0_sel:WORD_1
	v_and_b32_e32 v4, 0xff, v114
	v_bfe_u32 v120, v114, 16, 8
	v_and_b32_e32 v112, 0xf0f0f0f, v112
	v_mul_lo_u32 v4, v129, v4
	v_mul_lo_u32 v120, v133, v120
	v_dot4c_i32_i8_e32 v132, v112, v8
	v_lshrrev_b32_e32 v112, 4, v123
	v_cvt_f32_f16_e32 v118, v2
	v_cvt_f32_i32_e32 v123, v120
	v_cvt_f32_i32_e32 v122, v4
	v_and_b32_e32 v112, 0xf0f0f0f, v112
	v_lshrrev_b32_e32 v140, 24, v114
	v_dot4c_i32_i8_e32 v132, v112, v9
	v_bfe_u32 v114, v114, 8, 8
	v_pk_fma_f32 v[122:123], v[118:119], v[122:123], 0 op_sel_hi:[1,1,0]
	v_mul_lo_u32 v114, v141, v114
	v_mul_lo_u32 v118, v132, v140
	v_and_b32_e32 v148, 0xff, v106
	v_cvt_f32_f16_sdwa v112, v2 dst_sel:DWORD dst_unused:UNUSED_PAD src0_sel:WORD_1
	v_cvt_f32_f16_e32 v121, v5
	v_cvt_f32_f16_e32 v120, v3
	v_cvt_f32_i32_e32 v133, v118
	v_cvt_f32_i32_e32 v132, v114
	v_mul_lo_u32 v147, v147, v148
	v_cvt_f32_f16_sdwa v5, v5 dst_sel:DWORD dst_unused:UNUSED_PAD src0_sel:WORD_1
	v_cvt_f32_f16_sdwa v4, v3 dst_sel:DWORD dst_unused:UNUSED_PAD src0_sel:WORD_1
	v_cvt_f32_i32_e32 v147, v147
	v_cvt_f32_ubyte2_e32 v135, v115
	v_cvt_f32_ubyte0_e32 v134, v115
	v_pk_fma_f32 v[134:135], v[112:113], v[134:135], 0 op_sel_hi:[1,1,0]
	v_pk_fma_f32 v[122:123], v[120:121], v[132:133], v[122:123]
	v_cvt_f32_ubyte3_e32 v133, v115
	v_cvt_f32_ubyte1_e32 v132, v115
	v_pk_fma_f32 v[114:115], v[4:5], v[132:133], v[134:135]
	v_cvt_f32_ubyte0_e32 v144, v111
	v_cvt_f32_ubyte0_e32 v148, v107
	;; [unrolled: 1-line block ×3, first 2 shown]
	v_pk_mul_f32 v[114:115], v[114:115], v[116:117] op_sel_hi:[1,0]
	v_fma_mix_f32 v112, v2, v147, 0 op_sel_hi:[1,0,0]
	v_cvt_f32_ubyte1_e32 v139, v109
	v_pk_fma_f32 v[114:115], v[122:123], v[22:23], v[114:115] op_sel_hi:[1,0,1] neg_lo:[0,0,1] neg_hi:[0,0,1]
	v_fma_mix_f32 v4, v2, v143, 0 op_sel_hi:[1,0,0]
	v_fma_mix_f32 v22, v2, v144, 0 op_sel:[1,0,0] op_sel_hi:[1,0,0]
	v_fma_mix_f32 v116, v2, v148, 0 op_sel:[1,0,0] op_sel_hi:[1,0,0]
	v_fma_mix_f32 v129, v3, v149, v112 op_sel_hi:[1,0,0]
	v_fma_mix_f32 v112, v2, v151, 0 op_sel_hi:[1,0,0]
	v_fma_mix_f32 v2, v2, v153, 0 op_sel:[1,0,0] op_sel_hi:[1,0,0]
	v_fma_mix_f32 v140, v3, v138, v112 op_sel_hi:[1,0,0]
	v_fma_mix_f32 v141, v3, v139, v2 op_sel:[1,0,0] op_sel_hi:[1,0,0]
	v_and_b32_e32 v2, 0xf0f0f0f, v136
	v_mov_b32_e32 v112, 0
	v_dot4c_i32_i8_e32 v112, v2, v18
	v_and_b32_e32 v2, 0xf0f0f0f, v137
	v_cvt_f32_ubyte1_e32 v146, v111
	v_cvt_f32_ubyte1_e32 v150, v107
	v_dot4c_i32_i8_e32 v112, v2, v19
	v_add_u32_e32 v2, 0x10e8, v47
	v_fma_mix_f32 v4, v3, v145, v4 op_sel_hi:[1,0,0]
	v_fma_mix_f32 v22, v3, v146, v22 op_sel:[1,0,0] op_sel_hi:[1,0,0]
	v_fma_mix_f32 v116, v3, v150, v116 op_sel:[1,0,0] op_sel_hi:[1,0,0]
	ds_read2_b32 v[2:3], v2 offset1:1
	v_add_u32_e32 v118, 0x10f0, v47
	v_add_u32_e32 v134, 0x2160, v47
	;; [unrolled: 1-line block ×3, first 2 shown]
	ds_read2_b32 v[122:123], v118 offset1:1
	ds_read2_b32 v[132:133], v120 offset1:1
	;; [unrolled: 1-line block ×3, first 2 shown]
	s_waitcnt lgkmcnt(3)
	v_and_b32_e32 v118, 0xf0f0f0f, v2
	v_dot4c_i32_i8_e32 v112, v118, v20
	v_and_b32_e32 v118, 0xf0f0f0f, v3
	v_dot4c_i32_i8_e32 v112, v118, v21
	s_waitcnt lgkmcnt(2)
	v_and_b32_e32 v118, 0xf0f0f0f, v122
	v_dot4c_i32_i8_e32 v112, v118, v14
	v_and_b32_e32 v118, 0xf0f0f0f, v123
	v_dot4c_i32_i8_e32 v112, v118, v15
	s_waitcnt lgkmcnt(1)
	v_and_b32_e32 v118, 0xf0f0f0f, v132
	v_dot4c_i32_i8_e32 v112, v118, v16
	v_and_b32_e32 v118, 0xf0f0f0f, v133
	v_lshrrev_b32_e32 v142, 24, v110
	v_dot4c_i32_i8_e32 v112, v118, v17
	v_bfe_u32 v110, v110, 16, 8
	v_lshrrev_b32_e32 v2, 4, v2
	v_and_b32_e32 v2, 0xf0f0f0f, v2
	v_mul_lo_u32 v110, v112, v110
	v_cvt_f32_i32_e32 v138, v110
	v_lshrrev_b32_e32 v110, 4, v136
	v_and_b32_e32 v110, 0xf0f0f0f, v110
	v_mov_b32_e32 v112, 0
	v_dot4c_i32_i8_e32 v112, v110, v10
	v_lshrrev_b32_e32 v110, 4, v137
	v_and_b32_e32 v110, 0xf0f0f0f, v110
	v_dot4c_i32_i8_e32 v112, v110, v11
	v_dot4c_i32_i8_e32 v112, v2, v12
	v_lshrrev_b32_e32 v2, 4, v3
	v_and_b32_e32 v2, 0xf0f0f0f, v2
	v_dot4c_i32_i8_e32 v112, v2, v13
	v_lshrrev_b32_e32 v2, 4, v122
	v_and_b32_e32 v2, 0xf0f0f0f, v2
	;; [unrolled: 3-line block ×5, first 2 shown]
	v_dot4c_i32_i8_e32 v112, v2, v9
	v_cvt_f32_f16_sdwa v3, v131 dst_sel:DWORD dst_unused:UNUSED_PAD src0_sel:WORD_1
	v_cvt_f32_ubyte2_e32 v139, v111
	v_cvt_f32_ubyte3_e32 v111, v111
	v_mul_lo_u32 v2, v112, v142
	v_cvt_f32_i32_e32 v110, v2
	v_cvt_f32_f16_e32 v2, v131
	v_mul_f32_e32 v22, v22, v3
	v_mov_b32_e32 v112, v119
	v_fma_mix_f32 v123, v4, v131, -v22 op_sel_hi:[0,1,0]
	v_pk_fma_f32 v[118:119], v[112:113], v[138:139], 0 op_sel_hi:[1,1,0]
	v_mov_b32_e32 v4, v121
	v_pk_fma_f32 v[110:111], v[4:5], v[110:111], v[118:119]
	v_mov_b32_e32 v122, v114
	v_pk_mul_f32 v[118:119], v[110:111], v[2:3]
	v_pk_add_f32 v[92:93], v[92:93], v[122:123]
	v_mov_b32_e32 v119, v118
	v_pk_fma_f32 v[2:3], v[110:111], v[2:3], v[118:119] neg_lo:[1,0,0] neg_hi:[1,0,0]
	v_mov_b32_e32 v22, 0
	v_mov_b32_e32 v2, v115
	v_pk_add_f32 v[92:93], v[92:93], v[2:3]
	s_waitcnt lgkmcnt(0)
	v_and_b32_e32 v2, 0xf0f0f0f, v134
	v_dot4c_i32_i8_e32 v22, v2, v18
	v_and_b32_e32 v2, 0xf0f0f0f, v135
	v_dot4c_i32_i8_e32 v22, v2, v19
	v_add_u32_e32 v2, 0x2168, v47
	ds_read2_b32 v[2:3], v2 offset1:1
	v_add_u32_e32 v110, 0x2170, v47
	v_add_u32_e32 v114, 0x2178, v47
	v_add_u32_e32 v118, 0x31e0, v47
	ds_read2_b32 v[110:111], v110 offset1:1
	ds_read2_b32 v[114:115], v114 offset1:1
	;; [unrolled: 1-line block ×3, first 2 shown]
	s_waitcnt lgkmcnt(3)
	v_and_b32_e32 v120, 0xf0f0f0f, v2
	v_dot4c_i32_i8_e32 v22, v120, v20
	v_and_b32_e32 v120, 0xf0f0f0f, v3
	v_dot4c_i32_i8_e32 v22, v120, v21
	s_waitcnt lgkmcnt(2)
	v_and_b32_e32 v120, 0xf0f0f0f, v110
	v_dot4c_i32_i8_e32 v22, v120, v14
	v_and_b32_e32 v120, 0xf0f0f0f, v111
	v_dot4c_i32_i8_e32 v22, v120, v15
	s_waitcnt lgkmcnt(1)
	v_and_b32_e32 v120, 0xf0f0f0f, v114
	v_dot4c_i32_i8_e32 v22, v120, v16
	v_and_b32_e32 v120, 0xf0f0f0f, v115
	v_lshrrev_b32_e32 v130, 24, v106
	v_dot4c_i32_i8_e32 v22, v120, v17
	v_bfe_u32 v106, v106, 16, 8
	v_lshrrev_b32_e32 v2, 4, v2
	v_and_b32_e32 v2, 0xf0f0f0f, v2
	v_mul_lo_u32 v22, v22, v106
	v_cvt_f32_i32_e32 v120, v22
	v_lshrrev_b32_e32 v22, 4, v134
	v_and_b32_e32 v22, 0xf0f0f0f, v22
	v_mov_b32_e32 v106, 0
	v_dot4c_i32_i8_e32 v106, v22, v10
	v_lshrrev_b32_e32 v22, 4, v135
	v_and_b32_e32 v22, 0xf0f0f0f, v22
	v_dot4c_i32_i8_e32 v106, v22, v11
	v_dot4c_i32_i8_e32 v106, v2, v12
	v_lshrrev_b32_e32 v2, 4, v3
	v_and_b32_e32 v2, 0xf0f0f0f, v2
	v_dot4c_i32_i8_e32 v106, v2, v13
	v_lshrrev_b32_e32 v2, 4, v110
	v_and_b32_e32 v2, 0xf0f0f0f, v2
	;; [unrolled: 3-line block ×5, first 2 shown]
	v_cvt_f32_f16_sdwa v3, v117 dst_sel:DWORD dst_unused:UNUSED_PAD src0_sel:WORD_1
	v_dot4c_i32_i8_e32 v106, v2, v9
	v_cvt_f32_ubyte2_e32 v121, v107
	v_cvt_f32_ubyte3_e32 v107, v107
	v_mul_f32_e32 v22, v116, v3
	v_mul_lo_u32 v2, v106, v130
	v_cvt_f32_i32_e32 v106, v2
	v_cvt_f32_f16_e32 v2, v117
	v_fma_mix_f32 v22, v129, v117, -v22 op_sel_hi:[0,1,0]
	v_add_f32_e32 v110, v23, v22
	v_pk_fma_f32 v[22:23], v[112:113], v[120:121], 0 op_sel_hi:[1,1,0]
	v_lshrrev_b32_e32 v152, 24, v108
	v_pk_fma_f32 v[22:23], v[4:5], v[106:107], v[22:23]
	v_add_u32_e32 v106, 0x31f8, v47
	v_pk_mul_f32 v[2:3], v[22:23], v[2:3]
	v_mov_b32_e32 v22, 0
	v_sub_f32_e32 v2, v2, v3
	v_add_f32_e32 v23, v110, v2
	s_waitcnt lgkmcnt(0)
	v_and_b32_e32 v2, 0xf0f0f0f, v118
	v_dot4c_i32_i8_e32 v22, v2, v18
	v_and_b32_e32 v2, 0xf0f0f0f, v119
	v_dot4c_i32_i8_e32 v22, v2, v19
	v_add_u32_e32 v2, 0x31e8, v47
	ds_read2_b32 v[2:3], v2 offset1:1
	v_add_u32_e32 v18, 0x31f0, v47
	ds_read2_b32 v[18:19], v18 offset1:1
	ds_read2_b32 v[106:107], v106 offset1:1
	s_waitcnt lgkmcnt(0)
	s_barrier
	v_and_b32_e32 v110, 0xf0f0f0f, v2
	v_dot4c_i32_i8_e32 v22, v110, v20
	v_and_b32_e32 v20, 0xf0f0f0f, v3
	v_dot4c_i32_i8_e32 v22, v20, v21
	;; [unrolled: 2-line block ×5, first 2 shown]
	v_and_b32_e32 v14, 0xf0f0f0f, v107
	v_lshrrev_b32_e32 v16, 4, v118
	v_dot4c_i32_i8_e32 v22, v14, v17
	v_and_b32_e32 v16, 0xf0f0f0f, v16
	v_mov_b32_e32 v17, 0
	v_dot4c_i32_i8_e32 v17, v16, v10
	v_lshrrev_b32_e32 v10, 4, v119
	v_and_b32_e32 v10, 0xf0f0f0f, v10
	v_lshrrev_b32_e32 v2, 4, v2
	v_dot4c_i32_i8_e32 v17, v10, v11
	v_and_b32_e32 v2, 0xf0f0f0f, v2
	v_dot4c_i32_i8_e32 v17, v2, v12
	v_lshrrev_b32_e32 v2, 4, v3
	v_and_b32_e32 v2, 0xf0f0f0f, v2
	v_dot4c_i32_i8_e32 v17, v2, v13
	v_lshrrev_b32_e32 v2, 4, v18
	v_and_b32_e32 v2, 0xf0f0f0f, v2
	v_dot4c_i32_i8_e32 v17, v2, v6
	v_lshrrev_b32_e32 v2, 4, v19
	v_and_b32_e32 v2, 0xf0f0f0f, v2
	v_dot4c_i32_i8_e32 v17, v2, v7
	v_lshrrev_b32_e32 v2, 4, v106
	v_and_b32_e32 v2, 0xf0f0f0f, v2
	v_dot4c_i32_i8_e32 v17, v2, v8
	v_lshrrev_b32_e32 v2, 4, v107
	v_bfe_u32 v14, v108, 16, 8
	v_and_b32_e32 v2, 0xf0f0f0f, v2
	v_cvt_f32_f16_sdwa v3, v25 dst_sel:DWORD dst_unused:UNUSED_PAD src0_sel:WORD_1
	v_mul_lo_u32 v14, v22, v14
	v_dot4c_i32_i8_e32 v17, v2, v9
	v_cvt_f32_i32_e32 v14, v14
	v_mul_f32_e32 v8, v141, v3
	v_cvt_f32_ubyte2_e32 v15, v109
	v_mul_lo_u32 v2, v17, v152
	v_cvt_f32_i32_e32 v6, v2
	v_cvt_f32_f16_e32 v2, v25
	v_fma_mix_f32 v8, v140, v25, -v8 op_sel_hi:[0,1,0]
	v_cvt_f32_ubyte3_e32 v7, v109
	v_add_f32_e32 v10, v27, v8
	v_pk_fma_f32 v[8:9], v[112:113], v[14:15], 0 op_sel_hi:[1,1,0]
	s_nop 0
	v_pk_fma_f32 v[4:5], v[4:5], v[6:7], v[8:9]
	s_nop 0
	v_pk_mul_f32 v[2:3], v[4:5], v[2:3]
	s_nop 0
	v_sub_f32_e32 v2, v2, v3
	v_add_f32_e32 v27, v10, v2
.LBB192_5:                              ;   in Loop: Header=BB192_6 Depth=1
	s_add_i32 s26, s26, -1
	s_addk_i32 s4, 0x100
	v_add_u32_e32 v24, 8, v24
	v_add_u32_e32 v51, 8, v51
	;; [unrolled: 1-line block ×3, first 2 shown]
	v_lshl_add_u64 v[62:63], v[62:63], 0, s[20:21]
	v_lshl_add_u64 v[64:65], v[64:65], 0, s[20:21]
	;; [unrolled: 1-line block ×20, first 2 shown]
	s_cmp_eq_u32 s26, 0
	v_lshl_add_u64 v[104:105], v[104:105], 0, s[20:21]
	s_cbranch_scc1 .LBB192_19
.LBB192_6:                              ; =>This Inner Loop Header: Depth=1
	v_lshl_add_u64 v[2:3], v[62:63], 0, s[18:19]
	global_load_dword v4, v[2:3], off
	v_lshl_add_u64 v[2:3], v[64:65], 0, s[18:19]
	global_load_dword v5, v[2:3], off
	;; [unrolled: 2-line block ×21, first 2 shown]
	s_add_i32 s2, s4, 0xffffff80
	s_cmp_lt_i32 s2, s5
	s_waitcnt vmcnt(20)
	ds_write_b32 v26, v4
	s_waitcnt vmcnt(19)
	ds_write_b32 v28, v5
	;; [unrolled: 2-line block ×17, first 2 shown]
	s_waitcnt vmcnt(3)
	v_ashrrev_i32_e32 v3, v31, v21
	v_and_b32_e32 v3, 0xf0f0f0f, v3
	s_waitcnt vmcnt(2)
	v_ashrrev_i32_e32 v4, v33, v22
	v_and_or_b32 v3, v4, s6, v3
	s_waitcnt vmcnt(1)
	v_ashrrev_i32_e32 v5, v31, v25
	v_and_b32_e32 v5, 0xf0f0f0f, v5
	s_waitcnt vmcnt(0)
	v_ashrrev_i32_e32 v2, v33, v2
	v_and_or_b32 v2, v2, s6, v5
	ds_write_b32 v127, v3
	ds_write_b32 v128, v2
	s_cbranch_scc0 .LBB192_5
; %bb.7:                                ;   in Loop: Header=BB192_6 Depth=1
	v_cmp_gt_i32_e64 s[2:3], s8, v39
	s_and_b64 s[12:13], s[0:1], s[2:3]
	s_and_saveexec_b64 s[2:3], s[12:13]
	s_cbranch_execz .LBB192_9
; %bb.8:                                ;   in Loop: Header=BB192_6 Depth=1
	v_add_u32_e32 v2, v60, v39
	v_mad_i64_i32 v[2:3], s[12:13], v2, 36, v[58:59]
	global_load_dword v2, v[2:3], off offset:4
	s_waitcnt vmcnt(0)
	ds_write_b32 v35, v2
.LBB192_9:                              ;   in Loop: Header=BB192_6 Depth=1
	s_or_b64 exec, exec, s[2:3]
	s_and_saveexec_b64 s[12:13], vcc
	s_cbranch_execz .LBB192_12
; %bb.10:                               ;   in Loop: Header=BB192_6 Depth=1
	v_cmp_gt_i32_e64 s[2:3], s8, v24
	s_and_b64 s[2:3], s[0:1], s[2:3]
	s_and_b64 exec, exec, s[2:3]
	s_cbranch_execz .LBB192_12
; %bb.11:                               ;   in Loop: Header=BB192_6 Depth=1
	v_add_u32_e32 v2, v60, v24
	v_mad_i64_i32 v[2:3], s[2:3], v2, 36, s[14:15]
	global_load_dword v2, v[2:3], off
	s_waitcnt vmcnt(0)
	ds_write_b32 v37, v2
.LBB192_12:                             ;   in Loop: Header=BB192_6 Depth=1
	s_or_b64 exec, exec, s[12:13]
	s_waitcnt lgkmcnt(0)
	s_barrier
	ds_read_b128 v[2:5], v43 offset:20560
	ds_read2_b32 v[106:107], v47 offset1:1
	ds_read_b128 v[18:21], v41
	ds_read_b128 v[14:17], v41 offset:16
	ds_read_b128 v[10:13], v41 offset:32
	;; [unrolled: 1-line block ×3, first 2 shown]
	ds_read_b32 v25, v49
	ds_read2_b32 v[108:109], v47 offset0:2 offset1:3
	s_waitcnt lgkmcnt(6)
	v_and_b32_e32 v22, 0xf0f0f0f, v106
	v_mov_b32_e32 v129, 0
	s_waitcnt lgkmcnt(5)
	v_dot4c_i32_i8_e32 v129, v22, v18
	v_and_b32_e32 v22, 0xf0f0f0f, v107
	ds_read2_b32 v[110:111], v47 offset0:4 offset1:5
	ds_read2_b32 v[116:117], v47 offset0:6 offset1:7
	;; [unrolled: 1-line block ×3, first 2 shown]
	v_dot4c_i32_i8_e32 v129, v22, v19
	s_waitcnt lgkmcnt(3)
	v_and_b32_e32 v22, 0xf0f0f0f, v108
	v_dot4c_i32_i8_e32 v129, v22, v20
	v_and_b32_e32 v22, 0xf0f0f0f, v109
	v_dot4c_i32_i8_e32 v129, v22, v21
	s_waitcnt lgkmcnt(2)
	v_and_b32_e32 v22, 0xf0f0f0f, v110
	v_dot4c_i32_i8_e32 v129, v22, v14
	v_and_b32_e32 v22, 0xf0f0f0f, v111
	;; [unrolled: 5-line block ×3, first 2 shown]
	v_dot4c_i32_i8_e32 v129, v22, v17
	v_lshrrev_b32_e32 v22, 4, v106
	v_and_b32_e32 v22, 0xf0f0f0f, v22
	v_mov_b32_e32 v141, 0
	v_dot4c_i32_i8_e32 v141, v22, v10
	v_lshrrev_b32_e32 v22, 4, v107
	v_and_b32_e32 v22, 0xf0f0f0f, v22
	v_dot4c_i32_i8_e32 v141, v22, v11
	v_lshrrev_b32_e32 v22, 4, v108
	v_and_b32_e32 v22, 0xf0f0f0f, v22
	;; [unrolled: 3-line block ×3, first 2 shown]
	v_add_u32_e32 v106, 0x1080, v47
	ds_read2_b32 v[114:115], v45 offset1:2
	v_dot4c_i32_i8_e32 v141, v22, v13
	v_lshrrev_b32_e32 v22, 4, v110
	ds_read2_b32 v[118:119], v47 offset0:10 offset1:11
	ds_read2_b32 v[120:121], v47 offset0:12 offset1:13
	;; [unrolled: 1-line block ×3, first 2 shown]
	ds_read2_b32 v[106:107], v106 offset1:1
	v_and_b32_e32 v22, 0xf0f0f0f, v22
	v_dot4c_i32_i8_e32 v141, v22, v6
	v_lshrrev_b32_e32 v22, 4, v111
	v_and_b32_e32 v22, 0xf0f0f0f, v22
	v_dot4c_i32_i8_e32 v141, v22, v7
	v_lshrrev_b32_e32 v22, 4, v116
	v_and_b32_e32 v22, 0xf0f0f0f, v22
	s_waitcnt lgkmcnt(0)
	v_and_b32_e32 v108, 0xf0f0f0f, v106
	v_mov_b32_e32 v130, 0
	v_dot4c_i32_i8_e32 v141, v22, v8
	v_lshrrev_b32_e32 v22, 4, v117
	v_dot4c_i32_i8_e32 v130, v108, v18
	v_and_b32_e32 v108, 0xf0f0f0f, v107
	v_and_b32_e32 v22, 0xf0f0f0f, v22
	v_dot4c_i32_i8_e32 v130, v108, v19
	v_add_u32_e32 v108, 0x1088, v47
	v_dot4c_i32_i8_e32 v141, v22, v9
	v_cvt_f32_f16_e32 v22, v25
	v_cvt_f32_f16_sdwa v116, v25 dst_sel:DWORD dst_unused:UNUSED_PAD src0_sel:WORD_1
	ds_read_b32 v131, v55 offset:128
	ds_read_b32 v117, v124 offset:256
	;; [unrolled: 1-line block ×3, first 2 shown]
	ds_read2_b32 v[108:109], v108 offset1:1
	v_add_u32_e32 v110, 0x1090, v47
	v_add_u32_e32 v136, 0x2100, v47
	;; [unrolled: 1-line block ×3, first 2 shown]
	ds_read2_b32 v[132:133], v110 offset1:1
	ds_read2_b32 v[134:135], v111 offset1:1
	;; [unrolled: 1-line block ×3, first 2 shown]
	s_waitcnt lgkmcnt(3)
	v_and_b32_e32 v110, 0xf0f0f0f, v108
	v_dot4c_i32_i8_e32 v130, v110, v20
	v_and_b32_e32 v110, 0xf0f0f0f, v109
	v_dot4c_i32_i8_e32 v130, v110, v21
	s_waitcnt lgkmcnt(2)
	v_and_b32_e32 v110, 0xf0f0f0f, v132
	v_dot4c_i32_i8_e32 v130, v110, v14
	v_and_b32_e32 v110, 0xf0f0f0f, v133
	v_dot4c_i32_i8_e32 v130, v110, v15
	ds_read2_b32 v[110:111], v53 offset1:2
	s_waitcnt lgkmcnt(2)
	v_and_b32_e32 v138, 0xf0f0f0f, v134
	v_dot4c_i32_i8_e32 v130, v138, v16
	v_and_b32_e32 v138, 0xf0f0f0f, v135
	v_dot4c_i32_i8_e32 v130, v138, v17
	s_waitcnt lgkmcnt(0)
	v_and_b32_e32 v138, 0xff, v110
	v_lshrrev_b32_e32 v106, 4, v106
	v_and_b32_e32 v106, 0xf0f0f0f, v106
	v_mul_lo_u32 v130, v130, v138
	v_cvt_f32_i32_e32 v143, v130
	v_mov_b32_e32 v130, 0
	v_dot4c_i32_i8_e32 v130, v106, v10
	v_lshrrev_b32_e32 v106, 4, v107
	v_and_b32_e32 v106, 0xf0f0f0f, v106
	v_dot4c_i32_i8_e32 v130, v106, v11
	v_lshrrev_b32_e32 v106, 4, v108
	v_and_b32_e32 v106, 0xf0f0f0f, v106
	;; [unrolled: 3-line block ×7, first 2 shown]
	v_dot4c_i32_i8_e32 v130, v106, v9
	v_bfe_u32 v106, v110, 8, 8
	v_mov_b32_e32 v147, 0
	v_mov_b32_e32 v149, 0
	v_mul_lo_u32 v106, v130, v106
	v_cvt_f32_i32_e32 v145, v106
	v_and_b32_e32 v106, 0xf0f0f0f, v136
	v_dot4c_i32_i8_e32 v147, v106, v18
	v_and_b32_e32 v106, 0xf0f0f0f, v137
	v_dot4c_i32_i8_e32 v147, v106, v19
	v_add_u32_e32 v106, 0x2108, v47
	ds_read2_b32 v[108:109], v106 offset1:1
	v_lshrrev_b32_e32 v136, 4, v136
	v_and_b32_e32 v136, 0xf0f0f0f, v136
	v_add_u32_e32 v107, 0x2110, v47
	v_add_u32_e32 v106, 0x3180, v47
	v_dot4c_i32_i8_e32 v149, v136, v10
	v_lshrrev_b32_e32 v136, 4, v137
	v_add_u32_e32 v130, 0x2118, v47
	ds_read2_b32 v[132:133], v107 offset1:1
	ds_read2_b32 v[134:135], v130 offset1:1
	ds_read2_b32 v[138:139], v106 offset1:1
	s_waitcnt lgkmcnt(3)
	v_and_b32_e32 v106, 0xf0f0f0f, v108
	v_and_b32_e32 v136, 0xf0f0f0f, v136
	v_lshrrev_b32_e32 v108, 4, v108
	v_dot4c_i32_i8_e32 v149, v136, v11
	v_and_b32_e32 v108, 0xf0f0f0f, v108
	v_dot4c_i32_i8_e32 v149, v108, v12
	v_lshrrev_b32_e32 v108, 4, v109
	v_and_b32_e32 v108, 0xf0f0f0f, v108
	v_dot4c_i32_i8_e32 v147, v106, v20
	v_and_b32_e32 v106, 0xf0f0f0f, v109
	v_dot4c_i32_i8_e32 v149, v108, v13
	s_waitcnt lgkmcnt(2)
	v_lshrrev_b32_e32 v108, 4, v132
	v_dot4c_i32_i8_e32 v147, v106, v21
	v_and_b32_e32 v106, 0xf0f0f0f, v132
	v_and_b32_e32 v108, 0xf0f0f0f, v108
	v_dot4c_i32_i8_e32 v147, v106, v14
	v_and_b32_e32 v106, 0xf0f0f0f, v133
	v_dot4c_i32_i8_e32 v149, v108, v6
	v_lshrrev_b32_e32 v108, 4, v133
	v_dot4c_i32_i8_e32 v147, v106, v15
	ds_read2_b32 v[106:107], v57 offset1:2
	v_and_b32_e32 v108, 0xf0f0f0f, v108
	v_dot4c_i32_i8_e32 v149, v108, v7
	s_waitcnt lgkmcnt(2)
	v_lshrrev_b32_e32 v108, 4, v134
	v_and_b32_e32 v108, 0xf0f0f0f, v108
	v_dot4c_i32_i8_e32 v149, v108, v8
	v_lshrrev_b32_e32 v108, 4, v135
	v_and_b32_e32 v108, 0xf0f0f0f, v108
	v_dot4c_i32_i8_e32 v149, v108, v9
	s_waitcnt lgkmcnt(0)
	v_bfe_u32 v108, v106, 8, 8
	v_mov_b32_e32 v151, 0
	v_and_b32_e32 v130, 0xf0f0f0f, v134
	v_mul_lo_u32 v108, v149, v108
	v_cvt_f32_i32_e32 v149, v108
	v_and_b32_e32 v108, 0xf0f0f0f, v138
	v_dot4c_i32_i8_e32 v151, v108, v18
	v_and_b32_e32 v18, 0xf0f0f0f, v139
	v_dot4c_i32_i8_e32 v151, v18, v19
	v_add_u32_e32 v18, 0x3188, v47
	ds_read2_b32 v[18:19], v18 offset1:1
	v_add_u32_e32 v108, 0x3190, v47
	v_add_u32_e32 v136, 0x10a0, v47
	v_dot4c_i32_i8_e32 v147, v130, v16
	v_and_b32_e32 v130, 0xf0f0f0f, v135
	v_add_u32_e32 v109, 0x3198, v47
	ds_read2_b32 v[132:133], v108 offset1:1
	ds_read2_b32 v[134:135], v109 offset1:1
	;; [unrolled: 1-line block ×3, first 2 shown]
	s_waitcnt lgkmcnt(3)
	v_and_b32_e32 v108, 0xf0f0f0f, v18
	v_dot4c_i32_i8_e32 v151, v108, v20
	v_and_b32_e32 v20, 0xf0f0f0f, v19
	ds_read2_b32 v[108:109], v125 offset1:2
	v_dot4c_i32_i8_e32 v151, v20, v21
	s_waitcnt lgkmcnt(3)
	v_and_b32_e32 v20, 0xf0f0f0f, v132
	v_dot4c_i32_i8_e32 v151, v20, v14
	v_and_b32_e32 v14, 0xf0f0f0f, v133
	v_dot4c_i32_i8_e32 v151, v14, v15
	s_waitcnt lgkmcnt(2)
	v_and_b32_e32 v14, 0xf0f0f0f, v134
	v_dot4c_i32_i8_e32 v151, v14, v16
	v_and_b32_e32 v14, 0xf0f0f0f, v135
	v_dot4c_i32_i8_e32 v151, v14, v17
	s_waitcnt lgkmcnt(0)
	v_and_b32_e32 v14, 0xff, v108
	v_mov_b32_e32 v15, 0
	v_dot4c_i32_i8_e32 v147, v130, v17
	v_mul_lo_u32 v14, v151, v14
	v_cvt_f32_i32_e32 v151, v14
	v_lshrrev_b32_e32 v14, 4, v138
	v_and_b32_e32 v14, 0xf0f0f0f, v14
	v_dot4c_i32_i8_e32 v15, v14, v10
	v_lshrrev_b32_e32 v10, 4, v139
	v_and_b32_e32 v10, 0xf0f0f0f, v10
	v_dot4c_i32_i8_e32 v15, v10, v11
	;; [unrolled: 3-line block ×8, first 2 shown]
	v_bfe_u32 v6, v108, 8, 8
	v_and_b32_e32 v132, 0xf0f0f0f, v112
	v_mov_b32_e32 v133, 0
	v_mul_lo_u32 v6, v15, v6
	v_cvt_f32_i32_e32 v138, v6
	ds_read_b128 v[18:21], v41 offset:64
	ds_read_b128 v[14:17], v41 offset:80
	;; [unrolled: 1-line block ×4, first 2 shown]
	v_lshrrev_b32_e32 v112, 4, v112
	s_waitcnt lgkmcnt(3)
	v_dot4c_i32_i8_e32 v133, v132, v18
	v_and_b32_e32 v132, 0xf0f0f0f, v113
	v_dot4c_i32_i8_e32 v133, v132, v19
	v_and_b32_e32 v132, 0xf0f0f0f, v118
	;; [unrolled: 2-line block ×4, first 2 shown]
	s_waitcnt lgkmcnt(2)
	v_dot4c_i32_i8_e32 v133, v132, v14
	v_and_b32_e32 v132, 0xf0f0f0f, v121
	v_dot4c_i32_i8_e32 v133, v132, v15
	v_and_b32_e32 v132, 0xf0f0f0f, v122
	;; [unrolled: 2-line block ×4, first 2 shown]
	v_mov_b32_e32 v132, 0
	s_waitcnt lgkmcnt(1)
	v_dot4c_i32_i8_e32 v132, v112, v10
	v_lshrrev_b32_e32 v112, 4, v113
	v_and_b32_e32 v112, 0xf0f0f0f, v112
	v_dot4c_i32_i8_e32 v132, v112, v11
	v_lshrrev_b32_e32 v112, 4, v118
	v_and_b32_e32 v112, 0xf0f0f0f, v112
	;; [unrolled: 3-line block ×4, first 2 shown]
	s_waitcnt lgkmcnt(0)
	v_dot4c_i32_i8_e32 v132, v112, v6
	v_lshrrev_b32_e32 v112, 4, v121
	v_and_b32_e32 v112, 0xf0f0f0f, v112
	v_dot4c_i32_i8_e32 v132, v112, v7
	v_lshrrev_b32_e32 v112, 4, v122
	v_cvt_f32_f16_e32 v119, v4
	v_cvt_f32_f16_sdwa v113, v4 dst_sel:DWORD dst_unused:UNUSED_PAD src0_sel:WORD_1
	v_and_b32_e32 v4, 0xff, v114
	v_bfe_u32 v120, v114, 16, 8
	v_and_b32_e32 v112, 0xf0f0f0f, v112
	v_mul_lo_u32 v4, v129, v4
	v_mul_lo_u32 v120, v133, v120
	v_dot4c_i32_i8_e32 v132, v112, v8
	v_lshrrev_b32_e32 v112, 4, v123
	v_cvt_f32_f16_e32 v118, v2
	v_cvt_f32_i32_e32 v123, v120
	v_cvt_f32_i32_e32 v122, v4
	v_and_b32_e32 v112, 0xf0f0f0f, v112
	v_lshrrev_b32_e32 v140, 24, v114
	v_dot4c_i32_i8_e32 v132, v112, v9
	v_bfe_u32 v114, v114, 8, 8
	v_pk_fma_f32 v[122:123], v[118:119], v[122:123], 0 op_sel_hi:[1,1,0]
	v_mul_lo_u32 v114, v141, v114
	v_mul_lo_u32 v118, v132, v140
	v_and_b32_e32 v148, 0xff, v106
	v_cvt_f32_f16_sdwa v112, v2 dst_sel:DWORD dst_unused:UNUSED_PAD src0_sel:WORD_1
	v_cvt_f32_f16_e32 v121, v5
	v_cvt_f32_f16_e32 v120, v3
	v_cvt_f32_i32_e32 v133, v118
	v_cvt_f32_i32_e32 v132, v114
	v_mul_lo_u32 v147, v147, v148
	v_cvt_f32_f16_sdwa v5, v5 dst_sel:DWORD dst_unused:UNUSED_PAD src0_sel:WORD_1
	v_cvt_f32_f16_sdwa v4, v3 dst_sel:DWORD dst_unused:UNUSED_PAD src0_sel:WORD_1
	v_cvt_f32_i32_e32 v147, v147
	v_cvt_f32_ubyte2_e32 v135, v115
	v_cvt_f32_ubyte0_e32 v134, v115
	v_pk_fma_f32 v[134:135], v[112:113], v[134:135], 0 op_sel_hi:[1,1,0]
	v_pk_fma_f32 v[122:123], v[120:121], v[132:133], v[122:123]
	v_cvt_f32_ubyte3_e32 v133, v115
	v_cvt_f32_ubyte1_e32 v132, v115
	v_pk_fma_f32 v[114:115], v[4:5], v[132:133], v[134:135]
	v_cvt_f32_ubyte0_e32 v144, v111
	v_cvt_f32_ubyte0_e32 v148, v107
	;; [unrolled: 1-line block ×3, first 2 shown]
	v_pk_mul_f32 v[114:115], v[114:115], v[116:117] op_sel_hi:[1,0]
	v_fma_mix_f32 v112, v2, v147, 0 op_sel_hi:[1,0,0]
	v_cvt_f32_ubyte1_e32 v139, v109
	v_pk_fma_f32 v[114:115], v[122:123], v[22:23], v[114:115] op_sel_hi:[1,0,1] neg_lo:[0,0,1] neg_hi:[0,0,1]
	v_fma_mix_f32 v4, v2, v143, 0 op_sel_hi:[1,0,0]
	v_fma_mix_f32 v22, v2, v144, 0 op_sel:[1,0,0] op_sel_hi:[1,0,0]
	v_fma_mix_f32 v116, v2, v148, 0 op_sel:[1,0,0] op_sel_hi:[1,0,0]
	v_fma_mix_f32 v129, v3, v149, v112 op_sel_hi:[1,0,0]
	v_fma_mix_f32 v112, v2, v151, 0 op_sel_hi:[1,0,0]
	v_fma_mix_f32 v2, v2, v153, 0 op_sel:[1,0,0] op_sel_hi:[1,0,0]
	v_fma_mix_f32 v140, v3, v138, v112 op_sel_hi:[1,0,0]
	v_fma_mix_f32 v141, v3, v139, v2 op_sel:[1,0,0] op_sel_hi:[1,0,0]
	v_and_b32_e32 v2, 0xf0f0f0f, v136
	v_mov_b32_e32 v112, 0
	v_dot4c_i32_i8_e32 v112, v2, v18
	v_and_b32_e32 v2, 0xf0f0f0f, v137
	v_cvt_f32_ubyte1_e32 v146, v111
	v_cvt_f32_ubyte1_e32 v150, v107
	v_dot4c_i32_i8_e32 v112, v2, v19
	v_add_u32_e32 v2, 0x10a8, v47
	v_fma_mix_f32 v4, v3, v145, v4 op_sel_hi:[1,0,0]
	v_fma_mix_f32 v22, v3, v146, v22 op_sel:[1,0,0] op_sel_hi:[1,0,0]
	v_fma_mix_f32 v116, v3, v150, v116 op_sel:[1,0,0] op_sel_hi:[1,0,0]
	ds_read2_b32 v[2:3], v2 offset1:1
	v_add_u32_e32 v118, 0x10b0, v47
	v_add_u32_e32 v134, 0x2120, v47
	;; [unrolled: 1-line block ×3, first 2 shown]
	ds_read2_b32 v[122:123], v118 offset1:1
	ds_read2_b32 v[132:133], v120 offset1:1
	;; [unrolled: 1-line block ×3, first 2 shown]
	s_waitcnt lgkmcnt(3)
	v_and_b32_e32 v118, 0xf0f0f0f, v2
	v_dot4c_i32_i8_e32 v112, v118, v20
	v_and_b32_e32 v118, 0xf0f0f0f, v3
	v_dot4c_i32_i8_e32 v112, v118, v21
	s_waitcnt lgkmcnt(2)
	v_and_b32_e32 v118, 0xf0f0f0f, v122
	v_dot4c_i32_i8_e32 v112, v118, v14
	v_and_b32_e32 v118, 0xf0f0f0f, v123
	v_dot4c_i32_i8_e32 v112, v118, v15
	s_waitcnt lgkmcnt(1)
	v_and_b32_e32 v118, 0xf0f0f0f, v132
	v_dot4c_i32_i8_e32 v112, v118, v16
	v_and_b32_e32 v118, 0xf0f0f0f, v133
	v_lshrrev_b32_e32 v142, 24, v110
	v_dot4c_i32_i8_e32 v112, v118, v17
	v_bfe_u32 v110, v110, 16, 8
	v_lshrrev_b32_e32 v2, 4, v2
	v_and_b32_e32 v2, 0xf0f0f0f, v2
	v_mul_lo_u32 v110, v112, v110
	v_cvt_f32_i32_e32 v138, v110
	v_lshrrev_b32_e32 v110, 4, v136
	v_and_b32_e32 v110, 0xf0f0f0f, v110
	v_mov_b32_e32 v112, 0
	v_dot4c_i32_i8_e32 v112, v110, v10
	v_lshrrev_b32_e32 v110, 4, v137
	v_and_b32_e32 v110, 0xf0f0f0f, v110
	v_dot4c_i32_i8_e32 v112, v110, v11
	v_dot4c_i32_i8_e32 v112, v2, v12
	v_lshrrev_b32_e32 v2, 4, v3
	v_and_b32_e32 v2, 0xf0f0f0f, v2
	v_dot4c_i32_i8_e32 v112, v2, v13
	v_lshrrev_b32_e32 v2, 4, v122
	v_and_b32_e32 v2, 0xf0f0f0f, v2
	;; [unrolled: 3-line block ×5, first 2 shown]
	v_dot4c_i32_i8_e32 v112, v2, v9
	v_cvt_f32_f16_sdwa v3, v131 dst_sel:DWORD dst_unused:UNUSED_PAD src0_sel:WORD_1
	v_cvt_f32_ubyte2_e32 v139, v111
	v_cvt_f32_ubyte3_e32 v111, v111
	v_mul_lo_u32 v2, v112, v142
	v_cvt_f32_i32_e32 v110, v2
	v_cvt_f32_f16_e32 v2, v131
	v_mul_f32_e32 v22, v22, v3
	v_mov_b32_e32 v112, v119
	v_fma_mix_f32 v123, v4, v131, -v22 op_sel_hi:[0,1,0]
	v_pk_fma_f32 v[118:119], v[112:113], v[138:139], 0 op_sel_hi:[1,1,0]
	v_mov_b32_e32 v4, v121
	v_pk_fma_f32 v[110:111], v[4:5], v[110:111], v[118:119]
	v_mov_b32_e32 v122, v114
	v_pk_mul_f32 v[118:119], v[110:111], v[2:3]
	v_pk_add_f32 v[92:93], v[92:93], v[122:123]
	v_mov_b32_e32 v119, v118
	v_pk_fma_f32 v[2:3], v[110:111], v[2:3], v[118:119] neg_lo:[1,0,0] neg_hi:[1,0,0]
	v_mov_b32_e32 v22, 0
	v_mov_b32_e32 v2, v115
	v_pk_add_f32 v[92:93], v[92:93], v[2:3]
	s_waitcnt lgkmcnt(0)
	v_and_b32_e32 v2, 0xf0f0f0f, v134
	v_dot4c_i32_i8_e32 v22, v2, v18
	v_and_b32_e32 v2, 0xf0f0f0f, v135
	v_dot4c_i32_i8_e32 v22, v2, v19
	v_add_u32_e32 v2, 0x2128, v47
	ds_read2_b32 v[2:3], v2 offset1:1
	v_add_u32_e32 v110, 0x2130, v47
	v_add_u32_e32 v114, 0x2138, v47
	;; [unrolled: 1-line block ×3, first 2 shown]
	ds_read2_b32 v[110:111], v110 offset1:1
	ds_read2_b32 v[114:115], v114 offset1:1
	ds_read2_b32 v[118:119], v118 offset1:1
	s_waitcnt lgkmcnt(3)
	v_and_b32_e32 v120, 0xf0f0f0f, v2
	v_dot4c_i32_i8_e32 v22, v120, v20
	v_and_b32_e32 v120, 0xf0f0f0f, v3
	v_dot4c_i32_i8_e32 v22, v120, v21
	s_waitcnt lgkmcnt(2)
	v_and_b32_e32 v120, 0xf0f0f0f, v110
	v_dot4c_i32_i8_e32 v22, v120, v14
	v_and_b32_e32 v120, 0xf0f0f0f, v111
	v_dot4c_i32_i8_e32 v22, v120, v15
	s_waitcnt lgkmcnt(1)
	v_and_b32_e32 v120, 0xf0f0f0f, v114
	v_dot4c_i32_i8_e32 v22, v120, v16
	v_and_b32_e32 v120, 0xf0f0f0f, v115
	v_lshrrev_b32_e32 v130, 24, v106
	v_dot4c_i32_i8_e32 v22, v120, v17
	v_bfe_u32 v106, v106, 16, 8
	v_lshrrev_b32_e32 v2, 4, v2
	v_and_b32_e32 v2, 0xf0f0f0f, v2
	v_mul_lo_u32 v22, v22, v106
	v_cvt_f32_i32_e32 v120, v22
	v_lshrrev_b32_e32 v22, 4, v134
	v_and_b32_e32 v22, 0xf0f0f0f, v22
	v_mov_b32_e32 v106, 0
	v_dot4c_i32_i8_e32 v106, v22, v10
	v_lshrrev_b32_e32 v22, 4, v135
	v_and_b32_e32 v22, 0xf0f0f0f, v22
	v_dot4c_i32_i8_e32 v106, v22, v11
	v_dot4c_i32_i8_e32 v106, v2, v12
	v_lshrrev_b32_e32 v2, 4, v3
	v_and_b32_e32 v2, 0xf0f0f0f, v2
	v_dot4c_i32_i8_e32 v106, v2, v13
	v_lshrrev_b32_e32 v2, 4, v110
	v_and_b32_e32 v2, 0xf0f0f0f, v2
	;; [unrolled: 3-line block ×5, first 2 shown]
	v_cvt_f32_f16_sdwa v3, v117 dst_sel:DWORD dst_unused:UNUSED_PAD src0_sel:WORD_1
	v_dot4c_i32_i8_e32 v106, v2, v9
	v_cvt_f32_ubyte2_e32 v121, v107
	v_cvt_f32_ubyte3_e32 v107, v107
	v_mul_f32_e32 v22, v116, v3
	v_mul_lo_u32 v2, v106, v130
	v_cvt_f32_i32_e32 v106, v2
	v_cvt_f32_f16_e32 v2, v117
	v_fma_mix_f32 v22, v129, v117, -v22 op_sel_hi:[0,1,0]
	v_add_f32_e32 v110, v23, v22
	v_pk_fma_f32 v[22:23], v[112:113], v[120:121], 0 op_sel_hi:[1,1,0]
	v_lshrrev_b32_e32 v152, 24, v108
	v_pk_fma_f32 v[22:23], v[4:5], v[106:107], v[22:23]
	v_add_u32_e32 v106, 0x31b8, v47
	v_pk_mul_f32 v[2:3], v[22:23], v[2:3]
	v_mov_b32_e32 v22, 0
	v_sub_f32_e32 v2, v2, v3
	v_add_f32_e32 v23, v110, v2
	s_waitcnt lgkmcnt(0)
	v_and_b32_e32 v2, 0xf0f0f0f, v118
	v_dot4c_i32_i8_e32 v22, v2, v18
	v_and_b32_e32 v2, 0xf0f0f0f, v119
	v_dot4c_i32_i8_e32 v22, v2, v19
	v_add_u32_e32 v2, 0x31a8, v47
	ds_read2_b32 v[2:3], v2 offset1:1
	v_add_u32_e32 v18, 0x31b0, v47
	ds_read2_b32 v[18:19], v18 offset1:1
	ds_read2_b32 v[106:107], v106 offset1:1
	s_cmp_ge_i32 s4, s5
	s_waitcnt lgkmcnt(0)
	v_and_b32_e32 v110, 0xf0f0f0f, v2
	v_dot4c_i32_i8_e32 v22, v110, v20
	v_and_b32_e32 v20, 0xf0f0f0f, v3
	v_dot4c_i32_i8_e32 v22, v20, v21
	;; [unrolled: 2-line block ×5, first 2 shown]
	v_and_b32_e32 v14, 0xf0f0f0f, v107
	v_lshrrev_b32_e32 v16, 4, v118
	v_dot4c_i32_i8_e32 v22, v14, v17
	v_and_b32_e32 v16, 0xf0f0f0f, v16
	v_mov_b32_e32 v17, 0
	v_dot4c_i32_i8_e32 v17, v16, v10
	v_lshrrev_b32_e32 v10, 4, v119
	v_and_b32_e32 v10, 0xf0f0f0f, v10
	v_lshrrev_b32_e32 v2, 4, v2
	v_dot4c_i32_i8_e32 v17, v10, v11
	v_and_b32_e32 v2, 0xf0f0f0f, v2
	v_dot4c_i32_i8_e32 v17, v2, v12
	v_lshrrev_b32_e32 v2, 4, v3
	v_and_b32_e32 v2, 0xf0f0f0f, v2
	v_dot4c_i32_i8_e32 v17, v2, v13
	v_lshrrev_b32_e32 v2, 4, v18
	;; [unrolled: 3-line block ×5, first 2 shown]
	v_bfe_u32 v14, v108, 16, 8
	v_and_b32_e32 v2, 0xf0f0f0f, v2
	v_cvt_f32_f16_sdwa v3, v25 dst_sel:DWORD dst_unused:UNUSED_PAD src0_sel:WORD_1
	v_mul_lo_u32 v14, v22, v14
	v_dot4c_i32_i8_e32 v17, v2, v9
	v_cvt_f32_i32_e32 v14, v14
	v_mul_f32_e32 v8, v141, v3
	v_cvt_f32_ubyte2_e32 v15, v109
	v_mul_lo_u32 v2, v17, v152
	v_cvt_f32_i32_e32 v6, v2
	v_cvt_f32_f16_e32 v2, v25
	v_fma_mix_f32 v8, v140, v25, -v8 op_sel_hi:[0,1,0]
	v_cvt_f32_ubyte3_e32 v7, v109
	v_add_f32_e32 v10, v27, v8
	v_pk_fma_f32 v[8:9], v[112:113], v[14:15], 0 op_sel_hi:[1,1,0]
	s_barrier
	v_pk_fma_f32 v[4:5], v[4:5], v[6:7], v[8:9]
	s_nop 0
	v_pk_mul_f32 v[2:3], v[4:5], v[2:3]
	s_nop 0
	v_sub_f32_e32 v2, v2, v3
	v_add_f32_e32 v27, v10, v2
	s_cbranch_scc1 .LBB192_5
; %bb.13:                               ;   in Loop: Header=BB192_6 Depth=1
	v_cmp_gt_i32_e64 s[2:3], s8, v51
	s_and_b64 s[12:13], s[0:1], s[2:3]
	s_and_saveexec_b64 s[2:3], s[12:13]
	s_cbranch_execz .LBB192_15
; %bb.14:                               ;   in Loop: Header=BB192_6 Depth=1
	v_add_u32_e32 v2, v60, v51
	v_mad_i64_i32 v[2:3], s[12:13], v2, 36, v[58:59]
	global_load_dword v2, v[2:3], off offset:4
	s_waitcnt vmcnt(0)
	ds_write_b32 v35, v2
.LBB192_15:                             ;   in Loop: Header=BB192_6 Depth=1
	s_or_b64 exec, exec, s[2:3]
	s_and_saveexec_b64 s[12:13], vcc
	s_cbranch_execz .LBB192_4
; %bb.16:                               ;   in Loop: Header=BB192_6 Depth=1
	v_add_u32_e32 v2, 4, v24
	v_cmp_gt_i32_e64 s[2:3], s8, v2
	s_and_b64 s[2:3], s[0:1], s[2:3]
	s_and_b64 exec, exec, s[2:3]
	s_cbranch_execz .LBB192_4
; %bb.17:                               ;   in Loop: Header=BB192_6 Depth=1
	v_ashrrev_i32_e32 v25, 31, v24
	v_lshl_add_u64 v[2:3], v[60:61], 0, v[24:25]
	v_mad_u64_u32 v[4:5], s[2:3], v2, 36, s[22:23]
	v_mad_i32_i24 v5, v3, 36, v5
	global_load_dword v2, v[4:5], off
	s_waitcnt vmcnt(0)
	ds_write_b32 v37, v2
	s_branch .LBB192_4
.LBB192_18:
	v_mov_b32_e32 v23, 0
	v_mov_b32_e32 v93, 0
	;; [unrolled: 1-line block ×3, first 2 shown]
.LBB192_19:
	s_mul_i32 s0, s10, s7
	s_waitcnt vmcnt(0)
	v_cmp_gt_i32_e32 vcc, s0, v1
	s_and_saveexec_b64 s[0:1], vcc
	s_cbranch_execz .LBB192_28
; %bb.20:
	v_and_b32_e32 v0, 0x3ff, v0
	v_add_u32_e32 v2, s11, v0
	v_mul_lo_u32 v0, v1, s9
	v_cmp_gt_u32_e32 vcc, s9, v2
	s_and_saveexec_b64 s[0:1], vcc
	s_cbranch_execz .LBB192_22
; %bb.21:
	v_add_u32_e32 v4, v0, v2
	v_mov_b32_e32 v5, 0
	v_lshl_add_u64 v[4:5], v[4:5], 2, s[16:17]
	global_store_dword v[4:5], v92, off
.LBB192_22:
	s_or_b64 exec, exec, s[0:1]
	v_add_u32_e32 v1, 32, v2
	v_cmp_gt_u32_e32 vcc, s9, v1
	s_and_saveexec_b64 s[0:1], vcc
	s_cbranch_execz .LBB192_24
; %bb.23:
	v_add_u32_e32 v4, v0, v1
	v_mov_b32_e32 v5, 0
	v_lshl_add_u64 v[4:5], v[4:5], 2, s[16:17]
	global_store_dword v[4:5], v93, off
.LBB192_24:
	s_or_b64 exec, exec, s[0:1]
	v_add_u32_e32 v1, 64, v2
	;; [unrolled: 11-line block ×3, first 2 shown]
	v_cmp_gt_u32_e32 vcc, s9, v1
	s_and_b64 exec, exec, vcc
	s_cbranch_execz .LBB192_28
; %bb.27:
	v_add_u32_e32 v0, v0, v1
	v_mov_b32_e32 v1, 0
	v_lshl_add_u64 v[0:1], v[0:1], 2, s[16:17]
	global_store_dword v[0:1], v27, off
.LBB192_28:
	s_endpgm
	.section	.rodata,"a",@progbits
	.p2align	6, 0x0
	.amdhsa_kernel _ZL8moe_q4_KIfLb1EEvPKvS1_PT_PKiS5_S5_iiiiiii
		.amdhsa_group_segment_fixed_size 20688
		.amdhsa_private_segment_fixed_size 0
		.amdhsa_kernarg_size 76
		.amdhsa_user_sgpr_count 2
		.amdhsa_user_sgpr_dispatch_ptr 0
		.amdhsa_user_sgpr_queue_ptr 0
		.amdhsa_user_sgpr_kernarg_segment_ptr 1
		.amdhsa_user_sgpr_dispatch_id 0
		.amdhsa_user_sgpr_kernarg_preload_length 0
		.amdhsa_user_sgpr_kernarg_preload_offset 0
		.amdhsa_user_sgpr_private_segment_size 0
		.amdhsa_uses_dynamic_stack 0
		.amdhsa_enable_private_segment 0
		.amdhsa_system_sgpr_workgroup_id_x 1
		.amdhsa_system_sgpr_workgroup_id_y 1
		.amdhsa_system_sgpr_workgroup_id_z 0
		.amdhsa_system_sgpr_workgroup_info 0
		.amdhsa_system_vgpr_workitem_id 1
		.amdhsa_next_free_vgpr 154
		.amdhsa_next_free_sgpr 32
		.amdhsa_accum_offset 156
		.amdhsa_reserve_vcc 1
		.amdhsa_float_round_mode_32 0
		.amdhsa_float_round_mode_16_64 0
		.amdhsa_float_denorm_mode_32 3
		.amdhsa_float_denorm_mode_16_64 3
		.amdhsa_dx10_clamp 1
		.amdhsa_ieee_mode 1
		.amdhsa_fp16_overflow 0
		.amdhsa_tg_split 0
		.amdhsa_exception_fp_ieee_invalid_op 0
		.amdhsa_exception_fp_denorm_src 0
		.amdhsa_exception_fp_ieee_div_zero 0
		.amdhsa_exception_fp_ieee_overflow 0
		.amdhsa_exception_fp_ieee_underflow 0
		.amdhsa_exception_fp_ieee_inexact 0
		.amdhsa_exception_int_div_zero 0
	.end_amdhsa_kernel
	.section	.text._ZL8moe_q4_KIfLb1EEvPKvS1_PT_PKiS5_S5_iiiiiii,"axG",@progbits,_ZL8moe_q4_KIfLb1EEvPKvS1_PT_PKiS5_S5_iiiiiii,comdat
.Lfunc_end192:
	.size	_ZL8moe_q4_KIfLb1EEvPKvS1_PT_PKiS5_S5_iiiiiii, .Lfunc_end192-_ZL8moe_q4_KIfLb1EEvPKvS1_PT_PKiS5_S5_iiiiiii
                                        ; -- End function
	.section	.AMDGPU.csdata,"",@progbits
; Kernel info:
; codeLenInByte = 10156
; NumSgprs: 38
; NumVgprs: 154
; NumAgprs: 0
; TotalNumVgprs: 154
; ScratchSize: 0
; MemoryBound: 0
; FloatMode: 240
; IeeeMode: 1
; LDSByteSize: 20688 bytes/workgroup (compile time only)
; SGPRBlocks: 4
; VGPRBlocks: 19
; NumSGPRsForWavesPerEU: 38
; NumVGPRsForWavesPerEU: 154
; AccumOffset: 156
; Occupancy: 3
; WaveLimiterHint : 1
; COMPUTE_PGM_RSRC2:SCRATCH_EN: 0
; COMPUTE_PGM_RSRC2:USER_SGPR: 2
; COMPUTE_PGM_RSRC2:TRAP_HANDLER: 0
; COMPUTE_PGM_RSRC2:TGID_X_EN: 1
; COMPUTE_PGM_RSRC2:TGID_Y_EN: 1
; COMPUTE_PGM_RSRC2:TGID_Z_EN: 0
; COMPUTE_PGM_RSRC2:TIDIG_COMP_CNT: 1
; COMPUTE_PGM_RSRC3_GFX90A:ACCUM_OFFSET: 38
; COMPUTE_PGM_RSRC3_GFX90A:TG_SPLIT: 0
	.section	.text._ZL8moe_q5_KIfLb0EEvPKvS1_PT_PKiS5_S5_iiiiiii,"axG",@progbits,_ZL8moe_q5_KIfLb0EEvPKvS1_PT_PKiS5_S5_iiiiiii,comdat
	.globl	_ZL8moe_q5_KIfLb0EEvPKvS1_PT_PKiS5_S5_iiiiiii ; -- Begin function _ZL8moe_q5_KIfLb0EEvPKvS1_PT_PKiS5_S5_iiiiiii
	.p2align	8
	.type	_ZL8moe_q5_KIfLb0EEvPKvS1_PT_PKiS5_S5_iiiiiii,@function
_ZL8moe_q5_KIfLb0EEvPKvS1_PT_PKiS5_S5_iiiiiii: ; @_ZL8moe_q5_KIfLb0EEvPKvS1_PT_PKiS5_S5_iiiiiii
; %bb.0:
	s_load_dwordx4 s[4:7], s[0:1], 0x18
	s_mov_b32 s8, s3
	s_mov_b32 s9, 0
	s_lshl_b64 s[10:11], s[8:9], 2
	s_waitcnt lgkmcnt(0)
	s_add_u32 s6, s6, s10
	s_addc_u32 s7, s7, s11
	s_load_dword s3, s[6:7], 0x0
	s_waitcnt lgkmcnt(0)
	s_cmpk_gt_u32 s3, 0xff
	s_cbranch_scc1 .LBB193_28
; %bb.1:
	s_load_dwordx2 s[6:7], s[0:1], 0x28
	s_waitcnt lgkmcnt(0)
	s_load_dword s7, s[6:7], 0x0
	s_lshl_b32 s6, s8, 3
	s_waitcnt lgkmcnt(0)
	s_cmp_gt_u32 s6, s7
	s_cbranch_scc1 .LBB193_28
; %bb.2:
	v_bfe_u32 v4, v0, 10, 10
	v_mov_b32_e32 v2, s4
	v_mov_b32_e32 v3, s5
	v_add_u32_e32 v92, s6, v4
	v_mov_b32_e32 v93, 0
	v_lshl_add_u64 v[2:3], v[92:93], 2, v[2:3]
	global_load_dword v1, v[2:3], off
	s_load_dwordx2 s[14:15], s[0:1], 0x30
	s_load_dwordx2 s[12:13], s[0:1], 0x10
	s_load_dwordx4 s[4:7], s[0:1], 0x3c
	s_lshl_b32 s24, s2, 7
	s_mov_b32 s20, 0
	s_waitcnt lgkmcnt(0)
	s_cmpk_lt_i32 s15, 0x100
	s_cbranch_scc1 .LBB193_18
; %bb.3:
	s_load_dwordx4 s[8:11], s[0:1], 0x0
	s_ashr_i32 s0, s15, 31
	s_lshr_b32 s0, s0, 24
	s_add_i32 s0, s15, s0
	s_ashr_i32 s25, s0, 8
	s_ashr_i32 s0, s5, 31
	s_lshr_b32 s0, s0, 27
	v_and_b32_e32 v24, 0x3ff, v0
	s_add_i32 s0, s5, s0
	v_lshlrev_b32_e32 v6, 1, v24
	v_and_b32_e32 v9, 7, v24
	s_ashr_i32 s5, s0, 5
	v_and_or_b32 v6, v6, 48, v9
	v_mul_u32_u24_e32 v10, 0x41, v4
	s_lshl_b32 s0, s25, 3
	v_add_lshl_u32 v119, v6, v10, 2
	v_mov_b32_e32 v6, s0
	v_mad_i32_i24 v12, s25, v4, v6
	v_add_u32_e32 v13, s0, v12
	v_add_u32_e32 v14, s0, v13
	;; [unrolled: 1-line block ×10, first 2 shown]
	v_lshlrev_b32_e32 v6, 5, v4
	v_add_u32_e32 v78, s0, v25
	v_add_u32_e32 v10, v6, v24
	;; [unrolled: 1-line block ×3, first 2 shown]
	v_and_b32_e32 v11, 0x7f, v10
	v_lshrrev_b32_e32 v26, 3, v10
	v_add_u32_e32 v86, s0, v82
	v_mul_i32_i24_e32 v93, s25, v11
	v_and_b32_e32 v26, 12, v26
	v_lshlrev_b32_e32 v11, 2, v11
	s_mov_b32 s0, 0x8e40
	v_and_b32_e32 v27, 3, v24
	v_lshrrev_b32_e32 v8, 2, v24
	v_add3_u32 v135, v11, v26, s0
	v_lshlrev_b32_e32 v11, 3, v4
	v_add_u32_e32 v28, 0xfe, v27
	v_cmp_gt_u32_e32 vcc, 2, v27
	v_and_b32_e32 v92, 6, v8
	v_add_u32_e32 v26, v8, v11
	v_cndmask_b32_e32 v28, v28, v27, vcc
	v_add_u16_e32 v8, v8, v11
	s_mul_i32 s16, s3, s14
	v_and_b32_e32 v28, 0xff, v28
	v_cmp_ne_u32_e32 vcc, 0, v27
	v_cmp_lt_u32_e64 s[2:3], 1, v27
	v_and_b32_e32 v26, 0x7f, v26
	v_lshlrev_b32_e32 v27, 2, v27
	v_lshrrev_b16_e32 v8, 1, v8
	v_addc_co_u32_e32 v94, vcc, 0, v28, vcc
	v_lshlrev_b32_e32 v137, 1, v28
	v_lshl_or_b32 v28, v26, 4, v27
	v_and_b32_e32 v8, 60, v8
	s_mov_b32 s1, 0x8200
	v_add3_u32 v138, v28, v8, s1
	v_xor_b32_e32 v8, 64, v26
	v_mul_i32_i24_e32 v104, s25, v8
	v_lshl_or_b32 v11, v8, 4, v27
	v_lshrrev_b32_e32 v8, 1, v8
	v_and_b32_e32 v8, 60, v8
	v_add3_u32 v139, v11, v8, s1
	v_and_or_b32 v6, v24, 31, v6
	v_mov_b32_e32 v8, 0x8a40
	s_movk_i32 s1, 0xffe4
	v_lshlrev_b32_e32 v7, 2, v24
	v_lshl_add_u32 v140, v6, 2, v8
	v_mad_i32_i24 v6, v4, s1, v10
	v_mov_b32_e32 v10, 0x9050
	v_lshrrev_b32_e32 v142, 3, v24
	v_lshrrev_b32_e32 v5, 5, v24
	v_lshl_add_u32 v141, v6, 2, v10
	v_lshl_add_u32 v143, v4, 7, v8
	v_add_u32_e32 v6, v142, v7
	v_mov_b32_e32 v8, 0x8200
	v_lshl_add_u32 v145, v6, 2, v8
	v_lshlrev_b32_e32 v6, 2, v5
	v_add3_u32 v147, v6, v7, s0
	v_add_u32_e32 v6, 32, v24
	v_lshrrev_b32_e32 v148, 3, v6
	v_lshl_add_u32 v6, v6, 2, v148
	v_lshl_add_u32 v149, v6, 2, v8
	v_and_b32_e32 v6, 60, v148
	v_add3_u32 v150, v7, v6, s0
	v_add_u32_e32 v6, 64, v24
	v_lshrrev_b32_e32 v10, 3, v6
	v_lshl_add_u32 v6, v6, 2, v10
	s_abs_i32 s18, s7
	v_lshl_add_u32 v151, v6, 2, v8
	v_and_b32_e32 v6, 60, v10
	v_cvt_f32_u32_e32 v11, s18
	v_add3_u32 v152, v7, v6, s0
	v_add_u32_e32 v6, 0x60, v24
	v_lshrrev_b32_e32 v10, 3, v6
	v_lshl_add_u32 v6, v6, 2, v10
	v_lshl_add_u32 v153, v6, 2, v8
	v_rcp_iflag_f32_e32 v8, v11
	v_and_b32_e32 v6, 60, v10
	v_and_b32_e32 v22, 0x7c, v7
	;; [unrolled: 1-line block ×4, first 2 shown]
	v_add3_u32 v154, v7, v6, s0
	v_mul_f32_e32 v7, 0x4f7ffffe, v8
	v_cvt_u32_f32_e32 v7, v7
	s_sub_i32 s0, 0, s18
	s_waitcnt vmcnt(0)
	v_sub_u32_e32 v8, 0, v1
	v_max_i32_e32 v8, v1, v8
	v_mul_lo_u32 v10, s0, v7
	v_mul_hi_u32 v10, v7, v10
	v_add_u32_e32 v7, v7, v10
	v_mul_hi_u32 v7, v8, v7
	v_mul_lo_u32 v10, v7, s18
	v_sub_u32_e32 v8, v8, v10
	v_add_u32_e32 v10, 1, v7
	v_cmp_le_u32_e64 s[0:1], s18, v8
	v_xor_b32_e32 v6, s7, v1
	v_ashrrev_i32_e32 v6, 31, v6
	v_cndmask_b32_e64 v7, v7, v10, s[0:1]
	v_subrev_u32_e32 v10, s18, v8
	v_cndmask_b32_e64 v8, v8, v10, s[0:1]
	v_add_u32_e32 v10, 1, v7
	v_cmp_le_u32_e64 s[0:1], s18, v8
	s_mul_i32 s14, s25, s24
	s_mul_hi_i32 s23, s14, 0xb0
	v_cndmask_b32_e64 v7, v7, v10, s[0:1]
	v_xor_b32_e32 v7, v7, v6
	v_sub_u32_e32 v6, v7, v6
	s_mul_i32 s22, s14, 0xb0
	v_cmp_gt_i32_e64 s[0:1], s4, v6
	v_mul_lo_u32 v28, v6, s5
	s_movk_i32 s21, 0xb0
	v_mov_b64_e32 v[6:7], s[22:23]
	v_mov_b32_e32 v23, 0
	v_mul_i32_i24_e32 v9, s25, v4
	v_mad_u64_u32 v[6:7], s[26:27], v5, s21, v[6:7]
	v_mov_b32_e32 v3, v23
	v_mad_u64_u32 v[8:9], s[26:27], v9, s21, v[6:7]
	v_lshl_add_u64 v[10:11], v[8:9], 0, v[2:3]
	v_lshl_add_u64 v[8:9], v[8:9], 0, v[22:23]
	s_waitcnt lgkmcnt(0)
	v_lshl_add_u64 v[8:9], v[8:9], 0, s[8:9]
	v_lshl_add_u64 v[10:11], v[10:11], 0, s[8:9]
	v_lshl_add_u64 v[32:33], v[8:9], 0, 48
	v_mad_u64_u32 v[8:9], s[26:27], v12, s21, v[6:7]
	v_lshl_add_u64 v[30:31], v[10:11], 0, 16
	v_lshl_add_u64 v[10:11], v[8:9], 0, v[2:3]
	v_lshl_add_u64 v[8:9], v[8:9], 0, v[22:23]
	v_lshl_add_u64 v[8:9], v[8:9], 0, s[8:9]
	v_lshl_add_u64 v[10:11], v[10:11], 0, s[8:9]
	v_lshl_add_u64 v[36:37], v[8:9], 0, 48
	v_mad_u64_u32 v[8:9], s[26:27], v13, s21, v[6:7]
	v_lshl_add_u64 v[34:35], v[10:11], 0, 16
	v_lshl_add_u64 v[10:11], v[8:9], 0, v[2:3]
	v_lshl_add_u64 v[8:9], v[8:9], 0, v[22:23]
	;; [unrolled: 7-line block ×13, first 2 shown]
	v_lshl_add_u64 v[8:9], v[8:9], 0, s[8:9]
	v_lshl_add_u64 v[84:85], v[8:9], 0, 48
	v_mad_u64_u32 v[8:9], s[26:27], v86, s21, v[6:7]
	s_mul_i32 s26, s25, 0x78
	s_nop 0
	v_mov_b32_e32 v5, s26
	v_lshlrev_b32_e32 v144, 4, v4
	v_mad_i32_i24 v4, s25, v4, v5
	s_ashr_i32 s17, s16, 31
	v_lshl_add_u64 v[10:11], v[10:11], 0, s[8:9]
	v_mad_u64_u32 v[4:5], s[26:27], v4, s21, v[6:7]
	v_mul_i32_i24_e32 v95, s25, v26
	v_lshl_add_u64 v[26:27], s[10:11], 0, v[2:3]
	s_add_u32 s18, s10, 0x90
	v_lshl_add_u64 v[82:83], v[10:11], 0, 16
	v_lshl_add_u64 v[10:11], v[8:9], 0, v[2:3]
	;; [unrolled: 1-line block ×3, first 2 shown]
	s_addc_u32 s19, s11, 0
	v_lshl_add_u64 v[2:3], v[2:3], 0, s[8:9]
	v_lshl_add_u64 v[90:91], v[2:3], 0, 16
	;; [unrolled: 1-line block ×3, first 2 shown]
	s_add_u32 s22, s8, s22
	v_lshl_add_u64 v[2:3], v[2:3], 0, s[8:9]
	s_addc_u32 s23, s9, s23
	v_lshl_add_u64 v[96:97], v[2:3], 0, 48
	v_mov_b64_e32 v[2:3], s[22:23]
	v_mad_u64_u32 v[98:99], s[22:23], v93, s21, v[2:3]
	v_mad_u64_u32 v[2:3], s[22:23], v95, s21, 0
	v_mov_b32_e32 v6, 0xb0
	v_lshl_add_u64 v[8:9], v[8:9], 0, v[22:23]
	v_mad_i64_i32 v[2:3], s[22:23], s14, v6, v[2:3]
	v_lshlrev_b32_e32 v22, 2, v94
	v_lshl_add_u64 v[4:5], v[2:3], 0, v[22:23]
	v_lshl_add_u64 v[4:5], v[4:5], 0, s[8:9]
	;; [unrolled: 1-line block ×3, first 2 shown]
	v_cndmask_b32_e64 v4, 0, 1, s[2:3]
	v_lshlrev_b32_e32 v7, 2, v4
	v_or_b32_e32 v2, v2, v7
	v_lshl_add_u64 v[2:3], v[2:3], 0, s[8:9]
	v_cndmask_b32_e64 v136, 0, v29, s[2:3]
	v_lshl_add_u64 v[102:103], v[2:3], 0, 4
	v_mad_u64_u32 v[2:3], s[2:3], v104, s21, 0
	v_mad_i64_i32 v[2:3], s[2:3], s14, v6, v[2:3]
	v_lshl_add_u64 v[4:5], v[2:3], 0, v[22:23]
	v_or_b32_e32 v2, v2, v7
	v_lshl_add_u64 v[10:11], v[10:11], 0, s[8:9]
	v_lshl_add_u64 v[8:9], v[8:9], 0, s[8:9]
	v_lshl_add_u64 v[4:5], v[4:5], 0, s[8:9]
	v_lshl_add_u64 v[2:3], v[2:3], 0, s[8:9]
	s_mov_b32 s21, s20
	v_or_b32_e32 v118, 1, v92
	v_add_u32_e32 v120, 0x820, v119
	v_add_u32_e32 v121, 0x1040, v119
	;; [unrolled: 1-line block ×15, first 2 shown]
	v_cmp_gt_u32_e32 vcc, 4, v24
	v_mul_u32_u24_e32 v146, 0x104, v24
	v_ashrrev_i32_e32 v29, 31, v28
	v_lshl_add_u64 v[86:87], v[10:11], 0, 16
	v_lshl_add_u64 v[88:89], v[8:9], 0, 48
	;; [unrolled: 1-line block ×4, first 2 shown]
	s_movk_i32 s14, 0x80
	v_mov_b64_e32 v[94:95], s[20:21]
	s_mov_b32 s22, 0x10101010
	s_mov_b32 s23, 0x30303030
	s_mov_b64 s[8:9], 0xb0
	v_mov_b32_e32 v93, v23
	s_branch .LBB193_6
.LBB193_4:                              ;   in Loop: Header=BB193_6 Depth=1
	s_or_b64 exec, exec, s[20:21]
	s_waitcnt lgkmcnt(0)
	s_barrier
	ds_read_b128 v[18:21], v143
	ds_read_b128 v[14:17], v143 offset:16
	ds_read_b128 v[2:5], v144 offset:36944
	ds_read2_b32 v[108:109], v146 offset0:32 offset1:33
	ds_read_b128 v[10:13], v143 offset:32
	ds_read_b128 v[6:9], v143 offset:48
	ds_read_b32 v22, v147
	ds_read2_b32 v[110:111], v146 offset0:34 offset1:35
	v_mov_b32_e32 v25, 0
	s_waitcnt lgkmcnt(4)
	v_dot4c_i32_i8_e32 v25, v108, v18
	v_dot4c_i32_i8_e32 v25, v109, v19
	ds_read2_b32 v[112:113], v146 offset0:36 offset1:37
	ds_read2_b32 v[114:115], v146 offset0:38 offset1:39
	;; [unrolled: 1-line block ×3, first 2 shown]
	s_waitcnt lgkmcnt(3)
	v_dot4c_i32_i8_e32 v25, v110, v20
	v_dot4c_i32_i8_e32 v25, v111, v21
	ds_read2_b32 v[110:111], v146 offset0:42 offset1:43
	v_mov_b32_e32 v163, 0
	s_waitcnt lgkmcnt(3)
	v_dot4c_i32_i8_e32 v25, v112, v14
	s_waitcnt lgkmcnt(1)
	v_dot4c_i32_i8_e32 v163, v116, v10
	v_dot4c_i32_i8_e32 v25, v113, v15
	;; [unrolled: 1-line block ×4, first 2 shown]
	s_waitcnt lgkmcnt(0)
	v_dot4c_i32_i8_e32 v163, v110, v12
	v_cvt_f32_f16_e32 v162, v22
	v_cvt_f32_f16_sdwa v164, v22 dst_sel:DWORD dst_unused:UNUSED_PAD src0_sel:WORD_1
	v_add_u32_e32 v22, 0x2100, v146
	ds_read2_b32 v[108:109], v145 offset0:1 offset1:3
	v_dot4c_i32_i8_e32 v25, v115, v17
	ds_read2_b32 v[112:113], v146 offset0:44 offset1:45
	ds_read2_b32 v[114:115], v146 offset0:46 offset1:47
	;; [unrolled: 1-line block ×3, first 2 shown]
	v_dot4c_i32_i8_e32 v163, v111, v13
	ds_read2_b32 v[156:157], v146 offset0:58 offset1:59
	ds_read2_b32 v[158:159], v146 offset0:60 offset1:61
	ds_read2_b32 v[160:161], v146 offset0:62 offset1:63
	ds_read2_b32 v[110:111], v22 offset1:1
	v_mov_b32_e32 v165, 0
	ds_read_b32 v174, v150 offset:128
	ds_read_b32 v175, v152 offset:256
	;; [unrolled: 1-line block ×3, first 2 shown]
	s_waitcnt lgkmcnt(9)
	v_dot4c_i32_i8_e32 v163, v112, v6
	v_dot4c_i32_i8_e32 v163, v113, v7
	s_waitcnt lgkmcnt(3)
	v_dot4c_i32_i8_e32 v165, v110, v18
	v_add_u32_e32 v110, 0x2108, v146
	v_dot4c_i32_i8_e32 v165, v111, v19
	ds_read2_b32 v[110:111], v110 offset1:1
	v_dot4c_i32_i8_e32 v163, v114, v8
	v_add_u32_e32 v112, 0x2110, v146
	v_dot4c_i32_i8_e32 v163, v115, v9
	v_add_u32_e32 v114, 0x2118, v146
	v_add_u32_e32 v115, 0x2120, v146
	ds_read2_b32 v[112:113], v112 offset1:1
	ds_read2_b32 v[166:167], v114 offset1:1
	;; [unrolled: 1-line block ×3, first 2 shown]
	s_waitcnt lgkmcnt(3)
	v_dot4c_i32_i8_e32 v165, v110, v20
	ds_read2_b32 v[114:115], v149 offset0:1 offset1:3
	v_dot4c_i32_i8_e32 v165, v111, v21
	s_waitcnt lgkmcnt(3)
	v_dot4c_i32_i8_e32 v165, v112, v14
	v_dot4c_i32_i8_e32 v165, v113, v15
	s_waitcnt lgkmcnt(2)
	v_dot4c_i32_i8_e32 v165, v166, v16
	v_dot4c_i32_i8_e32 v165, v167, v17
	s_waitcnt lgkmcnt(0)
	v_and_b32_e32 v110, 0xff, v114
	v_mov_b32_e32 v170, 0
	v_dot4c_i32_i8_e32 v170, v168, v10
	v_mul_lo_u32 v110, v165, v110
	v_cvt_f32_i32_e32 v165, v110
	v_add_u32_e32 v110, 0x2128, v146
	ds_read2_b32 v[110:111], v110 offset1:1
	v_add_u32_e32 v112, 0x2130, v146
	v_add_u32_e32 v166, 0x2138, v146
	;; [unrolled: 1-line block ×3, first 2 shown]
	v_dot4c_i32_i8_e32 v170, v169, v11
	ds_read2_b32 v[112:113], v112 offset1:1
	ds_read2_b32 v[166:167], v166 offset1:1
	;; [unrolled: 1-line block ×3, first 2 shown]
	s_waitcnt lgkmcnt(3)
	v_dot4c_i32_i8_e32 v170, v110, v12
	v_dot4c_i32_i8_e32 v170, v111, v13
	s_waitcnt lgkmcnt(2)
	v_dot4c_i32_i8_e32 v170, v112, v6
	v_dot4c_i32_i8_e32 v170, v113, v7
	;; [unrolled: 3-line block ×3, first 2 shown]
	v_bfe_u32 v110, v114, 8, 8
	v_mov_b32_e32 v172, 0
	s_waitcnt lgkmcnt(0)
	v_dot4c_i32_i8_e32 v172, v168, v18
	v_mul_lo_u32 v110, v170, v110
	v_cvt_f32_i32_e32 v178, v110
	v_add_u32_e32 v110, 0x4188, v146
	ds_read2_b32 v[110:111], v110 offset1:1
	v_add_u32_e32 v112, 0x4190, v146
	v_add_u32_e32 v170, 0x41a0, v146
	v_dot4c_i32_i8_e32 v172, v169, v19
	v_add_u32_e32 v113, 0x4198, v146
	ds_read2_b32 v[166:167], v112 offset1:1
	ds_read2_b32 v[168:169], v113 offset1:1
	;; [unrolled: 1-line block ×3, first 2 shown]
	s_waitcnt lgkmcnt(3)
	v_dot4c_i32_i8_e32 v172, v110, v20
	ds_read2_b32 v[112:113], v151 offset0:1 offset1:3
	v_dot4c_i32_i8_e32 v172, v111, v21
	s_waitcnt lgkmcnt(3)
	v_dot4c_i32_i8_e32 v172, v166, v14
	v_dot4c_i32_i8_e32 v172, v167, v15
	s_waitcnt lgkmcnt(2)
	v_dot4c_i32_i8_e32 v172, v168, v16
	v_dot4c_i32_i8_e32 v172, v169, v17
	s_waitcnt lgkmcnt(0)
	v_and_b32_e32 v110, 0xff, v112
	v_add_u32_e32 v166, 0x41b0, v146
	v_add_u32_e32 v168, 0x41b8, v146
	v_mul_lo_u32 v110, v172, v110
	v_cvt_f32_i32_e32 v181, v110
	v_add_u32_e32 v110, 0x41a8, v146
	ds_read2_b32 v[110:111], v110 offset1:1
	v_mov_b32_e32 v172, 0
	v_dot4c_i32_i8_e32 v172, v170, v10
	v_add_u32_e32 v170, 0x6200, v146
	v_dot4c_i32_i8_e32 v172, v171, v11
	ds_read2_b32 v[166:167], v166 offset1:1
	ds_read2_b32 v[168:169], v168 offset1:1
	;; [unrolled: 1-line block ×3, first 2 shown]
	s_waitcnt lgkmcnt(3)
	v_dot4c_i32_i8_e32 v172, v110, v12
	v_dot4c_i32_i8_e32 v172, v111, v13
	s_waitcnt lgkmcnt(2)
	v_dot4c_i32_i8_e32 v172, v166, v6
	v_dot4c_i32_i8_e32 v172, v167, v7
	;; [unrolled: 3-line block ×3, first 2 shown]
	v_bfe_u32 v110, v112, 8, 8
	v_add_u32_e32 v111, 0x6218, v146
	v_mov_b32_e32 v190, 0
	v_mul_lo_u32 v110, v172, v110
	v_mov_b32_e32 v172, 0
	s_waitcnt lgkmcnt(0)
	v_dot4c_i32_i8_e32 v172, v170, v18
	v_add_u32_e32 v18, 0x6208, v146
	v_dot4c_i32_i8_e32 v172, v171, v19
	ds_read2_b32 v[18:19], v18 offset1:1
	v_cvt_f32_i32_e32 v183, v110
	v_add_u32_e32 v110, 0x6210, v146
	v_add_u32_e32 v170, 0x6220, v146
	ds_read2_b32 v[166:167], v110 offset1:1
	ds_read2_b32 v[168:169], v111 offset1:1
	;; [unrolled: 1-line block ×3, first 2 shown]
	s_waitcnt lgkmcnt(3)
	v_dot4c_i32_i8_e32 v172, v18, v20
	ds_read2_b32 v[110:111], v153 offset0:1 offset1:3
	v_dot4c_i32_i8_e32 v172, v19, v21
	s_waitcnt lgkmcnt(3)
	v_dot4c_i32_i8_e32 v172, v166, v14
	v_mov_b32_e32 v18, 0
	v_dot4c_i32_i8_e32 v172, v167, v15
	s_waitcnt lgkmcnt(1)
	v_dot4c_i32_i8_e32 v18, v170, v10
	v_add_u32_e32 v10, 0x6228, v146
	v_dot4c_i32_i8_e32 v172, v168, v16
	v_dot4c_i32_i8_e32 v18, v171, v11
	ds_read2_b32 v[10:11], v10 offset1:1
	v_dot4c_i32_i8_e32 v172, v169, v17
	s_waitcnt lgkmcnt(1)
	v_and_b32_e32 v14, 0xff, v110
	v_add_u32_e32 v16, 0x6238, v146
	v_add_u32_e32 v19, 0x2140, v146
	v_mul_lo_u32 v14, v172, v14
	v_cvt_f32_i32_e32 v186, v14
	v_add_u32_e32 v14, 0x6230, v146
	ds_read2_b32 v[14:15], v14 offset1:1
	ds_read2_b32 v[16:17], v16 offset1:1
	;; [unrolled: 1-line block ×3, first 2 shown]
	s_waitcnt lgkmcnt(3)
	v_dot4c_i32_i8_e32 v18, v10, v12
	v_dot4c_i32_i8_e32 v18, v11, v13
	s_waitcnt lgkmcnt(2)
	v_dot4c_i32_i8_e32 v18, v14, v6
	v_dot4c_i32_i8_e32 v18, v15, v7
	;; [unrolled: 3-line block ×3, first 2 shown]
	v_bfe_u32 v6, v110, 8, 8
	v_lshrrev_b32_e32 v155, 24, v108
	v_cvt_f32_ubyte0_e32 v177, v115
	v_mul_lo_u32 v6, v18, v6
	v_cvt_f32_i32_e32 v188, v6
	ds_read_b128 v[18:21], v143 offset:64
	ds_read_b128 v[14:17], v143 offset:80
	;; [unrolled: 1-line block ×4, first 2 shown]
	ds_read2_b32 v[168:169], v146 offset0:50 offset1:51
	s_waitcnt lgkmcnt(4)
	v_dot4c_i32_i8_e32 v190, v116, v18
	v_dot4c_i32_i8_e32 v190, v117, v19
	ds_read2_b32 v[116:117], v146 offset0:52 offset1:53
	ds_read2_b32 v[170:171], v146 offset0:54 offset1:55
	;; [unrolled: 1-line block ×3, first 2 shown]
	v_cvt_f32_ubyte0_e32 v182, v113
	s_waitcnt lgkmcnt(3)
	v_dot4c_i32_i8_e32 v190, v168, v20
	v_mov_b32_e32 v168, 0
	v_dot4c_i32_i8_e32 v190, v169, v21
	s_waitcnt lgkmcnt(0)
	v_dot4c_i32_i8_e32 v168, v172, v10
	v_dot4c_i32_i8_e32 v168, v173, v11
	;; [unrolled: 1-line block ×10, first 2 shown]
	v_cvt_f32_f16_e32 v157, v4
	v_cvt_f32_f16_sdwa v117, v4 dst_sel:DWORD dst_unused:UNUSED_PAD src0_sel:WORD_1
	v_and_b32_e32 v4, 0xff, v108
	v_bfe_u32 v158, v108, 16, 8
	v_dot4c_i32_i8_e32 v168, v160, v8
	v_mul_lo_u32 v4, v25, v4
	v_mul_lo_u32 v25, v190, v158
	v_dot4c_i32_i8_e32 v168, v161, v9
	v_cvt_f32_i32_e32 v161, v25
	v_bfe_u32 v25, v108, 8, 8
	v_cvt_f32_f16_e32 v156, v2
	v_cvt_f32_i32_e32 v160, v4
	v_mul_lo_u32 v25, v163, v25
	v_mul_lo_u32 v108, v168, v155
	v_cvt_f32_f16_sdwa v116, v2 dst_sel:DWORD dst_unused:UNUSED_PAD src0_sel:WORD_1
	v_cvt_f32_f16_e32 v159, v5
	v_cvt_f32_f16_e32 v158, v3
	v_cvt_f32_i32_e32 v169, v108
	v_cvt_f32_i32_e32 v168, v25
	v_cvt_f32_f16_sdwa v5, v5 dst_sel:DWORD dst_unused:UNUSED_PAD src0_sel:WORD_1
	v_cvt_f32_f16_sdwa v4, v3 dst_sel:DWORD dst_unused:UNUSED_PAD src0_sel:WORD_1
	v_pk_fma_f32 v[160:161], v[156:157], v[160:161], 0 op_sel_hi:[1,1,0]
	v_cvt_f32_ubyte2_e32 v171, v109
	v_cvt_f32_ubyte0_e32 v170, v109
	v_cvt_f32_ubyte0_e32 v187, v111
	v_pk_fma_f32 v[170:171], v[116:117], v[170:171], 0 op_sel_hi:[1,1,0]
	v_pk_fma_f32 v[160:161], v[158:159], v[168:169], v[160:161]
	v_cvt_f32_ubyte3_e32 v169, v109
	v_cvt_f32_ubyte1_e32 v168, v109
	v_fma_mix_f32 v116, v2, v181, 0 op_sel_hi:[1,0,0]
	v_cvt_f32_ubyte1_e32 v189, v111
	v_pk_fma_f32 v[108:109], v[4:5], v[168:169], v[170:171]
	v_fma_mix_f32 v4, v2, v165, 0 op_sel_hi:[1,0,0]
	v_fma_mix_f32 v25, v2, v177, 0 op_sel:[1,0,0] op_sel_hi:[1,0,0]
	v_fma_mix_f32 v155, v2, v182, 0 op_sel:[1,0,0] op_sel_hi:[1,0,0]
	v_fma_mix_f32 v168, v3, v183, v116 op_sel_hi:[1,0,0]
	v_fma_mix_f32 v116, v2, v186, 0 op_sel_hi:[1,0,0]
	v_fma_mix_f32 v2, v2, v187, 0 op_sel:[1,0,0] op_sel_hi:[1,0,0]
	v_cvt_f32_ubyte1_e32 v179, v115
	v_cvt_f32_ubyte1_e32 v184, v113
	v_fma_mix_f32 v170, v3, v189, v2 op_sel:[1,0,0] op_sel_hi:[1,0,0]
	v_add_u32_e32 v2, 0x2148, v146
	v_fma_mix_f32 v4, v3, v178, v4 op_sel_hi:[1,0,0]
	v_fma_mix_f32 v25, v3, v179, v25 op_sel:[1,0,0] op_sel_hi:[1,0,0]
	v_fma_mix_f32 v155, v3, v184, v155 op_sel:[1,0,0] op_sel_hi:[1,0,0]
	v_fma_mix_f32 v169, v3, v188, v116 op_sel_hi:[1,0,0]
	ds_read2_b32 v[2:3], v2 offset1:1
	v_mov_b32_e32 v116, 0
	v_pk_mul_f32 v[108:109], v[108:109], v[164:165] op_sel_hi:[1,0]
	v_dot4c_i32_i8_e32 v116, v166, v18
	v_add_u32_e32 v156, 0x2150, v146
	v_add_u32_e32 v164, 0x2160, v146
	v_pk_fma_f32 v[108:109], v[160:161], v[162:163], v[108:109] op_sel_hi:[1,0,1] neg_lo:[0,0,1] neg_hi:[0,0,1]
	v_dot4c_i32_i8_e32 v116, v167, v19
	v_add_u32_e32 v158, 0x2158, v146
	ds_read2_b32 v[160:161], v156 offset1:1
	ds_read2_b32 v[162:163], v158 offset1:1
	;; [unrolled: 1-line block ×3, first 2 shown]
	s_waitcnt lgkmcnt(3)
	v_dot4c_i32_i8_e32 v116, v2, v20
	v_dot4c_i32_i8_e32 v116, v3, v21
	s_waitcnt lgkmcnt(2)
	v_dot4c_i32_i8_e32 v116, v160, v14
	v_dot4c_i32_i8_e32 v116, v161, v15
	;; [unrolled: 3-line block ×3, first 2 shown]
	v_bfe_u32 v2, v114, 16, 8
	v_lshrrev_b32_e32 v176, 24, v114
	v_mov_b32_e32 v114, 0
	v_mul_lo_u32 v2, v116, v2
	v_add_u32_e32 v116, 0x2168, v146
	ds_read2_b32 v[160:161], v116 offset1:1
	s_waitcnt lgkmcnt(1)
	v_dot4c_i32_i8_e32 v114, v164, v10
	v_add_u32_e32 v156, 0x2170, v146
	v_dot4c_i32_i8_e32 v114, v165, v11
	v_add_u32_e32 v158, 0x2178, v146
	v_add_u32_e32 v116, 0x41c0, v146
	ds_read2_b32 v[162:163], v156 offset1:1
	ds_read2_b32 v[164:165], v158 offset1:1
	;; [unrolled: 1-line block ×3, first 2 shown]
	s_waitcnt lgkmcnt(3)
	v_dot4c_i32_i8_e32 v114, v160, v12
	v_dot4c_i32_i8_e32 v114, v161, v13
	s_waitcnt lgkmcnt(2)
	v_dot4c_i32_i8_e32 v114, v162, v6
	v_dot4c_i32_i8_e32 v114, v163, v7
	;; [unrolled: 3-line block ×3, first 2 shown]
	v_cvt_f32_f16_sdwa v161, v174 dst_sel:DWORD dst_unused:UNUSED_PAD src0_sel:WORD_1
	v_cvt_f32_i32_e32 v2, v2
	v_cvt_f32_f16_e32 v160, v174
	v_mul_lo_u32 v114, v114, v176
	v_cvt_f32_i32_e32 v114, v114
	v_cvt_f32_ubyte2_e32 v3, v115
	v_mul_f32_e32 v25, v25, v161
	v_mov_b32_e32 v116, v157
	v_cvt_f32_ubyte3_e32 v115, v115
	v_fma_mix_f32 v163, v4, v174, -v25 op_sel_hi:[0,1,0]
	v_pk_fma_f32 v[2:3], v[116:117], v[2:3], 0 op_sel_hi:[1,1,0]
	v_mov_b32_e32 v4, v159
	v_pk_fma_f32 v[2:3], v[4:5], v[114:115], v[2:3]
	v_mov_b32_e32 v162, v108
	v_pk_mul_f32 v[114:115], v[2:3], v[160:161]
	v_pk_add_f32 v[94:95], v[94:95], v[162:163]
	v_mov_b32_e32 v25, v114
	v_pk_fma_f32 v[2:3], v[2:3], v[160:161], v[24:25] neg_lo:[1,0,0] neg_hi:[1,0,0]
	v_mov_b32_e32 v25, 0
	v_mov_b32_e32 v2, v109
	v_pk_add_f32 v[94:95], v[94:95], v[2:3]
	v_add_u32_e32 v2, 0x41c8, v146
	ds_read2_b32 v[2:3], v2 offset1:1
	s_waitcnt lgkmcnt(1)
	v_dot4c_i32_i8_e32 v25, v166, v18
	v_add_u32_e32 v108, 0x41d0, v146
	v_add_u32_e32 v114, 0x41d8, v146
	;; [unrolled: 1-line block ×3, first 2 shown]
	v_dot4c_i32_i8_e32 v25, v167, v19
	ds_read2_b32 v[108:109], v108 offset1:1
	ds_read2_b32 v[114:115], v114 offset1:1
	;; [unrolled: 1-line block ×3, first 2 shown]
	s_waitcnt lgkmcnt(3)
	v_dot4c_i32_i8_e32 v25, v2, v20
	v_dot4c_i32_i8_e32 v25, v3, v21
	s_waitcnt lgkmcnt(2)
	v_dot4c_i32_i8_e32 v25, v108, v14
	v_dot4c_i32_i8_e32 v25, v109, v15
	v_add_u32_e32 v108, 0x41e8, v146
	s_waitcnt lgkmcnt(1)
	v_dot4c_i32_i8_e32 v25, v114, v16
	ds_read2_b32 v[108:109], v108 offset1:1
	v_dot4c_i32_i8_e32 v25, v115, v17
	v_bfe_u32 v2, v112, 16, 8
	v_lshrrev_b32_e32 v180, 24, v112
	v_add_u32_e32 v112, 0x41f0, v146
	v_mul_lo_u32 v2, v25, v2
	v_mov_b32_e32 v25, 0
	s_waitcnt lgkmcnt(1)
	v_dot4c_i32_i8_e32 v25, v156, v10
	v_add_u32_e32 v156, 0x41f8, v146
	v_add_u32_e32 v158, 0x6240, v146
	v_dot4c_i32_i8_e32 v25, v157, v11
	ds_read2_b32 v[114:115], v112 offset1:1
	ds_read2_b32 v[156:157], v156 offset1:1
	;; [unrolled: 1-line block ×3, first 2 shown]
	s_waitcnt lgkmcnt(3)
	v_dot4c_i32_i8_e32 v25, v108, v12
	v_dot4c_i32_i8_e32 v25, v109, v13
	s_waitcnt lgkmcnt(2)
	v_dot4c_i32_i8_e32 v25, v114, v6
	v_dot4c_i32_i8_e32 v25, v115, v7
	;; [unrolled: 3-line block ×3, first 2 shown]
	v_cvt_f32_i32_e32 v2, v2
	v_cvt_f32_f16_sdwa v109, v175 dst_sel:DWORD dst_unused:UNUSED_PAD src0_sel:WORD_1
	v_cvt_f32_f16_e32 v108, v175
	v_mul_lo_u32 v25, v25, v180
	v_cvt_f32_i32_e32 v112, v25
	v_cvt_f32_ubyte2_e32 v3, v113
	v_cvt_f32_ubyte3_e32 v113, v113
	v_pk_fma_f32 v[2:3], v[116:117], v[2:3], 0 op_sel_hi:[1,1,0]
	v_mul_f32_e32 v25, v155, v109
	v_pk_fma_f32 v[2:3], v[4:5], v[112:113], v[2:3]
	v_fma_mix_f32 v25, v168, v175, -v25 op_sel_hi:[0,1,0]
	v_pk_mul_f32 v[2:3], v[2:3], v[108:109]
	v_add_f32_e32 v23, v23, v25
	v_sub_f32_e32 v2, v2, v3
	v_add_f32_e32 v23, v23, v2
	v_add_u32_e32 v2, 0x6248, v146
	ds_read2_b32 v[2:3], v2 offset1:1
	v_mov_b32_e32 v25, 0
	s_waitcnt lgkmcnt(1)
	v_dot4c_i32_i8_e32 v25, v158, v18
	v_add_u32_e32 v18, 0x6250, v146
	v_add_u32_e32 v108, 0x6258, v146
	;; [unrolled: 1-line block ×3, first 2 shown]
	v_dot4c_i32_i8_e32 v25, v159, v19
	ds_read2_b32 v[18:19], v18 offset1:1
	ds_read2_b32 v[108:109], v108 offset1:1
	;; [unrolled: 1-line block ×3, first 2 shown]
	s_waitcnt lgkmcnt(3)
	v_dot4c_i32_i8_e32 v25, v2, v20
	v_dot4c_i32_i8_e32 v25, v3, v21
	s_waitcnt lgkmcnt(2)
	v_dot4c_i32_i8_e32 v25, v18, v14
	v_mov_b32_e32 v18, 0
	s_waitcnt lgkmcnt(0)
	v_dot4c_i32_i8_e32 v18, v112, v10
	v_add_u32_e32 v10, 0x6268, v146
	v_dot4c_i32_i8_e32 v18, v113, v11
	ds_read2_b32 v[10:11], v10 offset1:1
	v_add_u32_e32 v14, 0x6270, v146
	v_dot4c_i32_i8_e32 v25, v19, v15
	ds_read2_b32 v[14:15], v14 offset1:1
	v_dot4c_i32_i8_e32 v25, v108, v16
	v_add_u32_e32 v16, 0x6278, v146
	v_dot4c_i32_i8_e32 v25, v109, v17
	ds_read2_b32 v[16:17], v16 offset1:1
	s_waitcnt lgkmcnt(2)
	v_dot4c_i32_i8_e32 v18, v10, v12
	v_dot4c_i32_i8_e32 v18, v11, v13
	s_waitcnt lgkmcnt(1)
	v_dot4c_i32_i8_e32 v18, v14, v6
	v_dot4c_i32_i8_e32 v18, v15, v7
	v_bfe_u32 v2, v110, 16, 8
	s_waitcnt lgkmcnt(0)
	v_dot4c_i32_i8_e32 v18, v16, v8
	v_lshrrev_b32_e32 v185, 24, v110
	v_mul_lo_u32 v2, v25, v2
	v_dot4c_i32_i8_e32 v18, v17, v9
	v_cvt_f32_i32_e32 v2, v2
	v_cvt_f32_f16_sdwa v7, v22 dst_sel:DWORD dst_unused:UNUSED_PAD src0_sel:WORD_1
	v_cvt_f32_ubyte2_e32 v3, v111
	v_mul_lo_u32 v6, v18, v185
	v_cvt_f32_i32_e32 v8, v6
	v_cvt_f32_f16_e32 v6, v22
	v_cvt_f32_ubyte3_e32 v9, v111
	v_pk_fma_f32 v[2:3], v[116:117], v[2:3], 0 op_sel_hi:[1,1,0]
	v_mul_f32_e32 v10, v170, v7
	v_pk_fma_f32 v[2:3], v[4:5], v[8:9], v[2:3]
	v_fma_mix_f32 v10, v169, v22, -v10 op_sel_hi:[0,1,0]
	v_pk_mul_f32 v[2:3], v[2:3], v[6:7]
	v_add_f32_e32 v10, v93, v10
	v_sub_f32_e32 v2, v2, v3
	v_add_f32_e32 v93, v10, v2
	s_barrier
.LBB193_5:                              ;   in Loop: Header=BB193_6 Depth=1
	s_add_i32 s25, s25, -1
	s_addk_i32 s14, 0x100
	v_add_u32_e32 v24, 8, v24
	v_add_u32_e32 v148, 8, v148
	v_add_u32_e32 v142, 8, v142
	v_lshl_add_u64 v[30:31], v[30:31], 0, s[8:9]
	v_lshl_add_u64 v[32:33], v[32:33], 0, s[8:9]
	;; [unrolled: 1-line block ×36, first 2 shown]
	s_cmp_eq_u32 s25, 0
	v_lshl_add_u64 v[106:107], v[106:107], 0, s[8:9]
	s_cbranch_scc1 .LBB193_19
.LBB193_6:                              ; =>This Inner Loop Header: Depth=1
	v_lshl_add_u64 v[2:3], v[32:33], 0, s[16:17]
	global_load_dword v12, v[2:3], off
	v_lshl_add_u64 v[2:3], v[30:31], 0, s[16:17]
	global_load_dword v13, v[2:3], off
	;; [unrolled: 2-line block ×12, first 2 shown]
	v_lshl_add_u64 v[2:3], v[56:57], 0, s[16:17]
	v_lshl_add_u64 v[4:5], v[54:55], 0, s[16:17]
	global_load_dword v108, v[2:3], off
	global_load_dword v109, v[4:5], off
	v_lshl_add_u64 v[6:7], v[60:61], 0, s[16:17]
	v_lshl_add_u64 v[8:9], v[58:59], 0, s[16:17]
	;; [unrolled: 1-line block ×5, first 2 shown]
	global_load_dword v6, v[6:7], off
	s_nop 0
	global_load_dword v7, v[8:9], off
	s_nop 0
	global_load_dword v8, v[2:3], off
	global_load_dword v9, v[10:11], off
	s_nop 0
	global_load_dword v4, v[4:5], off
	s_add_i32 s2, s14, 0xffffff80
	s_cmp_lt_i32 s2, s15
	s_waitcnt vmcnt(18)
	v_lshrrev_b32_e32 v3, 4, v12
	v_and_b32_e32 v2, 0xf0f0f0f, v12
	s_waitcnt vmcnt(17)
	v_ashrrev_i32_e32 v5, v92, v13
	v_ashrrev_i32_e32 v10, v118, v13
	s_waitcnt vmcnt(16)
	v_and_b32_e32 v11, 0xf0f0f0f, v14
	v_lshrrev_b32_e32 v12, 4, v14
	s_waitcnt vmcnt(15)
	v_ashrrev_i32_e32 v13, v92, v15
	v_ashrrev_i32_e32 v14, v118, v15
	s_waitcnt vmcnt(14)
	v_and_b32_e32 v15, 0xf0f0f0f, v16
	v_lshrrev_b32_e32 v16, 4, v16
	;; [unrolled: 6-line block ×3, first 2 shown]
	s_waitcnt vmcnt(11)
	v_ashrrev_i32_e32 v112, v92, v19
	v_ashrrev_i32_e32 v19, v118, v19
	v_and_b32_e32 v3, 0xf0f0f0f, v3
	v_lshlrev_b32_e32 v5, 4, v5
	v_lshlrev_b32_e32 v10, 4, v10
	s_waitcnt vmcnt(10)
	v_and_b32_e32 v113, 0xf0f0f0f, v20
	v_lshrrev_b32_e32 v20, 4, v20
	s_waitcnt vmcnt(9)
	v_ashrrev_i32_e32 v114, v92, v21
	v_ashrrev_i32_e32 v21, v118, v21
	v_and_b32_e32 v12, 0xf0f0f0f, v12
	v_lshlrev_b32_e32 v13, 4, v13
	v_lshlrev_b32_e32 v14, 4, v14
	v_and_b32_e32 v16, 0xf0f0f0f, v16
	v_lshlrev_b32_e32 v110, 4, v110
	v_lshlrev_b32_e32 v17, 4, v17
	;; [unrolled: 3-line block ×3, first 2 shown]
	v_and_or_b32 v2, v5, s22, v2
	v_and_or_b32 v3, v10, s22, v3
	v_and_b32_e32 v20, 0xf0f0f0f, v20
	v_lshlrev_b32_e32 v114, 4, v114
	v_lshlrev_b32_e32 v21, 4, v21
	v_and_or_b32 v5, v13, s22, v11
	v_and_or_b32 v10, v14, s22, v12
	;; [unrolled: 1-line block ×6, first 2 shown]
	ds_write2_b32 v119, v2, v3 offset1:8
	ds_write2_b32 v120, v5, v10 offset1:8
	;; [unrolled: 1-line block ×4, first 2 shown]
	v_lshl_add_u64 v[2:3], v[66:67], 0, s[16:17]
	v_and_or_b32 v5, v114, s22, v113
	global_load_dword v10, v[2:3], off
	v_and_or_b32 v2, v21, s22, v20
	ds_write2_b32 v123, v5, v2 offset1:8
	s_waitcnt vmcnt(9)
	v_lshrrev_b32_e32 v2, 4, v22
	v_and_b32_e32 v11, 0xf0f0f0f, v2
	v_lshl_add_u64 v[2:3], v[72:73], 0, s[16:17]
	global_load_dword v12, v[2:3], off
	v_lshl_add_u64 v[2:3], v[70:71], 0, s[16:17]
	s_waitcnt vmcnt(9)
	v_ashrrev_i32_e32 v13, v92, v25
	global_load_dword v14, v[2:3], off
	v_ashrrev_i32_e32 v3, v118, v25
	v_and_b32_e32 v5, 0xf0f0f0f, v22
	v_lshlrev_b32_e32 v2, 4, v13
	v_lshlrev_b32_e32 v3, 4, v3
	v_and_or_b32 v5, v2, s22, v5
	v_and_or_b32 v11, v3, s22, v11
	v_lshl_add_u64 v[2:3], v[76:77], 0, s[16:17]
	global_load_dword v13, v[2:3], off
	v_lshl_add_u64 v[2:3], v[74:75], 0, s[16:17]
	ds_write2_b32 v124, v5, v11 offset1:8
	global_load_dword v5, v[2:3], off
	s_waitcnt vmcnt(11)
	v_lshrrev_b32_e32 v2, 4, v108
	v_and_b32_e32 v15, 0xf0f0f0f, v2
	s_waitcnt vmcnt(10)
	v_ashrrev_i32_e32 v2, v92, v109
	v_lshlrev_b32_e32 v16, 4, v2
	v_lshl_add_u64 v[2:3], v[80:81], 0, s[16:17]
	global_load_dword v17, v[2:3], off
	v_ashrrev_i32_e32 v18, v118, v109
	v_lshl_add_u64 v[2:3], v[78:79], 0, s[16:17]
	v_and_b32_e32 v11, 0xf0f0f0f, v108
	global_load_dword v19, v[2:3], off
	v_lshlrev_b32_e32 v2, 4, v18
	v_and_or_b32 v3, v16, s22, v11
	v_and_or_b32 v2, v2, s22, v15
	ds_write2_b32 v125, v3, v2 offset1:8
	v_lshl_add_u64 v[2:3], v[84:85], 0, s[16:17]
	global_load_dword v15, v[2:3], off
	v_lshl_add_u64 v[2:3], v[82:83], 0, s[16:17]
	global_load_dword v16, v[2:3], off
	s_waitcnt vmcnt(12)
	v_ashrrev_i32_e32 v2, v92, v7
	v_lshlrev_b32_e32 v18, 4, v2
	v_ashrrev_i32_e32 v2, v118, v7
	v_and_b32_e32 v11, 0xf0f0f0f, v6
	v_lshrrev_b32_e32 v6, 4, v6
	v_lshlrev_b32_e32 v7, 4, v2
	v_lshl_add_u64 v[2:3], v[88:89], 0, s[16:17]
	v_and_b32_e32 v6, 0xf0f0f0f, v6
	global_load_dword v20, v[2:3], off
	v_lshl_add_u64 v[2:3], v[86:87], 0, s[16:17]
	v_and_or_b32 v11, v18, s22, v11
	global_load_dword v18, v[2:3], off
	v_and_or_b32 v2, v7, s22, v6
	ds_write2_b32 v126, v11, v2 offset1:8
	s_waitcnt vmcnt(13)
	v_lshrrev_b32_e32 v2, 4, v8
	v_and_b32_e32 v7, 0xf0f0f0f, v2
	v_lshl_add_u64 v[2:3], v[96:97], 0, s[16:17]
	v_and_b32_e32 v6, 0xf0f0f0f, v8
	global_load_dword v8, v[2:3], off
	s_waitcnt vmcnt(13)
	v_ashrrev_i32_e32 v11, v92, v9
	v_lshl_add_u64 v[2:3], v[90:91], 0, s[16:17]
	global_load_dword v21, v[2:3], off
	v_lshlrev_b32_e32 v2, 4, v11
	v_ashrrev_i32_e32 v3, v118, v9
	v_lshlrev_b32_e32 v9, 4, v3
	v_and_or_b32 v6, v2, s22, v6
	v_lshl_add_u64 v[2:3], v[98:99], 0, s[16:17]
	global_load_dword v11, v[2:3], off
	v_lshl_add_u64 v[2:3], v[100:101], 0, s[16:17]
	global_load_dword v22, v[2:3], off
	;; [unrolled: 2-line block ×3, first 2 shown]
	v_lshl_add_u64 v[2:3], v[104:105], 0, s[16:17]
	v_and_or_b32 v7, v9, s22, v7
	global_load_dword v9, v[2:3], off
	v_lshl_add_u64 v[2:3], v[106:107], 0, s[16:17]
	global_load_dword v2, v[2:3], off
	ds_write2_b32 v127, v6, v7 offset1:8
	s_waitcnt vmcnt(18)
	v_and_b32_e32 v3, 0xf0f0f0f, v4
	v_lshrrev_b32_e32 v4, 4, v4
	v_and_b32_e32 v4, 0xf0f0f0f, v4
	s_waitcnt vmcnt(17)
	v_ashrrev_i32_e32 v6, v92, v10
	v_ashrrev_i32_e32 v7, v118, v10
	v_lshlrev_b32_e32 v6, 4, v6
	v_lshlrev_b32_e32 v7, 4, v7
	v_and_or_b32 v3, v6, s22, v3
	v_and_or_b32 v4, v7, s22, v4
	ds_write2_b32 v128, v3, v4 offset1:8
	s_waitcnt vmcnt(16)
	v_lshrrev_b32_e32 v4, 4, v12
	v_and_b32_e32 v3, 0xf0f0f0f, v12
	s_waitcnt vmcnt(15)
	v_ashrrev_i32_e32 v6, v92, v14
	v_ashrrev_i32_e32 v7, v118, v14
	v_and_b32_e32 v4, 0xf0f0f0f, v4
	v_lshlrev_b32_e32 v6, 4, v6
	v_lshlrev_b32_e32 v7, 4, v7
	v_and_or_b32 v3, v6, s22, v3
	v_and_or_b32 v4, v7, s22, v4
	ds_write2_b32 v129, v3, v4 offset1:8
	s_waitcnt vmcnt(14)
	v_lshrrev_b32_e32 v4, 4, v13
	v_and_b32_e32 v3, 0xf0f0f0f, v13
	v_and_b32_e32 v4, 0xf0f0f0f, v4
	s_waitcnt vmcnt(13)
	v_ashrrev_i32_e32 v6, v92, v5
	v_ashrrev_i32_e32 v5, v118, v5
	v_lshlrev_b32_e32 v6, 4, v6
	v_lshlrev_b32_e32 v5, 4, v5
	v_and_or_b32 v3, v6, s22, v3
	v_and_or_b32 v4, v5, s22, v4
	ds_write2_b32 v130, v3, v4 offset1:8
	s_waitcnt vmcnt(12)
	v_lshrrev_b32_e32 v4, 4, v17
	v_and_b32_e32 v3, 0xf0f0f0f, v17
	v_and_b32_e32 v4, 0xf0f0f0f, v4
	s_waitcnt vmcnt(11)
	v_ashrrev_i32_e32 v5, v92, v19
	v_ashrrev_i32_e32 v6, v118, v19
	v_lshlrev_b32_e32 v5, 4, v5
	v_lshlrev_b32_e32 v6, 4, v6
	v_and_or_b32 v3, v5, s22, v3
	v_and_or_b32 v4, v6, s22, v4
	ds_write2_b32 v131, v3, v4 offset1:8
	s_waitcnt vmcnt(10)
	v_lshrrev_b32_e32 v4, 4, v15
	s_waitcnt vmcnt(9)
	v_ashrrev_i32_e32 v5, v92, v16
	v_ashrrev_i32_e32 v6, v118, v16
	v_and_b32_e32 v3, 0xf0f0f0f, v15
	v_and_b32_e32 v4, 0xf0f0f0f, v4
	v_lshlrev_b32_e32 v5, 4, v5
	v_lshlrev_b32_e32 v6, 4, v6
	v_and_or_b32 v3, v5, s22, v3
	v_and_or_b32 v4, v6, s22, v4
	ds_write2_b32 v132, v3, v4 offset1:8
	s_waitcnt vmcnt(8)
	v_lshrrev_b32_e32 v4, 4, v20
	v_and_b32_e32 v3, 0xf0f0f0f, v20
	v_and_b32_e32 v4, 0xf0f0f0f, v4
	s_waitcnt vmcnt(7)
	v_ashrrev_i32_e32 v5, v92, v18
	v_ashrrev_i32_e32 v6, v118, v18
	v_lshlrev_b32_e32 v5, 4, v5
	v_lshlrev_b32_e32 v6, 4, v6
	v_and_or_b32 v3, v5, s22, v3
	v_and_or_b32 v4, v6, s22, v4
	ds_write2_b32 v133, v3, v4 offset1:8
	s_waitcnt vmcnt(6)
	v_lshrrev_b32_e32 v4, 4, v8
	v_and_b32_e32 v3, 0xf0f0f0f, v8
	v_and_b32_e32 v4, 0xf0f0f0f, v4
	s_waitcnt vmcnt(5)
	v_ashrrev_i32_e32 v5, v92, v21
	v_ashrrev_i32_e32 v6, v118, v21
	v_lshlrev_b32_e32 v5, 4, v5
	v_lshlrev_b32_e32 v6, 4, v6
	v_and_or_b32 v3, v5, s22, v3
	v_and_or_b32 v4, v6, s22, v4
	ds_write2_b32 v134, v3, v4 offset1:8
	s_waitcnt vmcnt(4)
	ds_write_b32 v135, v11
	s_waitcnt vmcnt(3)
	v_ashrrev_i32_e32 v3, v136, v22
	v_and_b32_e32 v3, 0xf0f0f0f, v3
	s_waitcnt vmcnt(2)
	v_ashrrev_i32_e32 v4, v137, v25
	v_and_or_b32 v3, v4, s23, v3
	ds_write_b32 v138, v3
	s_waitcnt vmcnt(1)
	v_ashrrev_i32_e32 v3, v136, v9
	v_and_b32_e32 v3, 0xf0f0f0f, v3
	s_waitcnt vmcnt(0)
	v_ashrrev_i32_e32 v2, v137, v2
	v_and_or_b32 v2, v2, s23, v3
	ds_write_b32 v139, v2
	s_cbranch_scc0 .LBB193_5
; %bb.7:                                ;   in Loop: Header=BB193_6 Depth=1
	v_cmp_gt_i32_e64 s[2:3], s5, v142
	s_and_b64 s[20:21], s[0:1], s[2:3]
	s_and_saveexec_b64 s[2:3], s[20:21]
	s_cbranch_execz .LBB193_9
; %bb.8:                                ;   in Loop: Header=BB193_6 Depth=1
	v_add_u32_e32 v2, v28, v142
	v_mad_i64_i32 v[2:3], s[20:21], v2, 36, v[26:27]
	global_load_dword v2, v[2:3], off offset:4
	s_waitcnt vmcnt(0)
	ds_write_b32 v140, v2
.LBB193_9:                              ;   in Loop: Header=BB193_6 Depth=1
	s_or_b64 exec, exec, s[2:3]
	s_and_saveexec_b64 s[20:21], vcc
	s_cbranch_execz .LBB193_12
; %bb.10:                               ;   in Loop: Header=BB193_6 Depth=1
	v_cmp_gt_i32_e64 s[2:3], s5, v24
	s_and_b64 s[2:3], s[0:1], s[2:3]
	s_and_b64 exec, exec, s[2:3]
	s_cbranch_execz .LBB193_12
; %bb.11:                               ;   in Loop: Header=BB193_6 Depth=1
	v_add_u32_e32 v2, v28, v24
	v_mad_i64_i32 v[2:3], s[2:3], v2, 36, s[10:11]
	global_load_dword v2, v[2:3], off
	s_waitcnt vmcnt(0)
	ds_write_b32 v141, v2
.LBB193_12:                             ;   in Loop: Header=BB193_6 Depth=1
	s_or_b64 exec, exec, s[20:21]
	s_waitcnt lgkmcnt(0)
	s_barrier
	ds_read_b128 v[18:21], v143
	ds_read_b128 v[14:17], v143 offset:16
	ds_read_b128 v[2:5], v144 offset:36944
	ds_read2_b32 v[108:109], v146 offset1:1
	ds_read_b128 v[10:13], v143 offset:32
	ds_read_b128 v[6:9], v143 offset:48
	ds_read_b32 v22, v147
	ds_read2_b32 v[110:111], v146 offset0:2 offset1:3
	v_mov_b32_e32 v25, 0
	s_waitcnt lgkmcnt(4)
	v_dot4c_i32_i8_e32 v25, v108, v18
	v_dot4c_i32_i8_e32 v25, v109, v19
	ds_read2_b32 v[112:113], v146 offset0:4 offset1:5
	ds_read2_b32 v[114:115], v146 offset0:6 offset1:7
	;; [unrolled: 1-line block ×3, first 2 shown]
	s_waitcnt lgkmcnt(3)
	v_dot4c_i32_i8_e32 v25, v110, v20
	v_dot4c_i32_i8_e32 v25, v111, v21
	ds_read2_b32 v[110:111], v146 offset0:10 offset1:11
	v_mov_b32_e32 v163, 0
	s_waitcnt lgkmcnt(3)
	v_dot4c_i32_i8_e32 v25, v112, v14
	s_waitcnt lgkmcnt(1)
	v_dot4c_i32_i8_e32 v163, v116, v10
	v_dot4c_i32_i8_e32 v25, v113, v15
	;; [unrolled: 1-line block ×4, first 2 shown]
	s_waitcnt lgkmcnt(0)
	v_dot4c_i32_i8_e32 v163, v110, v12
	v_cvt_f32_f16_e32 v162, v22
	v_cvt_f32_f16_sdwa v164, v22 dst_sel:DWORD dst_unused:UNUSED_PAD src0_sel:WORD_1
	v_add_u32_e32 v22, 0x2080, v146
	ds_read2_b32 v[108:109], v145 offset1:2
	v_dot4c_i32_i8_e32 v25, v115, v17
	ds_read2_b32 v[112:113], v146 offset0:12 offset1:13
	ds_read2_b32 v[114:115], v146 offset0:14 offset1:15
	;; [unrolled: 1-line block ×3, first 2 shown]
	v_dot4c_i32_i8_e32 v163, v111, v13
	ds_read2_b32 v[156:157], v146 offset0:26 offset1:27
	ds_read2_b32 v[158:159], v146 offset0:28 offset1:29
	ds_read2_b32 v[160:161], v146 offset0:30 offset1:31
	ds_read2_b32 v[110:111], v22 offset1:1
	v_mov_b32_e32 v165, 0
	ds_read_b32 v174, v150 offset:128
	ds_read_b32 v175, v152 offset:256
	;; [unrolled: 1-line block ×3, first 2 shown]
	s_waitcnt lgkmcnt(9)
	v_dot4c_i32_i8_e32 v163, v112, v6
	v_dot4c_i32_i8_e32 v163, v113, v7
	s_waitcnt lgkmcnt(3)
	v_dot4c_i32_i8_e32 v165, v110, v18
	v_add_u32_e32 v110, 0x2088, v146
	v_dot4c_i32_i8_e32 v165, v111, v19
	ds_read2_b32 v[110:111], v110 offset1:1
	v_dot4c_i32_i8_e32 v163, v114, v8
	v_add_u32_e32 v112, 0x2090, v146
	v_dot4c_i32_i8_e32 v163, v115, v9
	v_add_u32_e32 v114, 0x2098, v146
	v_add_u32_e32 v115, 0x20a0, v146
	ds_read2_b32 v[112:113], v112 offset1:1
	ds_read2_b32 v[166:167], v114 offset1:1
	ds_read2_b32 v[168:169], v115 offset1:1
	s_waitcnt lgkmcnt(3)
	v_dot4c_i32_i8_e32 v165, v110, v20
	ds_read2_b32 v[114:115], v149 offset1:2
	v_dot4c_i32_i8_e32 v165, v111, v21
	s_waitcnt lgkmcnt(3)
	v_dot4c_i32_i8_e32 v165, v112, v14
	v_dot4c_i32_i8_e32 v165, v113, v15
	s_waitcnt lgkmcnt(2)
	v_dot4c_i32_i8_e32 v165, v166, v16
	v_dot4c_i32_i8_e32 v165, v167, v17
	s_waitcnt lgkmcnt(0)
	v_and_b32_e32 v110, 0xff, v114
	v_mov_b32_e32 v170, 0
	v_dot4c_i32_i8_e32 v170, v168, v10
	v_mul_lo_u32 v110, v165, v110
	v_cvt_f32_i32_e32 v165, v110
	v_add_u32_e32 v110, 0x20a8, v146
	ds_read2_b32 v[110:111], v110 offset1:1
	v_add_u32_e32 v112, 0x20b0, v146
	v_add_u32_e32 v166, 0x20b8, v146
	;; [unrolled: 1-line block ×3, first 2 shown]
	v_dot4c_i32_i8_e32 v170, v169, v11
	ds_read2_b32 v[112:113], v112 offset1:1
	ds_read2_b32 v[166:167], v166 offset1:1
	;; [unrolled: 1-line block ×3, first 2 shown]
	s_waitcnt lgkmcnt(3)
	v_dot4c_i32_i8_e32 v170, v110, v12
	v_dot4c_i32_i8_e32 v170, v111, v13
	s_waitcnt lgkmcnt(2)
	v_dot4c_i32_i8_e32 v170, v112, v6
	v_dot4c_i32_i8_e32 v170, v113, v7
	;; [unrolled: 3-line block ×3, first 2 shown]
	v_bfe_u32 v110, v114, 8, 8
	v_mov_b32_e32 v172, 0
	s_waitcnt lgkmcnt(0)
	v_dot4c_i32_i8_e32 v172, v168, v18
	v_mul_lo_u32 v110, v170, v110
	v_cvt_f32_i32_e32 v178, v110
	v_add_u32_e32 v110, 0x4108, v146
	ds_read2_b32 v[110:111], v110 offset1:1
	v_add_u32_e32 v112, 0x4110, v146
	v_add_u32_e32 v170, 0x4120, v146
	v_dot4c_i32_i8_e32 v172, v169, v19
	v_add_u32_e32 v113, 0x4118, v146
	ds_read2_b32 v[166:167], v112 offset1:1
	ds_read2_b32 v[168:169], v113 offset1:1
	;; [unrolled: 1-line block ×3, first 2 shown]
	s_waitcnt lgkmcnt(3)
	v_dot4c_i32_i8_e32 v172, v110, v20
	ds_read2_b32 v[112:113], v151 offset1:2
	v_dot4c_i32_i8_e32 v172, v111, v21
	s_waitcnt lgkmcnt(3)
	v_dot4c_i32_i8_e32 v172, v166, v14
	v_dot4c_i32_i8_e32 v172, v167, v15
	s_waitcnt lgkmcnt(2)
	v_dot4c_i32_i8_e32 v172, v168, v16
	v_dot4c_i32_i8_e32 v172, v169, v17
	s_waitcnt lgkmcnt(0)
	v_and_b32_e32 v110, 0xff, v112
	v_add_u32_e32 v166, 0x4130, v146
	v_add_u32_e32 v168, 0x4138, v146
	v_mul_lo_u32 v110, v172, v110
	v_cvt_f32_i32_e32 v181, v110
	v_add_u32_e32 v110, 0x4128, v146
	ds_read2_b32 v[110:111], v110 offset1:1
	v_mov_b32_e32 v172, 0
	v_dot4c_i32_i8_e32 v172, v170, v10
	v_add_u32_e32 v170, 0x6180, v146
	v_dot4c_i32_i8_e32 v172, v171, v11
	ds_read2_b32 v[166:167], v166 offset1:1
	ds_read2_b32 v[168:169], v168 offset1:1
	;; [unrolled: 1-line block ×3, first 2 shown]
	s_waitcnt lgkmcnt(3)
	v_dot4c_i32_i8_e32 v172, v110, v12
	v_dot4c_i32_i8_e32 v172, v111, v13
	s_waitcnt lgkmcnt(2)
	v_dot4c_i32_i8_e32 v172, v166, v6
	v_dot4c_i32_i8_e32 v172, v167, v7
	;; [unrolled: 3-line block ×3, first 2 shown]
	v_bfe_u32 v110, v112, 8, 8
	v_add_u32_e32 v111, 0x6198, v146
	v_mov_b32_e32 v190, 0
	v_mul_lo_u32 v110, v172, v110
	v_mov_b32_e32 v172, 0
	s_waitcnt lgkmcnt(0)
	v_dot4c_i32_i8_e32 v172, v170, v18
	v_add_u32_e32 v18, 0x6188, v146
	v_dot4c_i32_i8_e32 v172, v171, v19
	ds_read2_b32 v[18:19], v18 offset1:1
	v_cvt_f32_i32_e32 v183, v110
	v_add_u32_e32 v110, 0x6190, v146
	v_add_u32_e32 v170, 0x61a0, v146
	ds_read2_b32 v[166:167], v110 offset1:1
	ds_read2_b32 v[168:169], v111 offset1:1
	;; [unrolled: 1-line block ×3, first 2 shown]
	s_waitcnt lgkmcnt(3)
	v_dot4c_i32_i8_e32 v172, v18, v20
	ds_read2_b32 v[110:111], v153 offset1:2
	v_dot4c_i32_i8_e32 v172, v19, v21
	s_waitcnt lgkmcnt(3)
	v_dot4c_i32_i8_e32 v172, v166, v14
	v_mov_b32_e32 v18, 0
	v_dot4c_i32_i8_e32 v172, v167, v15
	s_waitcnt lgkmcnt(1)
	v_dot4c_i32_i8_e32 v18, v170, v10
	v_add_u32_e32 v10, 0x61a8, v146
	v_dot4c_i32_i8_e32 v172, v168, v16
	v_dot4c_i32_i8_e32 v18, v171, v11
	ds_read2_b32 v[10:11], v10 offset1:1
	v_dot4c_i32_i8_e32 v172, v169, v17
	s_waitcnt lgkmcnt(1)
	v_and_b32_e32 v14, 0xff, v110
	v_add_u32_e32 v16, 0x61b8, v146
	v_add_u32_e32 v19, 0x20c0, v146
	v_mul_lo_u32 v14, v172, v14
	v_cvt_f32_i32_e32 v186, v14
	v_add_u32_e32 v14, 0x61b0, v146
	ds_read2_b32 v[14:15], v14 offset1:1
	ds_read2_b32 v[16:17], v16 offset1:1
	;; [unrolled: 1-line block ×3, first 2 shown]
	s_waitcnt lgkmcnt(3)
	v_dot4c_i32_i8_e32 v18, v10, v12
	v_dot4c_i32_i8_e32 v18, v11, v13
	s_waitcnt lgkmcnt(2)
	v_dot4c_i32_i8_e32 v18, v14, v6
	v_dot4c_i32_i8_e32 v18, v15, v7
	;; [unrolled: 3-line block ×3, first 2 shown]
	v_bfe_u32 v6, v110, 8, 8
	v_lshrrev_b32_e32 v155, 24, v108
	v_cvt_f32_ubyte0_e32 v177, v115
	v_mul_lo_u32 v6, v18, v6
	v_cvt_f32_i32_e32 v188, v6
	ds_read_b128 v[18:21], v143 offset:64
	ds_read_b128 v[14:17], v143 offset:80
	ds_read_b128 v[10:13], v143 offset:96
	ds_read_b128 v[6:9], v143 offset:112
	ds_read2_b32 v[168:169], v146 offset0:18 offset1:19
	s_waitcnt lgkmcnt(4)
	v_dot4c_i32_i8_e32 v190, v116, v18
	v_dot4c_i32_i8_e32 v190, v117, v19
	ds_read2_b32 v[116:117], v146 offset0:20 offset1:21
	ds_read2_b32 v[170:171], v146 offset0:22 offset1:23
	;; [unrolled: 1-line block ×3, first 2 shown]
	v_cvt_f32_ubyte0_e32 v182, v113
	s_waitcnt lgkmcnt(3)
	v_dot4c_i32_i8_e32 v190, v168, v20
	v_mov_b32_e32 v168, 0
	v_dot4c_i32_i8_e32 v190, v169, v21
	s_waitcnt lgkmcnt(0)
	v_dot4c_i32_i8_e32 v168, v172, v10
	v_dot4c_i32_i8_e32 v168, v173, v11
	;; [unrolled: 1-line block ×10, first 2 shown]
	v_cvt_f32_f16_e32 v157, v4
	v_cvt_f32_f16_sdwa v117, v4 dst_sel:DWORD dst_unused:UNUSED_PAD src0_sel:WORD_1
	v_and_b32_e32 v4, 0xff, v108
	v_bfe_u32 v158, v108, 16, 8
	v_dot4c_i32_i8_e32 v168, v160, v8
	v_mul_lo_u32 v4, v25, v4
	v_mul_lo_u32 v25, v190, v158
	v_dot4c_i32_i8_e32 v168, v161, v9
	v_cvt_f32_i32_e32 v161, v25
	v_bfe_u32 v25, v108, 8, 8
	v_cvt_f32_f16_e32 v156, v2
	v_cvt_f32_i32_e32 v160, v4
	v_mul_lo_u32 v25, v163, v25
	v_mul_lo_u32 v108, v168, v155
	v_cvt_f32_f16_sdwa v116, v2 dst_sel:DWORD dst_unused:UNUSED_PAD src0_sel:WORD_1
	v_cvt_f32_f16_e32 v159, v5
	v_cvt_f32_f16_e32 v158, v3
	v_cvt_f32_i32_e32 v169, v108
	v_cvt_f32_i32_e32 v168, v25
	v_cvt_f32_f16_sdwa v5, v5 dst_sel:DWORD dst_unused:UNUSED_PAD src0_sel:WORD_1
	v_cvt_f32_f16_sdwa v4, v3 dst_sel:DWORD dst_unused:UNUSED_PAD src0_sel:WORD_1
	v_pk_fma_f32 v[160:161], v[156:157], v[160:161], 0 op_sel_hi:[1,1,0]
	v_cvt_f32_ubyte2_e32 v171, v109
	v_cvt_f32_ubyte0_e32 v170, v109
	v_cvt_f32_ubyte0_e32 v187, v111
	v_pk_fma_f32 v[170:171], v[116:117], v[170:171], 0 op_sel_hi:[1,1,0]
	v_pk_fma_f32 v[160:161], v[158:159], v[168:169], v[160:161]
	v_cvt_f32_ubyte3_e32 v169, v109
	v_cvt_f32_ubyte1_e32 v168, v109
	v_fma_mix_f32 v116, v2, v181, 0 op_sel_hi:[1,0,0]
	v_cvt_f32_ubyte1_e32 v189, v111
	v_pk_fma_f32 v[108:109], v[4:5], v[168:169], v[170:171]
	v_fma_mix_f32 v4, v2, v165, 0 op_sel_hi:[1,0,0]
	v_fma_mix_f32 v25, v2, v177, 0 op_sel:[1,0,0] op_sel_hi:[1,0,0]
	v_fma_mix_f32 v155, v2, v182, 0 op_sel:[1,0,0] op_sel_hi:[1,0,0]
	v_fma_mix_f32 v168, v3, v183, v116 op_sel_hi:[1,0,0]
	v_fma_mix_f32 v116, v2, v186, 0 op_sel_hi:[1,0,0]
	v_fma_mix_f32 v2, v2, v187, 0 op_sel:[1,0,0] op_sel_hi:[1,0,0]
	v_cvt_f32_ubyte1_e32 v179, v115
	v_cvt_f32_ubyte1_e32 v184, v113
	v_fma_mix_f32 v170, v3, v189, v2 op_sel:[1,0,0] op_sel_hi:[1,0,0]
	v_add_u32_e32 v2, 0x20c8, v146
	v_fma_mix_f32 v4, v3, v178, v4 op_sel_hi:[1,0,0]
	v_fma_mix_f32 v25, v3, v179, v25 op_sel:[1,0,0] op_sel_hi:[1,0,0]
	v_fma_mix_f32 v155, v3, v184, v155 op_sel:[1,0,0] op_sel_hi:[1,0,0]
	v_fma_mix_f32 v169, v3, v188, v116 op_sel_hi:[1,0,0]
	ds_read2_b32 v[2:3], v2 offset1:1
	v_mov_b32_e32 v116, 0
	v_pk_mul_f32 v[108:109], v[108:109], v[164:165] op_sel_hi:[1,0]
	v_dot4c_i32_i8_e32 v116, v166, v18
	v_add_u32_e32 v156, 0x20d0, v146
	v_add_u32_e32 v164, 0x20e0, v146
	v_pk_fma_f32 v[108:109], v[160:161], v[162:163], v[108:109] op_sel_hi:[1,0,1] neg_lo:[0,0,1] neg_hi:[0,0,1]
	v_dot4c_i32_i8_e32 v116, v167, v19
	v_add_u32_e32 v158, 0x20d8, v146
	ds_read2_b32 v[160:161], v156 offset1:1
	ds_read2_b32 v[162:163], v158 offset1:1
	;; [unrolled: 1-line block ×3, first 2 shown]
	s_waitcnt lgkmcnt(3)
	v_dot4c_i32_i8_e32 v116, v2, v20
	v_dot4c_i32_i8_e32 v116, v3, v21
	s_waitcnt lgkmcnt(2)
	v_dot4c_i32_i8_e32 v116, v160, v14
	v_dot4c_i32_i8_e32 v116, v161, v15
	;; [unrolled: 3-line block ×3, first 2 shown]
	v_bfe_u32 v2, v114, 16, 8
	v_lshrrev_b32_e32 v176, 24, v114
	v_mov_b32_e32 v114, 0
	v_mul_lo_u32 v2, v116, v2
	v_add_u32_e32 v116, 0x20e8, v146
	ds_read2_b32 v[160:161], v116 offset1:1
	s_waitcnt lgkmcnt(1)
	v_dot4c_i32_i8_e32 v114, v164, v10
	v_add_u32_e32 v156, 0x20f0, v146
	v_dot4c_i32_i8_e32 v114, v165, v11
	v_add_u32_e32 v158, 0x20f8, v146
	v_add_u32_e32 v116, 0x4140, v146
	ds_read2_b32 v[162:163], v156 offset1:1
	ds_read2_b32 v[164:165], v158 offset1:1
	;; [unrolled: 1-line block ×3, first 2 shown]
	s_waitcnt lgkmcnt(3)
	v_dot4c_i32_i8_e32 v114, v160, v12
	v_dot4c_i32_i8_e32 v114, v161, v13
	s_waitcnt lgkmcnt(2)
	v_dot4c_i32_i8_e32 v114, v162, v6
	v_dot4c_i32_i8_e32 v114, v163, v7
	;; [unrolled: 3-line block ×3, first 2 shown]
	v_cvt_f32_f16_sdwa v161, v174 dst_sel:DWORD dst_unused:UNUSED_PAD src0_sel:WORD_1
	v_cvt_f32_i32_e32 v2, v2
	v_cvt_f32_f16_e32 v160, v174
	v_mul_lo_u32 v114, v114, v176
	v_cvt_f32_i32_e32 v114, v114
	v_cvt_f32_ubyte2_e32 v3, v115
	v_mul_f32_e32 v25, v25, v161
	v_mov_b32_e32 v116, v157
	v_cvt_f32_ubyte3_e32 v115, v115
	v_fma_mix_f32 v163, v4, v174, -v25 op_sel_hi:[0,1,0]
	v_pk_fma_f32 v[2:3], v[116:117], v[2:3], 0 op_sel_hi:[1,1,0]
	v_mov_b32_e32 v4, v159
	v_pk_fma_f32 v[2:3], v[4:5], v[114:115], v[2:3]
	v_mov_b32_e32 v162, v108
	v_pk_mul_f32 v[114:115], v[2:3], v[160:161]
	v_pk_add_f32 v[94:95], v[94:95], v[162:163]
	v_mov_b32_e32 v25, v114
	v_pk_fma_f32 v[2:3], v[2:3], v[160:161], v[24:25] neg_lo:[1,0,0] neg_hi:[1,0,0]
	v_mov_b32_e32 v25, 0
	v_mov_b32_e32 v2, v109
	v_pk_add_f32 v[94:95], v[94:95], v[2:3]
	v_add_u32_e32 v2, 0x4148, v146
	ds_read2_b32 v[2:3], v2 offset1:1
	s_waitcnt lgkmcnt(1)
	v_dot4c_i32_i8_e32 v25, v166, v18
	v_add_u32_e32 v108, 0x4150, v146
	v_add_u32_e32 v114, 0x4158, v146
	;; [unrolled: 1-line block ×3, first 2 shown]
	v_dot4c_i32_i8_e32 v25, v167, v19
	ds_read2_b32 v[108:109], v108 offset1:1
	ds_read2_b32 v[114:115], v114 offset1:1
	;; [unrolled: 1-line block ×3, first 2 shown]
	s_waitcnt lgkmcnt(3)
	v_dot4c_i32_i8_e32 v25, v2, v20
	v_dot4c_i32_i8_e32 v25, v3, v21
	s_waitcnt lgkmcnt(2)
	v_dot4c_i32_i8_e32 v25, v108, v14
	v_dot4c_i32_i8_e32 v25, v109, v15
	v_add_u32_e32 v108, 0x4168, v146
	s_waitcnt lgkmcnt(1)
	v_dot4c_i32_i8_e32 v25, v114, v16
	ds_read2_b32 v[108:109], v108 offset1:1
	v_dot4c_i32_i8_e32 v25, v115, v17
	v_bfe_u32 v2, v112, 16, 8
	v_lshrrev_b32_e32 v180, 24, v112
	v_add_u32_e32 v112, 0x4170, v146
	v_mul_lo_u32 v2, v25, v2
	v_mov_b32_e32 v25, 0
	s_waitcnt lgkmcnt(1)
	v_dot4c_i32_i8_e32 v25, v156, v10
	v_add_u32_e32 v156, 0x4178, v146
	v_add_u32_e32 v158, 0x61c0, v146
	v_dot4c_i32_i8_e32 v25, v157, v11
	ds_read2_b32 v[114:115], v112 offset1:1
	ds_read2_b32 v[156:157], v156 offset1:1
	;; [unrolled: 1-line block ×3, first 2 shown]
	s_waitcnt lgkmcnt(3)
	v_dot4c_i32_i8_e32 v25, v108, v12
	v_dot4c_i32_i8_e32 v25, v109, v13
	s_waitcnt lgkmcnt(2)
	v_dot4c_i32_i8_e32 v25, v114, v6
	v_dot4c_i32_i8_e32 v25, v115, v7
	;; [unrolled: 3-line block ×3, first 2 shown]
	v_cvt_f32_i32_e32 v2, v2
	v_cvt_f32_f16_sdwa v109, v175 dst_sel:DWORD dst_unused:UNUSED_PAD src0_sel:WORD_1
	v_cvt_f32_f16_e32 v108, v175
	v_mul_lo_u32 v25, v25, v180
	v_cvt_f32_i32_e32 v112, v25
	v_cvt_f32_ubyte2_e32 v3, v113
	v_cvt_f32_ubyte3_e32 v113, v113
	v_pk_fma_f32 v[2:3], v[116:117], v[2:3], 0 op_sel_hi:[1,1,0]
	v_mul_f32_e32 v25, v155, v109
	v_pk_fma_f32 v[2:3], v[4:5], v[112:113], v[2:3]
	v_fma_mix_f32 v25, v168, v175, -v25 op_sel_hi:[0,1,0]
	v_pk_mul_f32 v[2:3], v[2:3], v[108:109]
	v_add_f32_e32 v23, v23, v25
	v_sub_f32_e32 v2, v2, v3
	v_add_f32_e32 v23, v23, v2
	v_add_u32_e32 v2, 0x61c8, v146
	ds_read2_b32 v[2:3], v2 offset1:1
	v_mov_b32_e32 v25, 0
	s_waitcnt lgkmcnt(1)
	v_dot4c_i32_i8_e32 v25, v158, v18
	v_add_u32_e32 v18, 0x61d0, v146
	v_add_u32_e32 v108, 0x61d8, v146
	;; [unrolled: 1-line block ×3, first 2 shown]
	v_dot4c_i32_i8_e32 v25, v159, v19
	ds_read2_b32 v[18:19], v18 offset1:1
	ds_read2_b32 v[108:109], v108 offset1:1
	;; [unrolled: 1-line block ×3, first 2 shown]
	s_waitcnt lgkmcnt(3)
	v_dot4c_i32_i8_e32 v25, v2, v20
	v_dot4c_i32_i8_e32 v25, v3, v21
	s_waitcnt lgkmcnt(2)
	v_dot4c_i32_i8_e32 v25, v18, v14
	v_mov_b32_e32 v18, 0
	s_waitcnt lgkmcnt(0)
	v_dot4c_i32_i8_e32 v18, v112, v10
	v_add_u32_e32 v10, 0x61e8, v146
	v_dot4c_i32_i8_e32 v18, v113, v11
	ds_read2_b32 v[10:11], v10 offset1:1
	v_add_u32_e32 v14, 0x61f0, v146
	v_dot4c_i32_i8_e32 v25, v19, v15
	ds_read2_b32 v[14:15], v14 offset1:1
	v_dot4c_i32_i8_e32 v25, v108, v16
	v_add_u32_e32 v16, 0x61f8, v146
	v_dot4c_i32_i8_e32 v25, v109, v17
	ds_read2_b32 v[16:17], v16 offset1:1
	s_waitcnt lgkmcnt(2)
	v_dot4c_i32_i8_e32 v18, v10, v12
	v_dot4c_i32_i8_e32 v18, v11, v13
	s_waitcnt lgkmcnt(1)
	v_dot4c_i32_i8_e32 v18, v14, v6
	v_dot4c_i32_i8_e32 v18, v15, v7
	v_bfe_u32 v2, v110, 16, 8
	s_waitcnt lgkmcnt(0)
	v_dot4c_i32_i8_e32 v18, v16, v8
	v_lshrrev_b32_e32 v185, 24, v110
	v_mul_lo_u32 v2, v25, v2
	v_dot4c_i32_i8_e32 v18, v17, v9
	v_cvt_f32_i32_e32 v2, v2
	v_cvt_f32_f16_sdwa v7, v22 dst_sel:DWORD dst_unused:UNUSED_PAD src0_sel:WORD_1
	v_cvt_f32_ubyte2_e32 v3, v111
	v_mul_lo_u32 v6, v18, v185
	v_cvt_f32_i32_e32 v8, v6
	v_cvt_f32_f16_e32 v6, v22
	v_cvt_f32_ubyte3_e32 v9, v111
	v_pk_fma_f32 v[2:3], v[116:117], v[2:3], 0 op_sel_hi:[1,1,0]
	v_mul_f32_e32 v10, v170, v7
	v_pk_fma_f32 v[2:3], v[4:5], v[8:9], v[2:3]
	v_fma_mix_f32 v10, v169, v22, -v10 op_sel_hi:[0,1,0]
	v_pk_mul_f32 v[2:3], v[2:3], v[6:7]
	v_add_f32_e32 v10, v93, v10
	v_sub_f32_e32 v2, v2, v3
	v_add_f32_e32 v93, v10, v2
	s_cmp_ge_i32 s14, s15
	s_barrier
	s_cbranch_scc1 .LBB193_5
; %bb.13:                               ;   in Loop: Header=BB193_6 Depth=1
	v_cmp_gt_i32_e64 s[2:3], s5, v148
	s_and_b64 s[20:21], s[0:1], s[2:3]
	s_and_saveexec_b64 s[2:3], s[20:21]
	s_cbranch_execz .LBB193_15
; %bb.14:                               ;   in Loop: Header=BB193_6 Depth=1
	v_add_u32_e32 v2, v28, v148
	v_mad_i64_i32 v[2:3], s[20:21], v2, 36, v[26:27]
	global_load_dword v2, v[2:3], off offset:4
	s_waitcnt vmcnt(0)
	ds_write_b32 v140, v2
.LBB193_15:                             ;   in Loop: Header=BB193_6 Depth=1
	s_or_b64 exec, exec, s[2:3]
	s_and_saveexec_b64 s[20:21], vcc
	s_cbranch_execz .LBB193_4
; %bb.16:                               ;   in Loop: Header=BB193_6 Depth=1
	v_add_u32_e32 v2, 4, v24
	v_cmp_gt_i32_e64 s[2:3], s5, v2
	s_and_b64 s[2:3], s[0:1], s[2:3]
	s_and_b64 exec, exec, s[2:3]
	s_cbranch_execz .LBB193_4
; %bb.17:                               ;   in Loop: Header=BB193_6 Depth=1
	v_ashrrev_i32_e32 v25, 31, v24
	v_lshl_add_u64 v[2:3], v[28:29], 0, v[24:25]
	v_mad_u64_u32 v[4:5], s[2:3], v2, 36, s[18:19]
	v_mad_i32_i24 v5, v3, 36, v5
	global_load_dword v2, v[4:5], off
	s_waitcnt vmcnt(0)
	ds_write_b32 v141, v2
	s_branch .LBB193_4
.LBB193_18:
	v_mov_b32_e32 v23, 0
	v_mov_b32_e32 v95, 0
	v_mov_b32_e32 v94, 0
.LBB193_19:
	s_mul_i32 s0, s7, s4
	s_waitcnt vmcnt(0)
	v_cmp_gt_i32_e32 vcc, s0, v1
	s_and_saveexec_b64 s[0:1], vcc
	s_cbranch_execz .LBB193_28
; %bb.20:
	v_and_b32_e32 v0, 0x3ff, v0
	v_add_u32_e32 v2, s24, v0
	v_mul_lo_u32 v0, v1, s6
	v_cmp_gt_u32_e32 vcc, s6, v2
	s_and_saveexec_b64 s[0:1], vcc
	s_cbranch_execz .LBB193_22
; %bb.21:
	v_add_u32_e32 v4, v0, v2
	v_mov_b32_e32 v5, 0
	v_lshl_add_u64 v[4:5], v[4:5], 2, s[12:13]
	global_store_dword v[4:5], v94, off
.LBB193_22:
	s_or_b64 exec, exec, s[0:1]
	v_add_u32_e32 v1, 32, v2
	v_cmp_gt_u32_e32 vcc, s6, v1
	s_and_saveexec_b64 s[0:1], vcc
	s_cbranch_execz .LBB193_24
; %bb.23:
	v_add_u32_e32 v4, v0, v1
	v_mov_b32_e32 v5, 0
	v_lshl_add_u64 v[4:5], v[4:5], 2, s[12:13]
	global_store_dword v[4:5], v95, off
.LBB193_24:
	s_or_b64 exec, exec, s[0:1]
	v_add_u32_e32 v1, 64, v2
	;; [unrolled: 11-line block ×3, first 2 shown]
	v_cmp_gt_u32_e32 vcc, s6, v1
	s_and_b64 exec, exec, vcc
	s_cbranch_execz .LBB193_28
; %bb.27:
	v_add_u32_e32 v0, v0, v1
	v_mov_b32_e32 v1, 0
	v_lshl_add_u64 v[0:1], v[0:1], 2, s[12:13]
	global_store_dword v[0:1], v93, off
.LBB193_28:
	s_endpgm
	.section	.rodata,"a",@progbits
	.p2align	6, 0x0
	.amdhsa_kernel _ZL8moe_q5_KIfLb0EEvPKvS1_PT_PKiS5_S5_iiiiiii
		.amdhsa_group_segment_fixed_size 37072
		.amdhsa_private_segment_fixed_size 0
		.amdhsa_kernarg_size 76
		.amdhsa_user_sgpr_count 2
		.amdhsa_user_sgpr_dispatch_ptr 0
		.amdhsa_user_sgpr_queue_ptr 0
		.amdhsa_user_sgpr_kernarg_segment_ptr 1
		.amdhsa_user_sgpr_dispatch_id 0
		.amdhsa_user_sgpr_kernarg_preload_length 0
		.amdhsa_user_sgpr_kernarg_preload_offset 0
		.amdhsa_user_sgpr_private_segment_size 0
		.amdhsa_uses_dynamic_stack 0
		.amdhsa_enable_private_segment 0
		.amdhsa_system_sgpr_workgroup_id_x 1
		.amdhsa_system_sgpr_workgroup_id_y 1
		.amdhsa_system_sgpr_workgroup_id_z 0
		.amdhsa_system_sgpr_workgroup_info 0
		.amdhsa_system_vgpr_workitem_id 1
		.amdhsa_next_free_vgpr 191
		.amdhsa_next_free_sgpr 28
		.amdhsa_accum_offset 192
		.amdhsa_reserve_vcc 1
		.amdhsa_float_round_mode_32 0
		.amdhsa_float_round_mode_16_64 0
		.amdhsa_float_denorm_mode_32 3
		.amdhsa_float_denorm_mode_16_64 3
		.amdhsa_dx10_clamp 1
		.amdhsa_ieee_mode 1
		.amdhsa_fp16_overflow 0
		.amdhsa_tg_split 0
		.amdhsa_exception_fp_ieee_invalid_op 0
		.amdhsa_exception_fp_denorm_src 0
		.amdhsa_exception_fp_ieee_div_zero 0
		.amdhsa_exception_fp_ieee_overflow 0
		.amdhsa_exception_fp_ieee_underflow 0
		.amdhsa_exception_fp_ieee_inexact 0
		.amdhsa_exception_int_div_zero 0
	.end_amdhsa_kernel
	.section	.text._ZL8moe_q5_KIfLb0EEvPKvS1_PT_PKiS5_S5_iiiiiii,"axG",@progbits,_ZL8moe_q5_KIfLb0EEvPKvS1_PT_PKiS5_S5_iiiiiii,comdat
.Lfunc_end193:
	.size	_ZL8moe_q5_KIfLb0EEvPKvS1_PT_PKiS5_S5_iiiiiii, .Lfunc_end193-_ZL8moe_q5_KIfLb0EEvPKvS1_PT_PKiS5_S5_iiiiiii
                                        ; -- End function
	.section	.AMDGPU.csdata,"",@progbits
; Kernel info:
; codeLenInByte = 10140
; NumSgprs: 34
; NumVgprs: 191
; NumAgprs: 0
; TotalNumVgprs: 191
; ScratchSize: 0
; MemoryBound: 0
; FloatMode: 240
; IeeeMode: 1
; LDSByteSize: 37072 bytes/workgroup (compile time only)
; SGPRBlocks: 4
; VGPRBlocks: 23
; NumSGPRsForWavesPerEU: 34
; NumVGPRsForWavesPerEU: 191
; AccumOffset: 192
; Occupancy: 1
; WaveLimiterHint : 1
; COMPUTE_PGM_RSRC2:SCRATCH_EN: 0
; COMPUTE_PGM_RSRC2:USER_SGPR: 2
; COMPUTE_PGM_RSRC2:TRAP_HANDLER: 0
; COMPUTE_PGM_RSRC2:TGID_X_EN: 1
; COMPUTE_PGM_RSRC2:TGID_Y_EN: 1
; COMPUTE_PGM_RSRC2:TGID_Z_EN: 0
; COMPUTE_PGM_RSRC2:TIDIG_COMP_CNT: 1
; COMPUTE_PGM_RSRC3_GFX90A:ACCUM_OFFSET: 47
; COMPUTE_PGM_RSRC3_GFX90A:TG_SPLIT: 0
	.section	.text._ZL8moe_q5_KIfLb1EEvPKvS1_PT_PKiS5_S5_iiiiiii,"axG",@progbits,_ZL8moe_q5_KIfLb1EEvPKvS1_PT_PKiS5_S5_iiiiiii,comdat
	.globl	_ZL8moe_q5_KIfLb1EEvPKvS1_PT_PKiS5_S5_iiiiiii ; -- Begin function _ZL8moe_q5_KIfLb1EEvPKvS1_PT_PKiS5_S5_iiiiiii
	.p2align	8
	.type	_ZL8moe_q5_KIfLb1EEvPKvS1_PT_PKiS5_S5_iiiiiii,@function
_ZL8moe_q5_KIfLb1EEvPKvS1_PT_PKiS5_S5_iiiiiii: ; @_ZL8moe_q5_KIfLb1EEvPKvS1_PT_PKiS5_S5_iiiiiii
; %bb.0:
	s_load_dwordx4 s[4:7], s[0:1], 0x18
	s_mov_b32 s8, s3
	s_mov_b32 s9, 0
	s_lshl_b64 s[10:11], s[8:9], 2
	s_waitcnt lgkmcnt(0)
	s_add_u32 s6, s6, s10
	s_addc_u32 s7, s7, s11
	s_load_dword s3, s[6:7], 0x0
	s_waitcnt lgkmcnt(0)
	s_cmpk_gt_u32 s3, 0xff
	s_cbranch_scc1 .LBB194_28
; %bb.1:
	s_load_dwordx2 s[6:7], s[0:1], 0x28
	s_waitcnt lgkmcnt(0)
	s_load_dword s7, s[6:7], 0x0
	s_lshl_b32 s6, s8, 3
	s_waitcnt lgkmcnt(0)
	s_cmp_gt_u32 s6, s7
	s_cbranch_scc1 .LBB194_28
; %bb.2:
	v_bfe_u32 v4, v0, 10, 10
	v_mov_b32_e32 v2, s4
	v_mov_b32_e32 v3, s5
	v_add_u32_e32 v26, s6, v4
	v_mov_b32_e32 v27, 0
	v_lshl_add_u64 v[2:3], v[26:27], 2, v[2:3]
	global_load_dword v1, v[2:3], off
	s_load_dwordx8 s[4:11], s[0:1], 0x30
	s_load_dwordx2 s[16:17], s[0:1], 0x10
	s_waitcnt lgkmcnt(0)
	s_lshl_b32 s11, s2, 7
	s_mov_b32 s22, 0
	s_cmpk_lt_i32 s5, 0x100
	s_cbranch_scc1 .LBB194_18
; %bb.3:
	s_load_dwordx4 s[12:15], s[0:1], 0x0
	s_ashr_i32 s0, s5, 31
	s_lshr_b32 s0, s0, 24
	s_add_i32 s0, s5, s0
	s_ashr_i32 s26, s0, 8
	s_ashr_i32 s0, s8, 31
	s_lshr_b32 s0, s0, 27
	v_and_b32_e32 v24, 0x3ff, v0
	s_add_i32 s0, s8, s0
	v_lshlrev_b32_e32 v5, 1, v24
	v_and_b32_e32 v6, 7, v24
	s_ashr_i32 s8, s0, 5
	s_not_b32 s0, s11
	v_and_or_b32 v5, v5, 48, v6
	s_add_i32 s6, s0, s6
	v_lshlrev_b32_e32 v6, 2, v5
	v_add_u32_e32 v5, 8, v4
	v_lshrrev_b32_e32 v7, 5, v24
	v_min_i32_e32 v10, s6, v4
	s_movk_i32 s2, 0x104
	v_min_i32_e32 v5, s6, v5
	v_mul_lo_u32 v11, v10, s26
	v_mad_u64_u32 v[26:27], s[0:1], v10, s2, v[6:7]
	v_mul_lo_u32 v10, v5, s26
	v_mad_u64_u32 v[28:29], s[0:1], v5, s2, v[6:7]
	v_add_u32_e32 v5, 16, v4
	v_min_i32_e32 v5, s6, v5
	v_mul_lo_u32 v12, v5, s26
	v_mad_u64_u32 v[30:31], s[0:1], v5, s2, v[6:7]
	v_add_u32_e32 v5, 24, v4
	v_min_i32_e32 v5, s6, v5
	;; [unrolled: 4-line block ×14, first 2 shown]
	v_lshrrev_b32_e32 v9, 2, v24
	v_mul_lo_u32 v122, v5, s26
	v_mad_u64_u32 v[56:57], s[0:1], v5, s2, v[6:7]
	v_lshlrev_b32_e32 v5, 5, v4
	v_and_b32_e32 v148, 6, v9
	v_add_u32_e32 v6, v5, v24
	v_lshl_add_u32 v9, v4, 3, v9
	v_and_b32_e32 v29, 0x7f, v6
	v_and_b32_e32 v9, 0x7f, v9
	v_min_i32_e32 v29, s6, v29
	v_min_i32_e32 v37, s6, v9
	v_ashrrev_i32_e32 v31, 31, v29
	v_ashrrev_i32_e32 v39, 31, v37
	v_xor_b32_e32 v9, 64, v9
	v_lshrrev_b32_e32 v31, 27, v31
	v_lshrrev_b32_e32 v39, 29, v39
	v_min_i32_e32 v9, s6, v9
	v_add_u32_e32 v31, v29, v31
	v_mul_lo_u32 v130, v37, s26
	v_add_u32_e32 v39, v37, v39
	v_lshlrev_b32_e32 v139, 4, v37
	v_ashrrev_i32_e32 v37, 31, v9
	v_ashrrev_i32_e32 v31, 5, v31
	v_lshrrev_b32_e32 v37, 29, v37
	v_mul_lo_u32 v124, v29, s26
	v_lshlrev_b32_e32 v31, 2, v31
	v_lshlrev_b32_e32 v29, 2, v29
	s_mov_b32 s0, 0x8e40
	v_and_b32_e32 v35, 3, v24
	v_add_u32_e32 v37, v9, v37
	v_add3_u32 v29, v31, v29, s0
	v_add_u32_e32 v31, 0xfe, v35
	v_cmp_gt_u32_e32 vcc, 2, v35
	v_ashrrev_i32_e32 v39, 3, v39
	v_ashrrev_i32_e32 v37, 3, v37
	s_mul_i32 s18, s3, s4
	v_cndmask_b32_e32 v31, v31, v35, vcc
	v_cmp_ne_u32_e32 vcc, 0, v35
	v_cmp_lt_u32_e64 s[2:3], 1, v35
	v_lshlrev_b32_e32 v39, 2, v39
	v_lshlrev_b32_e32 v35, 2, v35
	s_mov_b32 s1, 0x8200
	v_lshlrev_b32_e32 v37, 2, v37
	v_add3_u32 v138, v39, v35, s1
	v_mul_lo_u32 v134, v9, s26
	v_add3_u32 v140, v37, v35, s1
	v_lshlrev_b32_e32 v141, 4, v9
	v_and_or_b32 v5, v24, 31, v5
	v_mov_b32_e32 v9, 0x8a40
	s_movk_i32 s1, 0xffe4
	v_lshlrev_b32_e32 v8, 2, v24
	v_lshl_add_u32 v35, v5, 2, v9
	v_mad_i32_i24 v5, v4, s1, v6
	v_mov_b32_e32 v6, 0x9050
	v_lshrrev_b32_e32 v39, 3, v24
	v_lshl_add_u32 v37, v5, 2, v6
	v_lshl_add_u32 v41, v4, 7, v9
	v_lshlrev_b32_e32 v43, 4, v4
	v_add_u32_e32 v4, v39, v8
	v_mov_b32_e32 v5, 0x8200
	v_lshl_add_u32 v45, v4, 2, v5
	v_lshlrev_b32_e32 v4, 2, v7
	v_add3_u32 v49, v4, v8, s0
	v_add_u32_e32 v4, 32, v24
	v_lshrrev_b32_e32 v51, 3, v4
	v_lshl_add_u32 v4, v4, 2, v51
	v_lshl_add_u32 v53, v4, 2, v5
	v_and_b32_e32 v4, 60, v51
	v_add3_u32 v55, v8, v4, s0
	v_add_u32_e32 v4, 64, v24
	v_lshrrev_b32_e32 v6, 3, v4
	v_lshl_add_u32 v4, v4, 2, v6
	s_abs_i32 s6, s10
	v_lshl_add_u32 v57, v4, 2, v5
	v_and_b32_e32 v4, 60, v6
	v_cvt_f32_u32_e32 v9, s6
	v_add3_u32 v150, v8, v4, s0
	v_add_u32_e32 v4, 0x60, v24
	v_lshrrev_b32_e32 v6, 3, v4
	v_lshl_add_u32 v4, v4, 2, v6
	v_lshl_add_u32 v151, v4, 2, v5
	v_rcp_iflag_f32_e32 v5, v9
	v_and_b32_e32 v4, 60, v6
	v_add3_u32 v152, v8, v4, s0
	s_sub_i32 s0, 0, s6
	v_mul_f32_e32 v5, 0x4f7ffffe, v5
	v_cvt_u32_f32_e32 v5, v5
	v_and_b32_e32 v22, 0x7c, v8
	v_and_b32_e32 v2, 28, v8
	v_and_b32_e32 v33, 0xff, v31
	v_and_b32_e32 v31, 4, v8
	v_mul_lo_u32 v8, s0, v5
	s_waitcnt vmcnt(0)
	v_sub_u32_e32 v6, 0, v1
	v_mul_hi_u32 v8, v5, v8
	v_max_i32_e32 v6, v1, v6
	v_add_u32_e32 v5, v5, v8
	v_mul_hi_u32 v5, v6, v5
	v_mul_lo_u32 v8, v5, s6
	v_sub_u32_e32 v6, v6, v8
	v_add_u32_e32 v8, 1, v5
	v_cmp_le_u32_e64 s[0:1], s6, v6
	v_xor_b32_e32 v4, s10, v1
	v_ashrrev_i32_e32 v4, 31, v4
	v_cndmask_b32_e64 v5, v5, v8, s[0:1]
	v_subrev_u32_e32 v8, s6, v6
	v_cndmask_b32_e64 v6, v6, v8, s[0:1]
	v_add_u32_e32 v8, 1, v5
	v_cmp_le_u32_e64 s[0:1], s6, v6
	s_mul_i32 s4, s26, s11
	s_mul_hi_i32 s25, s4, 0xb0
	v_cndmask_b32_e64 v5, v5, v8, s[0:1]
	v_xor_b32_e32 v5, v5, v4
	v_sub_u32_e32 v4, v5, v4
	s_mul_i32 s24, s4, 0xb0
	v_cmp_gt_i32_e64 s[0:1], s7, v4
	v_mul_lo_u32 v60, v4, s8
	s_movk_i32 s6, 0xb0
	v_mov_b64_e32 v[4:5], s[24:25]
	v_mov_b32_e32 v23, 0
	v_mad_u64_u32 v[4:5], s[28:29], v7, s6, v[4:5]
	v_mov_b32_e32 v3, v23
	v_mad_i64_i32 v[6:7], s[28:29], v11, s6, v[4:5]
	v_lshl_add_u64 v[8:9], v[6:7], 0, v[2:3]
	v_lshl_add_u64 v[6:7], v[6:7], 0, v[22:23]
	s_waitcnt lgkmcnt(0)
	v_lshl_add_u64 v[6:7], v[6:7], 0, s[12:13]
	v_lshl_add_u64 v[8:9], v[8:9], 0, s[12:13]
	v_lshl_add_u64 v[64:65], v[6:7], 0, 48
	v_mad_i64_i32 v[6:7], s[28:29], v10, s6, v[4:5]
	v_lshl_add_u64 v[62:63], v[8:9], 0, 16
	v_lshl_add_u64 v[8:9], v[6:7], 0, v[2:3]
	v_lshl_add_u64 v[6:7], v[6:7], 0, v[22:23]
	v_lshl_add_u64 v[6:7], v[6:7], 0, s[12:13]
	v_lshl_add_u64 v[8:9], v[8:9], 0, s[12:13]
	v_lshl_add_u64 v[68:69], v[6:7], 0, 48
	v_mad_i64_i32 v[6:7], s[28:29], v12, s6, v[4:5]
	v_lshl_add_u64 v[66:67], v[8:9], 0, 16
	v_lshl_add_u64 v[8:9], v[6:7], 0, v[2:3]
	v_lshl_add_u64 v[6:7], v[6:7], 0, v[22:23]
	;; [unrolled: 7-line block ×13, first 2 shown]
	v_lshl_add_u64 v[6:7], v[6:7], 0, s[12:13]
	s_ashr_i32 s19, s18, 31
	v_lshl_add_u64 v[8:9], v[8:9], 0, s[12:13]
	v_lshl_add_u64 v[116:117], v[6:7], 0, 48
	v_mad_i64_i32 v[6:7], s[28:29], v118, s6, v[4:5]
	v_mad_i64_i32 v[4:5], s[28:29], v122, s6, v[4:5]
	v_lshl_add_u64 v[58:59], s[14:15], 0, v[2:3]
	s_add_u32 s20, s14, 0x90
	v_lshl_add_u64 v[114:115], v[8:9], 0, 16
	v_lshl_add_u64 v[8:9], v[6:7], 0, v[2:3]
	;; [unrolled: 1-line block ×3, first 2 shown]
	s_addc_u32 s21, s15, 0
	v_lshl_add_u64 v[2:3], v[2:3], 0, s[12:13]
	v_lshl_add_u64 v[122:123], v[2:3], 0, 16
	;; [unrolled: 1-line block ×3, first 2 shown]
	s_add_u32 s24, s12, s24
	v_lshl_add_u64 v[6:7], v[6:7], 0, v[22:23]
	v_lshl_add_u64 v[2:3], v[2:3], 0, s[12:13]
	s_addc_u32 s25, s13, s25
	v_lshl_add_u64 v[6:7], v[6:7], 0, s[12:13]
	v_lshl_add_u64 v[126:127], v[2:3], 0, 48
	v_mov_b64_e32 v[2:3], s[24:25]
	v_addc_co_u32_e32 v125, vcc, 0, v33, vcc
	v_lshl_add_u64 v[120:121], v[6:7], 0, 48
	v_mad_i64_i32 v[128:129], s[24:25], v124, s6, v[2:3]
	v_mad_i64_i32 v[2:3], s[24:25], v130, s6, 0
	v_mov_b32_e32 v6, 0xb0
	v_mad_i64_i32 v[2:3], s[24:25], s4, v6, v[2:3]
	v_lshlrev_b32_e32 v22, 2, v125
	v_lshl_add_u64 v[4:5], v[2:3], 0, v[22:23]
	v_lshl_add_u64 v[4:5], v[4:5], 0, s[12:13]
	;; [unrolled: 1-line block ×3, first 2 shown]
	v_cndmask_b32_e64 v4, 0, 1, s[2:3]
	v_lshlrev_b32_e32 v7, 2, v4
	v_or_b32_e32 v2, v2, v7
	v_lshl_add_u64 v[2:3], v[2:3], 0, s[12:13]
	v_cndmask_b32_e64 v31, 0, v31, s[2:3]
	v_lshl_add_u64 v[132:133], v[2:3], 0, 4
	v_mad_i64_i32 v[2:3], s[2:3], v134, s6, 0
	v_mad_i64_i32 v[2:3], s[2:3], s4, v6, v[2:3]
	v_lshl_add_u64 v[4:5], v[2:3], 0, v[22:23]
	v_or_b32_e32 v2, v2, v7
	v_lshl_add_u64 v[8:9], v[8:9], 0, s[12:13]
	v_lshl_add_u64 v[4:5], v[4:5], 0, s[12:13]
	;; [unrolled: 1-line block ×3, first 2 shown]
	s_mov_b32 s23, s22
	v_or_b32_e32 v149, 1, v148
	v_lshlrev_b32_e32 v33, 1, v33
	v_cmp_gt_u32_e32 vcc, 4, v24
	v_mul_u32_u24_e32 v47, 0x104, v24
	v_ashrrev_i32_e32 v61, 31, v60
	v_lshl_add_u64 v[118:119], v[8:9], 0, 16
	v_lshl_add_u64 v[134:135], v[4:5], 0, 4
	;; [unrolled: 1-line block ×3, first 2 shown]
	s_movk_i32 s4, 0x80
	v_mov_b64_e32 v[124:125], s[22:23]
	s_mov_b32 s6, 0x10101010
	s_mov_b32 s24, 0x30303030
	v_add_u32_e32 v22, v138, v139
	v_add_u32_e32 v153, v140, v141
	s_mov_b64 s[12:13], 0xb0
	v_mov_b32_e32 v27, v23
	s_branch .LBB194_6
.LBB194_4:                              ;   in Loop: Header=BB194_6 Depth=1
	s_or_b64 exec, exec, s[22:23]
	s_waitcnt lgkmcnt(0)
	s_barrier
	ds_read_b128 v[18:21], v41
	ds_read_b128 v[14:17], v41 offset:16
	ds_read_b128 v[2:5], v43 offset:36944
	ds_read2_b32 v[138:139], v47 offset0:32 offset1:33
	ds_read_b128 v[10:13], v41 offset:32
	ds_read_b128 v[6:9], v41 offset:48
	ds_read_b32 v25, v49
	ds_read2_b32 v[140:141], v47 offset0:34 offset1:35
	v_mov_b32_e32 v161, 0
	s_waitcnt lgkmcnt(4)
	v_dot4c_i32_i8_e32 v161, v138, v18
	v_dot4c_i32_i8_e32 v161, v139, v19
	ds_read2_b32 v[142:143], v47 offset0:36 offset1:37
	ds_read2_b32 v[144:145], v47 offset0:38 offset1:39
	;; [unrolled: 1-line block ×3, first 2 shown]
	s_waitcnt lgkmcnt(3)
	v_dot4c_i32_i8_e32 v161, v140, v20
	v_dot4c_i32_i8_e32 v161, v141, v21
	ds_read2_b32 v[140:141], v47 offset0:42 offset1:43
	v_mov_b32_e32 v172, 0
	s_waitcnt lgkmcnt(3)
	v_dot4c_i32_i8_e32 v161, v142, v14
	s_waitcnt lgkmcnt(1)
	v_dot4c_i32_i8_e32 v172, v146, v10
	v_dot4c_i32_i8_e32 v161, v143, v15
	;; [unrolled: 1-line block ×4, first 2 shown]
	s_waitcnt lgkmcnt(0)
	v_dot4c_i32_i8_e32 v172, v140, v12
	v_cvt_f32_f16_e32 v160, v25
	v_cvt_f32_f16_sdwa v162, v25 dst_sel:DWORD dst_unused:UNUSED_PAD src0_sel:WORD_1
	v_add_u32_e32 v25, 0x2100, v47
	ds_read2_b32 v[138:139], v45 offset0:1 offset1:3
	v_dot4c_i32_i8_e32 v161, v145, v17
	ds_read2_b32 v[142:143], v47 offset0:44 offset1:45
	ds_read2_b32 v[144:145], v47 offset0:46 offset1:47
	ds_read2_b32 v[146:147], v47 offset0:48 offset1:49
	v_dot4c_i32_i8_e32 v172, v141, v13
	ds_read2_b32 v[154:155], v47 offset0:58 offset1:59
	ds_read2_b32 v[156:157], v47 offset0:60 offset1:61
	;; [unrolled: 1-line block ×3, first 2 shown]
	ds_read2_b32 v[140:141], v25 offset1:1
	v_mov_b32_e32 v168, 0
	ds_read_b32 v173, v55 offset:128
	ds_read_b32 v174, v150 offset:256
	;; [unrolled: 1-line block ×3, first 2 shown]
	s_waitcnt lgkmcnt(9)
	v_dot4c_i32_i8_e32 v172, v142, v6
	v_dot4c_i32_i8_e32 v172, v143, v7
	s_waitcnt lgkmcnt(3)
	v_dot4c_i32_i8_e32 v168, v140, v18
	v_add_u32_e32 v140, 0x2108, v47
	v_dot4c_i32_i8_e32 v168, v141, v19
	ds_read2_b32 v[140:141], v140 offset1:1
	v_dot4c_i32_i8_e32 v172, v144, v8
	v_add_u32_e32 v142, 0x2110, v47
	v_dot4c_i32_i8_e32 v172, v145, v9
	v_add_u32_e32 v144, 0x2118, v47
	v_add_u32_e32 v145, 0x2120, v47
	ds_read2_b32 v[142:143], v142 offset1:1
	ds_read2_b32 v[164:165], v144 offset1:1
	;; [unrolled: 1-line block ×3, first 2 shown]
	s_waitcnt lgkmcnt(3)
	v_dot4c_i32_i8_e32 v168, v140, v20
	ds_read2_b32 v[144:145], v53 offset0:1 offset1:3
	v_dot4c_i32_i8_e32 v168, v141, v21
	s_waitcnt lgkmcnt(3)
	v_dot4c_i32_i8_e32 v168, v142, v14
	v_dot4c_i32_i8_e32 v168, v143, v15
	s_waitcnt lgkmcnt(2)
	v_dot4c_i32_i8_e32 v168, v164, v16
	v_dot4c_i32_i8_e32 v168, v165, v17
	s_waitcnt lgkmcnt(0)
	v_and_b32_e32 v140, 0xff, v144
	v_add_u32_e32 v142, 0x2130, v47
	v_add_u32_e32 v164, 0x2138, v47
	v_mul_lo_u32 v140, v168, v140
	v_cvt_f32_i32_e32 v176, v140
	v_add_u32_e32 v140, 0x2128, v47
	ds_read2_b32 v[140:141], v140 offset1:1
	v_mov_b32_e32 v168, 0
	v_dot4c_i32_i8_e32 v168, v166, v10
	v_add_u32_e32 v166, 0x4180, v47
	v_dot4c_i32_i8_e32 v168, v167, v11
	ds_read2_b32 v[142:143], v142 offset1:1
	ds_read2_b32 v[164:165], v164 offset1:1
	;; [unrolled: 1-line block ×3, first 2 shown]
	s_waitcnt lgkmcnt(3)
	v_dot4c_i32_i8_e32 v168, v140, v12
	v_dot4c_i32_i8_e32 v168, v141, v13
	s_waitcnt lgkmcnt(2)
	v_dot4c_i32_i8_e32 v168, v142, v6
	v_dot4c_i32_i8_e32 v168, v143, v7
	;; [unrolled: 3-line block ×3, first 2 shown]
	v_bfe_u32 v140, v144, 8, 8
	v_mov_b32_e32 v170, 0
	s_waitcnt lgkmcnt(0)
	v_dot4c_i32_i8_e32 v170, v166, v18
	v_mul_lo_u32 v140, v168, v140
	v_cvt_f32_i32_e32 v178, v140
	v_add_u32_e32 v140, 0x4188, v47
	ds_read2_b32 v[140:141], v140 offset1:1
	v_add_u32_e32 v142, 0x4190, v47
	v_add_u32_e32 v168, 0x41a0, v47
	v_dot4c_i32_i8_e32 v170, v167, v19
	v_add_u32_e32 v143, 0x4198, v47
	ds_read2_b32 v[164:165], v142 offset1:1
	ds_read2_b32 v[166:167], v143 offset1:1
	;; [unrolled: 1-line block ×3, first 2 shown]
	s_waitcnt lgkmcnt(3)
	v_dot4c_i32_i8_e32 v170, v140, v20
	ds_read2_b32 v[142:143], v57 offset0:1 offset1:3
	v_dot4c_i32_i8_e32 v170, v141, v21
	s_waitcnt lgkmcnt(3)
	v_dot4c_i32_i8_e32 v170, v164, v14
	v_dot4c_i32_i8_e32 v170, v165, v15
	s_waitcnt lgkmcnt(2)
	v_dot4c_i32_i8_e32 v170, v166, v16
	v_dot4c_i32_i8_e32 v170, v167, v17
	s_waitcnt lgkmcnt(0)
	v_and_b32_e32 v140, 0xff, v142
	v_add_u32_e32 v164, 0x41b0, v47
	v_add_u32_e32 v166, 0x41b8, v47
	v_mul_lo_u32 v140, v170, v140
	v_cvt_f32_i32_e32 v181, v140
	v_add_u32_e32 v140, 0x41a8, v47
	ds_read2_b32 v[140:141], v140 offset1:1
	v_mov_b32_e32 v170, 0
	v_dot4c_i32_i8_e32 v170, v168, v10
	v_add_u32_e32 v168, 0x6200, v47
	v_dot4c_i32_i8_e32 v170, v169, v11
	ds_read2_b32 v[164:165], v164 offset1:1
	ds_read2_b32 v[166:167], v166 offset1:1
	;; [unrolled: 1-line block ×3, first 2 shown]
	s_waitcnt lgkmcnt(3)
	v_dot4c_i32_i8_e32 v170, v140, v12
	v_dot4c_i32_i8_e32 v170, v141, v13
	s_waitcnt lgkmcnt(2)
	v_dot4c_i32_i8_e32 v170, v164, v6
	v_dot4c_i32_i8_e32 v170, v165, v7
	;; [unrolled: 3-line block ×3, first 2 shown]
	v_bfe_u32 v140, v142, 8, 8
	v_add_u32_e32 v141, 0x6218, v47
	v_mov_b32_e32 v190, 0
	v_mul_lo_u32 v140, v170, v140
	v_mov_b32_e32 v170, 0
	s_waitcnt lgkmcnt(0)
	v_dot4c_i32_i8_e32 v170, v168, v18
	v_add_u32_e32 v18, 0x6208, v47
	v_dot4c_i32_i8_e32 v170, v169, v19
	ds_read2_b32 v[18:19], v18 offset1:1
	v_cvt_f32_i32_e32 v183, v140
	v_add_u32_e32 v140, 0x6210, v47
	v_add_u32_e32 v168, 0x6220, v47
	ds_read2_b32 v[164:165], v140 offset1:1
	ds_read2_b32 v[166:167], v141 offset1:1
	;; [unrolled: 1-line block ×3, first 2 shown]
	s_waitcnt lgkmcnt(3)
	v_dot4c_i32_i8_e32 v170, v18, v20
	ds_read2_b32 v[140:141], v151 offset0:1 offset1:3
	v_dot4c_i32_i8_e32 v170, v19, v21
	s_waitcnt lgkmcnt(3)
	v_dot4c_i32_i8_e32 v170, v164, v14
	v_mov_b32_e32 v18, 0
	v_dot4c_i32_i8_e32 v170, v165, v15
	s_waitcnt lgkmcnt(1)
	v_dot4c_i32_i8_e32 v18, v168, v10
	v_add_u32_e32 v10, 0x6228, v47
	v_dot4c_i32_i8_e32 v170, v166, v16
	v_dot4c_i32_i8_e32 v18, v169, v11
	ds_read2_b32 v[10:11], v10 offset1:1
	v_dot4c_i32_i8_e32 v170, v167, v17
	s_waitcnt lgkmcnt(1)
	v_and_b32_e32 v14, 0xff, v140
	v_add_u32_e32 v16, 0x6238, v47
	v_add_u32_e32 v19, 0x2140, v47
	v_mul_lo_u32 v14, v170, v14
	v_cvt_f32_i32_e32 v186, v14
	v_add_u32_e32 v14, 0x6230, v47
	ds_read2_b32 v[14:15], v14 offset1:1
	ds_read2_b32 v[16:17], v16 offset1:1
	;; [unrolled: 1-line block ×3, first 2 shown]
	s_waitcnt lgkmcnt(3)
	v_dot4c_i32_i8_e32 v18, v10, v12
	v_dot4c_i32_i8_e32 v18, v11, v13
	s_waitcnt lgkmcnt(2)
	v_dot4c_i32_i8_e32 v18, v14, v6
	v_dot4c_i32_i8_e32 v18, v15, v7
	;; [unrolled: 3-line block ×3, first 2 shown]
	v_bfe_u32 v6, v140, 8, 8
	v_lshrrev_b32_e32 v163, 24, v138
	v_cvt_f32_ubyte0_e32 v177, v145
	v_mul_lo_u32 v6, v18, v6
	v_cvt_f32_i32_e32 v188, v6
	ds_read_b128 v[18:21], v41 offset:64
	ds_read_b128 v[14:17], v41 offset:80
	;; [unrolled: 1-line block ×4, first 2 shown]
	ds_read2_b32 v[166:167], v47 offset0:50 offset1:51
	s_waitcnt lgkmcnt(4)
	v_dot4c_i32_i8_e32 v190, v146, v18
	v_dot4c_i32_i8_e32 v190, v147, v19
	ds_read2_b32 v[146:147], v47 offset0:52 offset1:53
	ds_read2_b32 v[168:169], v47 offset0:54 offset1:55
	;; [unrolled: 1-line block ×3, first 2 shown]
	v_cvt_f32_ubyte0_e32 v182, v143
	s_waitcnt lgkmcnt(3)
	v_dot4c_i32_i8_e32 v190, v166, v20
	v_mov_b32_e32 v166, 0
	v_dot4c_i32_i8_e32 v190, v167, v21
	s_waitcnt lgkmcnt(0)
	v_dot4c_i32_i8_e32 v166, v170, v10
	v_dot4c_i32_i8_e32 v166, v171, v11
	;; [unrolled: 1-line block ×10, first 2 shown]
	v_cvt_f32_f16_e32 v155, v4
	v_cvt_f32_f16_sdwa v147, v4 dst_sel:DWORD dst_unused:UNUSED_PAD src0_sel:WORD_1
	v_and_b32_e32 v4, 0xff, v138
	v_bfe_u32 v156, v138, 16, 8
	v_dot4c_i32_i8_e32 v166, v158, v8
	v_mul_lo_u32 v4, v161, v4
	v_mul_lo_u32 v156, v190, v156
	v_dot4c_i32_i8_e32 v166, v159, v9
	v_cvt_f32_f16_e32 v154, v2
	v_cvt_f32_i32_e32 v159, v156
	v_cvt_f32_i32_e32 v158, v4
	v_bfe_u32 v138, v138, 8, 8
	v_mul_lo_u32 v138, v172, v138
	v_cvt_f32_f16_sdwa v146, v2 dst_sel:DWORD dst_unused:UNUSED_PAD src0_sel:WORD_1
	v_pk_fma_f32 v[158:159], v[154:155], v[158:159], 0 op_sel_hi:[1,1,0]
	v_mul_lo_u32 v154, v166, v163
	v_cvt_f32_f16_e32 v157, v5
	v_cvt_f32_f16_e32 v156, v3
	v_cvt_f32_i32_e32 v167, v154
	v_cvt_f32_i32_e32 v166, v138
	v_cvt_f32_f16_sdwa v5, v5 dst_sel:DWORD dst_unused:UNUSED_PAD src0_sel:WORD_1
	v_cvt_f32_f16_sdwa v4, v3 dst_sel:DWORD dst_unused:UNUSED_PAD src0_sel:WORD_1
	v_cvt_f32_ubyte2_e32 v169, v139
	v_cvt_f32_ubyte0_e32 v168, v139
	v_cvt_f32_ubyte0_e32 v187, v141
	v_pk_fma_f32 v[168:169], v[146:147], v[168:169], 0 op_sel_hi:[1,1,0]
	v_pk_fma_f32 v[158:159], v[156:157], v[166:167], v[158:159]
	v_cvt_f32_ubyte3_e32 v167, v139
	v_cvt_f32_ubyte1_e32 v166, v139
	v_fma_mix_f32 v154, v2, v181, 0 op_sel_hi:[1,0,0]
	v_cvt_f32_ubyte1_e32 v189, v141
	v_pk_fma_f32 v[138:139], v[4:5], v[166:167], v[168:169]
	v_fma_mix_f32 v4, v2, v176, 0 op_sel_hi:[1,0,0]
	v_fma_mix_f32 v146, v2, v177, 0 op_sel:[1,0,0] op_sel_hi:[1,0,0]
	v_fma_mix_f32 v156, v2, v182, 0 op_sel:[1,0,0] op_sel_hi:[1,0,0]
	v_fma_mix_f32 v166, v3, v183, v154 op_sel_hi:[1,0,0]
	v_fma_mix_f32 v154, v2, v186, 0 op_sel_hi:[1,0,0]
	v_fma_mix_f32 v2, v2, v187, 0 op_sel:[1,0,0] op_sel_hi:[1,0,0]
	v_cvt_f32_ubyte1_e32 v179, v145
	v_cvt_f32_ubyte1_e32 v184, v143
	v_fma_mix_f32 v169, v3, v189, v2 op_sel:[1,0,0] op_sel_hi:[1,0,0]
	v_add_u32_e32 v2, 0x2148, v47
	v_fma_mix_f32 v4, v3, v178, v4 op_sel_hi:[1,0,0]
	v_fma_mix_f32 v146, v3, v179, v146 op_sel:[1,0,0] op_sel_hi:[1,0,0]
	v_fma_mix_f32 v167, v3, v184, v156 op_sel:[1,0,0] op_sel_hi:[1,0,0]
	v_fma_mix_f32 v168, v3, v188, v154 op_sel_hi:[1,0,0]
	ds_read2_b32 v[2:3], v2 offset1:1
	v_pk_mul_f32 v[138:139], v[138:139], v[162:163] op_sel_hi:[1,0]
	v_mov_b32_e32 v154, 0
	v_pk_fma_f32 v[138:139], v[158:159], v[160:161], v[138:139] op_sel_hi:[1,0,1] neg_lo:[0,0,1] neg_hi:[0,0,1]
	v_dot4c_i32_i8_e32 v154, v164, v18
	v_add_u32_e32 v156, 0x2150, v47
	v_add_u32_e32 v160, 0x2158, v47
	;; [unrolled: 1-line block ×3, first 2 shown]
	v_dot4c_i32_i8_e32 v154, v165, v19
	ds_read2_b32 v[158:159], v156 offset1:1
	ds_read2_b32 v[160:161], v160 offset1:1
	;; [unrolled: 1-line block ×3, first 2 shown]
	s_waitcnt lgkmcnt(3)
	v_dot4c_i32_i8_e32 v154, v2, v20
	v_dot4c_i32_i8_e32 v154, v3, v21
	s_waitcnt lgkmcnt(2)
	v_dot4c_i32_i8_e32 v154, v158, v14
	v_dot4c_i32_i8_e32 v154, v159, v15
	;; [unrolled: 3-line block ×3, first 2 shown]
	v_bfe_u32 v2, v144, 16, 8
	v_lshrrev_b32_e32 v175, 24, v144
	v_mov_b32_e32 v144, 0
	v_mul_lo_u32 v2, v154, v2
	v_add_u32_e32 v154, 0x2168, v47
	ds_read2_b32 v[158:159], v154 offset1:1
	s_waitcnt lgkmcnt(1)
	v_dot4c_i32_i8_e32 v144, v162, v10
	v_add_u32_e32 v156, 0x2170, v47
	v_add_u32_e32 v162, 0x2178, v47
	v_dot4c_i32_i8_e32 v144, v163, v11
	v_add_u32_e32 v154, 0x41c0, v47
	ds_read2_b32 v[160:161], v156 offset1:1
	ds_read2_b32 v[162:163], v162 offset1:1
	;; [unrolled: 1-line block ×3, first 2 shown]
	s_waitcnt lgkmcnt(3)
	v_dot4c_i32_i8_e32 v144, v158, v12
	v_dot4c_i32_i8_e32 v144, v159, v13
	s_waitcnt lgkmcnt(2)
	v_dot4c_i32_i8_e32 v144, v160, v6
	v_dot4c_i32_i8_e32 v144, v161, v7
	s_waitcnt lgkmcnt(1)
	v_dot4c_i32_i8_e32 v144, v162, v8
	v_cvt_f32_f16_sdwa v159, v173 dst_sel:DWORD dst_unused:UNUSED_PAD src0_sel:WORD_1
	v_dot4c_i32_i8_e32 v144, v163, v9
	v_cvt_f32_i32_e32 v2, v2
	v_cvt_f32_f16_e32 v158, v173
	v_mul_f32_e32 v146, v146, v159
	v_mul_lo_u32 v144, v144, v175
	v_cvt_f32_i32_e32 v144, v144
	v_cvt_f32_ubyte2_e32 v3, v145
	v_fma_mix_f32 v161, v4, v173, -v146 op_sel_hi:[0,1,0]
	v_mov_b32_e32 v146, v155
	v_cvt_f32_ubyte3_e32 v145, v145
	v_pk_fma_f32 v[2:3], v[146:147], v[2:3], 0 op_sel_hi:[1,1,0]
	v_mov_b32_e32 v4, v157
	v_pk_fma_f32 v[2:3], v[4:5], v[144:145], v[2:3]
	v_mov_b32_e32 v160, v138
	v_pk_mul_f32 v[144:145], v[2:3], v[158:159]
	v_pk_add_f32 v[124:125], v[124:125], v[160:161]
	v_mov_b32_e32 v145, v144
	v_pk_fma_f32 v[2:3], v[2:3], v[158:159], v[144:145] neg_lo:[1,0,0] neg_hi:[1,0,0]
	v_mov_b32_e32 v156, 0
	v_mov_b32_e32 v2, v139
	v_pk_add_f32 v[124:125], v[124:125], v[2:3]
	v_add_u32_e32 v2, 0x41c8, v47
	ds_read2_b32 v[2:3], v2 offset1:1
	s_waitcnt lgkmcnt(1)
	v_dot4c_i32_i8_e32 v156, v164, v18
	v_add_u32_e32 v138, 0x41d0, v47
	v_add_u32_e32 v144, 0x41d8, v47
	;; [unrolled: 1-line block ×3, first 2 shown]
	v_dot4c_i32_i8_e32 v156, v165, v19
	ds_read2_b32 v[138:139], v138 offset1:1
	ds_read2_b32 v[144:145], v144 offset1:1
	ds_read2_b32 v[154:155], v154 offset1:1
	s_waitcnt lgkmcnt(3)
	v_dot4c_i32_i8_e32 v156, v2, v20
	v_dot4c_i32_i8_e32 v156, v3, v21
	s_waitcnt lgkmcnt(2)
	v_dot4c_i32_i8_e32 v156, v138, v14
	v_add_u32_e32 v138, 0x41e8, v47
	v_dot4c_i32_i8_e32 v156, v139, v15
	ds_read2_b32 v[138:139], v138 offset1:1
	s_waitcnt lgkmcnt(2)
	v_dot4c_i32_i8_e32 v156, v144, v16
	v_lshrrev_b32_e32 v180, 24, v142
	v_dot4c_i32_i8_e32 v156, v145, v17
	v_bfe_u32 v2, v142, 16, 8
	v_mov_b32_e32 v142, 0
	s_waitcnt lgkmcnt(1)
	v_dot4c_i32_i8_e32 v142, v154, v10
	v_mul_lo_u32 v2, v156, v2
	v_add_u32_e32 v144, 0x41f0, v47
	v_add_u32_e32 v154, 0x41f8, v47
	;; [unrolled: 1-line block ×3, first 2 shown]
	v_dot4c_i32_i8_e32 v142, v155, v11
	ds_read2_b32 v[144:145], v144 offset1:1
	ds_read2_b32 v[154:155], v154 offset1:1
	;; [unrolled: 1-line block ×3, first 2 shown]
	s_waitcnt lgkmcnt(3)
	v_dot4c_i32_i8_e32 v142, v138, v12
	v_dot4c_i32_i8_e32 v142, v139, v13
	s_waitcnt lgkmcnt(2)
	v_dot4c_i32_i8_e32 v142, v144, v6
	v_dot4c_i32_i8_e32 v142, v145, v7
	;; [unrolled: 3-line block ×3, first 2 shown]
	v_cvt_f32_i32_e32 v2, v2
	v_cvt_f32_f16_sdwa v139, v174 dst_sel:DWORD dst_unused:UNUSED_PAD src0_sel:WORD_1
	v_cvt_f32_ubyte2_e32 v3, v143
	v_mul_lo_u32 v138, v142, v180
	v_cvt_f32_i32_e32 v142, v138
	v_cvt_f32_f16_e32 v138, v174
	v_cvt_f32_ubyte3_e32 v143, v143
	v_pk_fma_f32 v[2:3], v[146:147], v[2:3], 0 op_sel_hi:[1,1,0]
	v_mul_f32_e32 v144, v167, v139
	v_pk_fma_f32 v[2:3], v[4:5], v[142:143], v[2:3]
	v_fma_mix_f32 v144, v166, v174, -v144 op_sel_hi:[0,1,0]
	v_pk_mul_f32 v[2:3], v[2:3], v[138:139]
	v_add_f32_e32 v23, v23, v144
	v_sub_f32_e32 v2, v2, v3
	v_add_f32_e32 v23, v23, v2
	v_add_u32_e32 v2, 0x6248, v47
	ds_read2_b32 v[2:3], v2 offset1:1
	v_mov_b32_e32 v144, 0
	s_waitcnt lgkmcnt(1)
	v_dot4c_i32_i8_e32 v144, v156, v18
	v_add_u32_e32 v18, 0x6250, v47
	v_add_u32_e32 v138, 0x6258, v47
	v_add_u32_e32 v142, 0x6260, v47
	v_dot4c_i32_i8_e32 v144, v157, v19
	ds_read2_b32 v[18:19], v18 offset1:1
	ds_read2_b32 v[138:139], v138 offset1:1
	;; [unrolled: 1-line block ×3, first 2 shown]
	s_waitcnt lgkmcnt(3)
	v_dot4c_i32_i8_e32 v144, v2, v20
	v_dot4c_i32_i8_e32 v144, v3, v21
	s_waitcnt lgkmcnt(2)
	v_dot4c_i32_i8_e32 v144, v18, v14
	v_mov_b32_e32 v18, 0
	s_waitcnt lgkmcnt(0)
	v_dot4c_i32_i8_e32 v18, v142, v10
	v_add_u32_e32 v10, 0x6268, v47
	v_dot4c_i32_i8_e32 v18, v143, v11
	ds_read2_b32 v[10:11], v10 offset1:1
	v_add_u32_e32 v14, 0x6270, v47
	v_dot4c_i32_i8_e32 v144, v19, v15
	ds_read2_b32 v[14:15], v14 offset1:1
	v_dot4c_i32_i8_e32 v144, v138, v16
	v_add_u32_e32 v16, 0x6278, v47
	v_dot4c_i32_i8_e32 v144, v139, v17
	ds_read2_b32 v[16:17], v16 offset1:1
	s_waitcnt lgkmcnt(2)
	v_dot4c_i32_i8_e32 v18, v10, v12
	v_dot4c_i32_i8_e32 v18, v11, v13
	s_waitcnt lgkmcnt(1)
	v_dot4c_i32_i8_e32 v18, v14, v6
	v_dot4c_i32_i8_e32 v18, v15, v7
	v_bfe_u32 v2, v140, 16, 8
	s_waitcnt lgkmcnt(0)
	v_dot4c_i32_i8_e32 v18, v16, v8
	v_lshrrev_b32_e32 v185, 24, v140
	v_mul_lo_u32 v2, v144, v2
	v_dot4c_i32_i8_e32 v18, v17, v9
	v_cvt_f32_i32_e32 v2, v2
	v_cvt_f32_f16_sdwa v7, v25 dst_sel:DWORD dst_unused:UNUSED_PAD src0_sel:WORD_1
	v_cvt_f32_ubyte2_e32 v3, v141
	v_mul_lo_u32 v6, v18, v185
	v_cvt_f32_i32_e32 v8, v6
	v_cvt_f32_f16_e32 v6, v25
	v_cvt_f32_ubyte3_e32 v9, v141
	v_pk_fma_f32 v[2:3], v[146:147], v[2:3], 0 op_sel_hi:[1,1,0]
	v_mul_f32_e32 v10, v169, v7
	v_pk_fma_f32 v[2:3], v[4:5], v[8:9], v[2:3]
	v_fma_mix_f32 v10, v168, v25, -v10 op_sel_hi:[0,1,0]
	v_pk_mul_f32 v[2:3], v[2:3], v[6:7]
	v_add_f32_e32 v10, v27, v10
	v_sub_f32_e32 v2, v2, v3
	v_add_f32_e32 v27, v10, v2
	s_barrier
.LBB194_5:                              ;   in Loop: Header=BB194_6 Depth=1
	s_add_i32 s26, s26, -1
	s_addk_i32 s4, 0x100
	v_add_u32_e32 v24, 8, v24
	v_add_u32_e32 v51, 8, v51
	;; [unrolled: 1-line block ×3, first 2 shown]
	v_lshl_add_u64 v[62:63], v[62:63], 0, s[12:13]
	v_lshl_add_u64 v[64:65], v[64:65], 0, s[12:13]
	;; [unrolled: 1-line block ×36, first 2 shown]
	s_cmp_eq_u32 s26, 0
	v_lshl_add_u64 v[136:137], v[136:137], 0, s[12:13]
	s_cbranch_scc1 .LBB194_19
.LBB194_6:                              ; =>This Inner Loop Header: Depth=1
	v_lshl_add_u64 v[2:3], v[64:65], 0, s[18:19]
	global_load_dword v12, v[2:3], off
	v_lshl_add_u64 v[2:3], v[62:63], 0, s[18:19]
	global_load_dword v13, v[2:3], off
	;; [unrolled: 2-line block ×12, first 2 shown]
	v_lshl_add_u64 v[2:3], v[88:89], 0, s[18:19]
	v_lshl_add_u64 v[4:5], v[86:87], 0, s[18:19]
	global_load_dword v139, v[2:3], off
	global_load_dword v140, v[4:5], off
	v_lshl_add_u64 v[6:7], v[92:93], 0, s[18:19]
	v_lshl_add_u64 v[8:9], v[90:91], 0, s[18:19]
	;; [unrolled: 1-line block ×5, first 2 shown]
	global_load_dword v6, v[6:7], off
	s_nop 0
	global_load_dword v7, v[8:9], off
	s_nop 0
	global_load_dword v8, v[2:3], off
	global_load_dword v9, v[10:11], off
	s_nop 0
	global_load_dword v4, v[4:5], off
	s_add_i32 s2, s4, 0xffffff80
	s_cmp_lt_i32 s2, s5
	s_waitcnt vmcnt(18)
	v_lshrrev_b32_e32 v3, 4, v12
	v_and_b32_e32 v2, 0xf0f0f0f, v12
	s_waitcnt vmcnt(17)
	v_ashrrev_i32_e32 v5, v148, v13
	v_ashrrev_i32_e32 v10, v149, v13
	s_waitcnt vmcnt(16)
	v_and_b32_e32 v11, 0xf0f0f0f, v14
	v_lshrrev_b32_e32 v12, 4, v14
	s_waitcnt vmcnt(15)
	v_ashrrev_i32_e32 v13, v148, v15
	v_ashrrev_i32_e32 v14, v149, v15
	s_waitcnt vmcnt(14)
	v_and_b32_e32 v15, 0xf0f0f0f, v16
	v_lshrrev_b32_e32 v16, 4, v16
	;; [unrolled: 6-line block ×3, first 2 shown]
	s_waitcnt vmcnt(11)
	v_ashrrev_i32_e32 v143, v148, v19
	v_ashrrev_i32_e32 v19, v149, v19
	v_and_b32_e32 v3, 0xf0f0f0f, v3
	v_lshlrev_b32_e32 v5, 4, v5
	v_lshlrev_b32_e32 v10, 4, v10
	s_waitcnt vmcnt(10)
	v_and_b32_e32 v144, 0xf0f0f0f, v20
	v_lshrrev_b32_e32 v20, 4, v20
	s_waitcnt vmcnt(9)
	v_ashrrev_i32_e32 v145, v148, v21
	v_ashrrev_i32_e32 v21, v149, v21
	v_and_b32_e32 v12, 0xf0f0f0f, v12
	v_lshlrev_b32_e32 v13, 4, v13
	v_lshlrev_b32_e32 v14, 4, v14
	v_and_b32_e32 v16, 0xf0f0f0f, v16
	v_lshlrev_b32_e32 v141, 4, v141
	v_lshlrev_b32_e32 v17, 4, v17
	;; [unrolled: 3-line block ×3, first 2 shown]
	v_and_or_b32 v2, v5, s6, v2
	v_and_or_b32 v3, v10, s6, v3
	v_and_b32_e32 v20, 0xf0f0f0f, v20
	v_lshlrev_b32_e32 v145, 4, v145
	v_lshlrev_b32_e32 v21, 4, v21
	v_and_or_b32 v5, v13, s6, v11
	v_and_or_b32 v10, v14, s6, v12
	;; [unrolled: 1-line block ×6, first 2 shown]
	ds_write2_b32 v26, v2, v3 offset1:8
	ds_write2_b32 v28, v5, v10 offset1:8
	;; [unrolled: 1-line block ×4, first 2 shown]
	v_lshl_add_u64 v[2:3], v[98:99], 0, s[18:19]
	v_and_or_b32 v5, v145, s6, v144
	global_load_dword v10, v[2:3], off
	v_and_or_b32 v2, v21, s6, v20
	ds_write2_b32 v34, v5, v2 offset1:8
	s_waitcnt vmcnt(9)
	v_lshrrev_b32_e32 v2, 4, v25
	v_and_b32_e32 v11, 0xf0f0f0f, v2
	v_lshl_add_u64 v[2:3], v[104:105], 0, s[18:19]
	global_load_dword v12, v[2:3], off
	v_lshl_add_u64 v[2:3], v[102:103], 0, s[18:19]
	s_waitcnt vmcnt(9)
	v_ashrrev_i32_e32 v13, v148, v138
	global_load_dword v14, v[2:3], off
	v_ashrrev_i32_e32 v3, v149, v138
	v_and_b32_e32 v5, 0xf0f0f0f, v25
	v_lshlrev_b32_e32 v2, 4, v13
	v_lshlrev_b32_e32 v3, 4, v3
	v_and_or_b32 v5, v2, s6, v5
	v_and_or_b32 v11, v3, s6, v11
	v_lshl_add_u64 v[2:3], v[108:109], 0, s[18:19]
	global_load_dword v13, v[2:3], off
	v_lshl_add_u64 v[2:3], v[106:107], 0, s[18:19]
	ds_write2_b32 v36, v5, v11 offset1:8
	global_load_dword v5, v[2:3], off
	s_waitcnt vmcnt(11)
	v_lshrrev_b32_e32 v2, 4, v139
	v_and_b32_e32 v15, 0xf0f0f0f, v2
	s_waitcnt vmcnt(10)
	v_ashrrev_i32_e32 v2, v148, v140
	v_lshlrev_b32_e32 v16, 4, v2
	v_lshl_add_u64 v[2:3], v[112:113], 0, s[18:19]
	global_load_dword v17, v[2:3], off
	v_ashrrev_i32_e32 v18, v149, v140
	v_lshl_add_u64 v[2:3], v[110:111], 0, s[18:19]
	v_and_b32_e32 v11, 0xf0f0f0f, v139
	global_load_dword v19, v[2:3], off
	v_lshlrev_b32_e32 v2, 4, v18
	v_and_or_b32 v3, v16, s6, v11
	v_and_or_b32 v2, v2, s6, v15
	ds_write2_b32 v38, v3, v2 offset1:8
	v_lshl_add_u64 v[2:3], v[116:117], 0, s[18:19]
	global_load_dword v15, v[2:3], off
	v_lshl_add_u64 v[2:3], v[114:115], 0, s[18:19]
	global_load_dword v16, v[2:3], off
	s_waitcnt vmcnt(12)
	v_ashrrev_i32_e32 v2, v148, v7
	v_lshlrev_b32_e32 v18, 4, v2
	v_ashrrev_i32_e32 v2, v149, v7
	v_and_b32_e32 v11, 0xf0f0f0f, v6
	v_lshrrev_b32_e32 v6, 4, v6
	v_lshlrev_b32_e32 v7, 4, v2
	v_lshl_add_u64 v[2:3], v[120:121], 0, s[18:19]
	v_and_b32_e32 v6, 0xf0f0f0f, v6
	global_load_dword v20, v[2:3], off
	v_lshl_add_u64 v[2:3], v[118:119], 0, s[18:19]
	v_and_or_b32 v11, v18, s6, v11
	global_load_dword v18, v[2:3], off
	v_and_or_b32 v2, v7, s6, v6
	ds_write2_b32 v40, v11, v2 offset1:8
	s_waitcnt vmcnt(13)
	v_lshrrev_b32_e32 v2, 4, v8
	v_and_b32_e32 v7, 0xf0f0f0f, v2
	v_lshl_add_u64 v[2:3], v[126:127], 0, s[18:19]
	v_and_b32_e32 v6, 0xf0f0f0f, v8
	global_load_dword v8, v[2:3], off
	s_waitcnt vmcnt(13)
	v_ashrrev_i32_e32 v11, v148, v9
	v_lshl_add_u64 v[2:3], v[122:123], 0, s[18:19]
	global_load_dword v21, v[2:3], off
	v_lshlrev_b32_e32 v2, 4, v11
	v_ashrrev_i32_e32 v3, v149, v9
	v_lshlrev_b32_e32 v9, 4, v3
	v_and_or_b32 v6, v2, s6, v6
	v_lshl_add_u64 v[2:3], v[128:129], 0, s[18:19]
	global_load_dword v11, v[2:3], off
	v_lshl_add_u64 v[2:3], v[130:131], 0, s[18:19]
	global_load_dword v25, v[2:3], off
	;; [unrolled: 2-line block ×3, first 2 shown]
	v_lshl_add_u64 v[2:3], v[134:135], 0, s[18:19]
	v_and_or_b32 v7, v9, s6, v7
	global_load_dword v9, v[2:3], off
	v_lshl_add_u64 v[2:3], v[136:137], 0, s[18:19]
	global_load_dword v2, v[2:3], off
	ds_write2_b32 v42, v6, v7 offset1:8
	s_waitcnt vmcnt(18)
	v_and_b32_e32 v3, 0xf0f0f0f, v4
	v_lshrrev_b32_e32 v4, 4, v4
	v_and_b32_e32 v4, 0xf0f0f0f, v4
	s_waitcnt vmcnt(17)
	v_ashrrev_i32_e32 v6, v148, v10
	v_ashrrev_i32_e32 v7, v149, v10
	v_lshlrev_b32_e32 v6, 4, v6
	v_lshlrev_b32_e32 v7, 4, v7
	v_and_or_b32 v3, v6, s6, v3
	v_and_or_b32 v4, v7, s6, v4
	ds_write2_b32 v44, v3, v4 offset1:8
	s_waitcnt vmcnt(16)
	v_lshrrev_b32_e32 v4, 4, v12
	v_and_b32_e32 v3, 0xf0f0f0f, v12
	s_waitcnt vmcnt(15)
	v_ashrrev_i32_e32 v6, v148, v14
	v_ashrrev_i32_e32 v7, v149, v14
	v_and_b32_e32 v4, 0xf0f0f0f, v4
	v_lshlrev_b32_e32 v6, 4, v6
	v_lshlrev_b32_e32 v7, 4, v7
	v_and_or_b32 v3, v6, s6, v3
	v_and_or_b32 v4, v7, s6, v4
	ds_write2_b32 v46, v3, v4 offset1:8
	s_waitcnt vmcnt(14)
	v_lshrrev_b32_e32 v4, 4, v13
	v_and_b32_e32 v3, 0xf0f0f0f, v13
	v_and_b32_e32 v4, 0xf0f0f0f, v4
	s_waitcnt vmcnt(13)
	v_ashrrev_i32_e32 v6, v148, v5
	v_ashrrev_i32_e32 v5, v149, v5
	v_lshlrev_b32_e32 v6, 4, v6
	v_lshlrev_b32_e32 v5, 4, v5
	v_and_or_b32 v3, v6, s6, v3
	v_and_or_b32 v4, v5, s6, v4
	ds_write2_b32 v48, v3, v4 offset1:8
	s_waitcnt vmcnt(12)
	v_lshrrev_b32_e32 v4, 4, v17
	v_and_b32_e32 v3, 0xf0f0f0f, v17
	v_and_b32_e32 v4, 0xf0f0f0f, v4
	s_waitcnt vmcnt(11)
	v_ashrrev_i32_e32 v5, v148, v19
	v_ashrrev_i32_e32 v6, v149, v19
	v_lshlrev_b32_e32 v5, 4, v5
	v_lshlrev_b32_e32 v6, 4, v6
	v_and_or_b32 v3, v5, s6, v3
	v_and_or_b32 v4, v6, s6, v4
	ds_write2_b32 v50, v3, v4 offset1:8
	s_waitcnt vmcnt(10)
	v_lshrrev_b32_e32 v4, 4, v15
	s_waitcnt vmcnt(9)
	v_ashrrev_i32_e32 v5, v148, v16
	v_ashrrev_i32_e32 v6, v149, v16
	v_and_b32_e32 v3, 0xf0f0f0f, v15
	v_and_b32_e32 v4, 0xf0f0f0f, v4
	v_lshlrev_b32_e32 v5, 4, v5
	v_lshlrev_b32_e32 v6, 4, v6
	v_and_or_b32 v3, v5, s6, v3
	v_and_or_b32 v4, v6, s6, v4
	ds_write2_b32 v52, v3, v4 offset1:8
	s_waitcnt vmcnt(8)
	v_lshrrev_b32_e32 v4, 4, v20
	v_and_b32_e32 v3, 0xf0f0f0f, v20
	v_and_b32_e32 v4, 0xf0f0f0f, v4
	s_waitcnt vmcnt(7)
	v_ashrrev_i32_e32 v5, v148, v18
	v_ashrrev_i32_e32 v6, v149, v18
	v_lshlrev_b32_e32 v5, 4, v5
	v_lshlrev_b32_e32 v6, 4, v6
	v_and_or_b32 v3, v5, s6, v3
	v_and_or_b32 v4, v6, s6, v4
	ds_write2_b32 v54, v3, v4 offset1:8
	s_waitcnt vmcnt(6)
	v_lshrrev_b32_e32 v4, 4, v8
	v_and_b32_e32 v3, 0xf0f0f0f, v8
	v_and_b32_e32 v4, 0xf0f0f0f, v4
	s_waitcnt vmcnt(5)
	v_ashrrev_i32_e32 v5, v148, v21
	v_ashrrev_i32_e32 v6, v149, v21
	v_lshlrev_b32_e32 v5, 4, v5
	v_lshlrev_b32_e32 v6, 4, v6
	v_and_or_b32 v3, v5, s6, v3
	v_and_or_b32 v4, v6, s6, v4
	ds_write2_b32 v56, v3, v4 offset1:8
	s_waitcnt vmcnt(4)
	ds_write_b32 v29, v11
	s_waitcnt vmcnt(3)
	v_ashrrev_i32_e32 v3, v31, v25
	v_and_b32_e32 v3, 0xf0f0f0f, v3
	s_waitcnt vmcnt(2)
	v_ashrrev_i32_e32 v4, v33, v138
	v_and_or_b32 v3, v4, s24, v3
	ds_write_b32 v22, v3
	s_waitcnt vmcnt(1)
	v_ashrrev_i32_e32 v3, v31, v9
	v_and_b32_e32 v3, 0xf0f0f0f, v3
	s_waitcnt vmcnt(0)
	v_ashrrev_i32_e32 v2, v33, v2
	v_and_or_b32 v2, v2, s24, v3
	ds_write_b32 v153, v2
	s_cbranch_scc0 .LBB194_5
; %bb.7:                                ;   in Loop: Header=BB194_6 Depth=1
	v_cmp_gt_i32_e64 s[2:3], s8, v39
	s_and_b64 s[22:23], s[0:1], s[2:3]
	s_and_saveexec_b64 s[2:3], s[22:23]
	s_cbranch_execz .LBB194_9
; %bb.8:                                ;   in Loop: Header=BB194_6 Depth=1
	v_add_u32_e32 v2, v60, v39
	v_mad_i64_i32 v[2:3], s[22:23], v2, 36, v[58:59]
	global_load_dword v2, v[2:3], off offset:4
	s_waitcnt vmcnt(0)
	ds_write_b32 v35, v2
.LBB194_9:                              ;   in Loop: Header=BB194_6 Depth=1
	s_or_b64 exec, exec, s[2:3]
	s_and_saveexec_b64 s[22:23], vcc
	s_cbranch_execz .LBB194_12
; %bb.10:                               ;   in Loop: Header=BB194_6 Depth=1
	v_cmp_gt_i32_e64 s[2:3], s8, v24
	s_and_b64 s[2:3], s[0:1], s[2:3]
	s_and_b64 exec, exec, s[2:3]
	s_cbranch_execz .LBB194_12
; %bb.11:                               ;   in Loop: Header=BB194_6 Depth=1
	v_add_u32_e32 v2, v60, v24
	v_mad_i64_i32 v[2:3], s[2:3], v2, 36, s[14:15]
	global_load_dword v2, v[2:3], off
	s_waitcnt vmcnt(0)
	ds_write_b32 v37, v2
.LBB194_12:                             ;   in Loop: Header=BB194_6 Depth=1
	s_or_b64 exec, exec, s[22:23]
	s_waitcnt lgkmcnt(0)
	s_barrier
	ds_read_b128 v[18:21], v41
	ds_read_b128 v[14:17], v41 offset:16
	ds_read_b128 v[2:5], v43 offset:36944
	ds_read2_b32 v[138:139], v47 offset1:1
	ds_read_b128 v[10:13], v41 offset:32
	ds_read_b128 v[6:9], v41 offset:48
	ds_read_b32 v25, v49
	ds_read2_b32 v[140:141], v47 offset0:2 offset1:3
	v_mov_b32_e32 v161, 0
	s_waitcnt lgkmcnt(4)
	v_dot4c_i32_i8_e32 v161, v138, v18
	v_dot4c_i32_i8_e32 v161, v139, v19
	ds_read2_b32 v[142:143], v47 offset0:4 offset1:5
	ds_read2_b32 v[144:145], v47 offset0:6 offset1:7
	;; [unrolled: 1-line block ×3, first 2 shown]
	s_waitcnt lgkmcnt(3)
	v_dot4c_i32_i8_e32 v161, v140, v20
	v_dot4c_i32_i8_e32 v161, v141, v21
	ds_read2_b32 v[140:141], v47 offset0:10 offset1:11
	v_mov_b32_e32 v172, 0
	s_waitcnt lgkmcnt(3)
	v_dot4c_i32_i8_e32 v161, v142, v14
	s_waitcnt lgkmcnt(1)
	v_dot4c_i32_i8_e32 v172, v146, v10
	v_dot4c_i32_i8_e32 v161, v143, v15
	;; [unrolled: 1-line block ×4, first 2 shown]
	s_waitcnt lgkmcnt(0)
	v_dot4c_i32_i8_e32 v172, v140, v12
	v_cvt_f32_f16_e32 v160, v25
	v_cvt_f32_f16_sdwa v162, v25 dst_sel:DWORD dst_unused:UNUSED_PAD src0_sel:WORD_1
	v_add_u32_e32 v25, 0x2080, v47
	ds_read2_b32 v[138:139], v45 offset1:2
	v_dot4c_i32_i8_e32 v161, v145, v17
	ds_read2_b32 v[142:143], v47 offset0:12 offset1:13
	ds_read2_b32 v[144:145], v47 offset0:14 offset1:15
	;; [unrolled: 1-line block ×3, first 2 shown]
	v_dot4c_i32_i8_e32 v172, v141, v13
	ds_read2_b32 v[154:155], v47 offset0:26 offset1:27
	ds_read2_b32 v[156:157], v47 offset0:28 offset1:29
	;; [unrolled: 1-line block ×3, first 2 shown]
	ds_read2_b32 v[140:141], v25 offset1:1
	v_mov_b32_e32 v168, 0
	ds_read_b32 v173, v55 offset:128
	ds_read_b32 v174, v150 offset:256
	;; [unrolled: 1-line block ×3, first 2 shown]
	s_waitcnt lgkmcnt(9)
	v_dot4c_i32_i8_e32 v172, v142, v6
	v_dot4c_i32_i8_e32 v172, v143, v7
	s_waitcnt lgkmcnt(3)
	v_dot4c_i32_i8_e32 v168, v140, v18
	v_add_u32_e32 v140, 0x2088, v47
	v_dot4c_i32_i8_e32 v168, v141, v19
	ds_read2_b32 v[140:141], v140 offset1:1
	v_dot4c_i32_i8_e32 v172, v144, v8
	v_add_u32_e32 v142, 0x2090, v47
	v_dot4c_i32_i8_e32 v172, v145, v9
	v_add_u32_e32 v144, 0x2098, v47
	v_add_u32_e32 v145, 0x20a0, v47
	ds_read2_b32 v[142:143], v142 offset1:1
	ds_read2_b32 v[164:165], v144 offset1:1
	;; [unrolled: 1-line block ×3, first 2 shown]
	s_waitcnt lgkmcnt(3)
	v_dot4c_i32_i8_e32 v168, v140, v20
	ds_read2_b32 v[144:145], v53 offset1:2
	v_dot4c_i32_i8_e32 v168, v141, v21
	s_waitcnt lgkmcnt(3)
	v_dot4c_i32_i8_e32 v168, v142, v14
	v_dot4c_i32_i8_e32 v168, v143, v15
	s_waitcnt lgkmcnt(2)
	v_dot4c_i32_i8_e32 v168, v164, v16
	v_dot4c_i32_i8_e32 v168, v165, v17
	s_waitcnt lgkmcnt(0)
	v_and_b32_e32 v140, 0xff, v144
	v_add_u32_e32 v142, 0x20b0, v47
	v_add_u32_e32 v164, 0x20b8, v47
	v_mul_lo_u32 v140, v168, v140
	v_cvt_f32_i32_e32 v176, v140
	v_add_u32_e32 v140, 0x20a8, v47
	ds_read2_b32 v[140:141], v140 offset1:1
	v_mov_b32_e32 v168, 0
	v_dot4c_i32_i8_e32 v168, v166, v10
	v_add_u32_e32 v166, 0x4100, v47
	v_dot4c_i32_i8_e32 v168, v167, v11
	ds_read2_b32 v[142:143], v142 offset1:1
	ds_read2_b32 v[164:165], v164 offset1:1
	;; [unrolled: 1-line block ×3, first 2 shown]
	s_waitcnt lgkmcnt(3)
	v_dot4c_i32_i8_e32 v168, v140, v12
	v_dot4c_i32_i8_e32 v168, v141, v13
	s_waitcnt lgkmcnt(2)
	v_dot4c_i32_i8_e32 v168, v142, v6
	v_dot4c_i32_i8_e32 v168, v143, v7
	;; [unrolled: 3-line block ×3, first 2 shown]
	v_bfe_u32 v140, v144, 8, 8
	v_mov_b32_e32 v170, 0
	s_waitcnt lgkmcnt(0)
	v_dot4c_i32_i8_e32 v170, v166, v18
	v_mul_lo_u32 v140, v168, v140
	v_cvt_f32_i32_e32 v178, v140
	v_add_u32_e32 v140, 0x4108, v47
	ds_read2_b32 v[140:141], v140 offset1:1
	v_add_u32_e32 v142, 0x4110, v47
	v_add_u32_e32 v168, 0x4120, v47
	v_dot4c_i32_i8_e32 v170, v167, v19
	v_add_u32_e32 v143, 0x4118, v47
	ds_read2_b32 v[164:165], v142 offset1:1
	ds_read2_b32 v[166:167], v143 offset1:1
	ds_read2_b32 v[168:169], v168 offset1:1
	s_waitcnt lgkmcnt(3)
	v_dot4c_i32_i8_e32 v170, v140, v20
	ds_read2_b32 v[142:143], v57 offset1:2
	v_dot4c_i32_i8_e32 v170, v141, v21
	s_waitcnt lgkmcnt(3)
	v_dot4c_i32_i8_e32 v170, v164, v14
	v_dot4c_i32_i8_e32 v170, v165, v15
	s_waitcnt lgkmcnt(2)
	v_dot4c_i32_i8_e32 v170, v166, v16
	v_dot4c_i32_i8_e32 v170, v167, v17
	s_waitcnt lgkmcnt(0)
	v_and_b32_e32 v140, 0xff, v142
	v_add_u32_e32 v164, 0x4130, v47
	v_add_u32_e32 v166, 0x4138, v47
	v_mul_lo_u32 v140, v170, v140
	v_cvt_f32_i32_e32 v181, v140
	v_add_u32_e32 v140, 0x4128, v47
	ds_read2_b32 v[140:141], v140 offset1:1
	v_mov_b32_e32 v170, 0
	v_dot4c_i32_i8_e32 v170, v168, v10
	v_add_u32_e32 v168, 0x6180, v47
	v_dot4c_i32_i8_e32 v170, v169, v11
	ds_read2_b32 v[164:165], v164 offset1:1
	ds_read2_b32 v[166:167], v166 offset1:1
	;; [unrolled: 1-line block ×3, first 2 shown]
	s_waitcnt lgkmcnt(3)
	v_dot4c_i32_i8_e32 v170, v140, v12
	v_dot4c_i32_i8_e32 v170, v141, v13
	s_waitcnt lgkmcnt(2)
	v_dot4c_i32_i8_e32 v170, v164, v6
	v_dot4c_i32_i8_e32 v170, v165, v7
	s_waitcnt lgkmcnt(1)
	v_dot4c_i32_i8_e32 v170, v166, v8
	v_dot4c_i32_i8_e32 v170, v167, v9
	v_bfe_u32 v140, v142, 8, 8
	v_add_u32_e32 v141, 0x6198, v47
	v_mov_b32_e32 v190, 0
	v_mul_lo_u32 v140, v170, v140
	v_mov_b32_e32 v170, 0
	s_waitcnt lgkmcnt(0)
	v_dot4c_i32_i8_e32 v170, v168, v18
	v_add_u32_e32 v18, 0x6188, v47
	v_dot4c_i32_i8_e32 v170, v169, v19
	ds_read2_b32 v[18:19], v18 offset1:1
	v_cvt_f32_i32_e32 v183, v140
	v_add_u32_e32 v140, 0x6190, v47
	v_add_u32_e32 v168, 0x61a0, v47
	ds_read2_b32 v[164:165], v140 offset1:1
	ds_read2_b32 v[166:167], v141 offset1:1
	;; [unrolled: 1-line block ×3, first 2 shown]
	s_waitcnt lgkmcnt(3)
	v_dot4c_i32_i8_e32 v170, v18, v20
	ds_read2_b32 v[140:141], v151 offset1:2
	v_dot4c_i32_i8_e32 v170, v19, v21
	s_waitcnt lgkmcnt(3)
	v_dot4c_i32_i8_e32 v170, v164, v14
	v_mov_b32_e32 v18, 0
	v_dot4c_i32_i8_e32 v170, v165, v15
	s_waitcnt lgkmcnt(1)
	v_dot4c_i32_i8_e32 v18, v168, v10
	v_add_u32_e32 v10, 0x61a8, v47
	v_dot4c_i32_i8_e32 v170, v166, v16
	v_dot4c_i32_i8_e32 v18, v169, v11
	ds_read2_b32 v[10:11], v10 offset1:1
	v_dot4c_i32_i8_e32 v170, v167, v17
	s_waitcnt lgkmcnt(1)
	v_and_b32_e32 v14, 0xff, v140
	v_add_u32_e32 v16, 0x61b8, v47
	v_add_u32_e32 v19, 0x20c0, v47
	v_mul_lo_u32 v14, v170, v14
	v_cvt_f32_i32_e32 v186, v14
	v_add_u32_e32 v14, 0x61b0, v47
	ds_read2_b32 v[14:15], v14 offset1:1
	ds_read2_b32 v[16:17], v16 offset1:1
	;; [unrolled: 1-line block ×3, first 2 shown]
	s_waitcnt lgkmcnt(3)
	v_dot4c_i32_i8_e32 v18, v10, v12
	v_dot4c_i32_i8_e32 v18, v11, v13
	s_waitcnt lgkmcnt(2)
	v_dot4c_i32_i8_e32 v18, v14, v6
	v_dot4c_i32_i8_e32 v18, v15, v7
	;; [unrolled: 3-line block ×3, first 2 shown]
	v_bfe_u32 v6, v140, 8, 8
	v_lshrrev_b32_e32 v163, 24, v138
	v_cvt_f32_ubyte0_e32 v177, v145
	v_mul_lo_u32 v6, v18, v6
	v_cvt_f32_i32_e32 v188, v6
	ds_read_b128 v[18:21], v41 offset:64
	ds_read_b128 v[14:17], v41 offset:80
	;; [unrolled: 1-line block ×4, first 2 shown]
	ds_read2_b32 v[166:167], v47 offset0:18 offset1:19
	s_waitcnt lgkmcnt(4)
	v_dot4c_i32_i8_e32 v190, v146, v18
	v_dot4c_i32_i8_e32 v190, v147, v19
	ds_read2_b32 v[146:147], v47 offset0:20 offset1:21
	ds_read2_b32 v[168:169], v47 offset0:22 offset1:23
	;; [unrolled: 1-line block ×3, first 2 shown]
	v_cvt_f32_ubyte0_e32 v182, v143
	s_waitcnt lgkmcnt(3)
	v_dot4c_i32_i8_e32 v190, v166, v20
	v_mov_b32_e32 v166, 0
	v_dot4c_i32_i8_e32 v190, v167, v21
	s_waitcnt lgkmcnt(0)
	v_dot4c_i32_i8_e32 v166, v170, v10
	v_dot4c_i32_i8_e32 v166, v171, v11
	;; [unrolled: 1-line block ×10, first 2 shown]
	v_cvt_f32_f16_e32 v155, v4
	v_cvt_f32_f16_sdwa v147, v4 dst_sel:DWORD dst_unused:UNUSED_PAD src0_sel:WORD_1
	v_and_b32_e32 v4, 0xff, v138
	v_bfe_u32 v156, v138, 16, 8
	v_dot4c_i32_i8_e32 v166, v158, v8
	v_mul_lo_u32 v4, v161, v4
	v_mul_lo_u32 v156, v190, v156
	v_dot4c_i32_i8_e32 v166, v159, v9
	v_cvt_f32_f16_e32 v154, v2
	v_cvt_f32_i32_e32 v159, v156
	v_cvt_f32_i32_e32 v158, v4
	v_bfe_u32 v138, v138, 8, 8
	v_mul_lo_u32 v138, v172, v138
	v_cvt_f32_f16_sdwa v146, v2 dst_sel:DWORD dst_unused:UNUSED_PAD src0_sel:WORD_1
	v_pk_fma_f32 v[158:159], v[154:155], v[158:159], 0 op_sel_hi:[1,1,0]
	v_mul_lo_u32 v154, v166, v163
	v_cvt_f32_f16_e32 v157, v5
	v_cvt_f32_f16_e32 v156, v3
	v_cvt_f32_i32_e32 v167, v154
	v_cvt_f32_i32_e32 v166, v138
	v_cvt_f32_f16_sdwa v5, v5 dst_sel:DWORD dst_unused:UNUSED_PAD src0_sel:WORD_1
	v_cvt_f32_f16_sdwa v4, v3 dst_sel:DWORD dst_unused:UNUSED_PAD src0_sel:WORD_1
	v_cvt_f32_ubyte2_e32 v169, v139
	v_cvt_f32_ubyte0_e32 v168, v139
	v_cvt_f32_ubyte0_e32 v187, v141
	v_pk_fma_f32 v[168:169], v[146:147], v[168:169], 0 op_sel_hi:[1,1,0]
	v_pk_fma_f32 v[158:159], v[156:157], v[166:167], v[158:159]
	v_cvt_f32_ubyte3_e32 v167, v139
	v_cvt_f32_ubyte1_e32 v166, v139
	v_fma_mix_f32 v154, v2, v181, 0 op_sel_hi:[1,0,0]
	v_cvt_f32_ubyte1_e32 v189, v141
	v_pk_fma_f32 v[138:139], v[4:5], v[166:167], v[168:169]
	v_fma_mix_f32 v4, v2, v176, 0 op_sel_hi:[1,0,0]
	v_fma_mix_f32 v146, v2, v177, 0 op_sel:[1,0,0] op_sel_hi:[1,0,0]
	v_fma_mix_f32 v156, v2, v182, 0 op_sel:[1,0,0] op_sel_hi:[1,0,0]
	v_fma_mix_f32 v166, v3, v183, v154 op_sel_hi:[1,0,0]
	v_fma_mix_f32 v154, v2, v186, 0 op_sel_hi:[1,0,0]
	v_fma_mix_f32 v2, v2, v187, 0 op_sel:[1,0,0] op_sel_hi:[1,0,0]
	v_cvt_f32_ubyte1_e32 v179, v145
	v_cvt_f32_ubyte1_e32 v184, v143
	v_fma_mix_f32 v169, v3, v189, v2 op_sel:[1,0,0] op_sel_hi:[1,0,0]
	v_add_u32_e32 v2, 0x20c8, v47
	v_fma_mix_f32 v4, v3, v178, v4 op_sel_hi:[1,0,0]
	v_fma_mix_f32 v146, v3, v179, v146 op_sel:[1,0,0] op_sel_hi:[1,0,0]
	v_fma_mix_f32 v167, v3, v184, v156 op_sel:[1,0,0] op_sel_hi:[1,0,0]
	v_fma_mix_f32 v168, v3, v188, v154 op_sel_hi:[1,0,0]
	ds_read2_b32 v[2:3], v2 offset1:1
	v_pk_mul_f32 v[138:139], v[138:139], v[162:163] op_sel_hi:[1,0]
	v_mov_b32_e32 v154, 0
	v_pk_fma_f32 v[138:139], v[158:159], v[160:161], v[138:139] op_sel_hi:[1,0,1] neg_lo:[0,0,1] neg_hi:[0,0,1]
	v_dot4c_i32_i8_e32 v154, v164, v18
	v_add_u32_e32 v156, 0x20d0, v47
	v_add_u32_e32 v160, 0x20d8, v47
	;; [unrolled: 1-line block ×3, first 2 shown]
	v_dot4c_i32_i8_e32 v154, v165, v19
	ds_read2_b32 v[158:159], v156 offset1:1
	ds_read2_b32 v[160:161], v160 offset1:1
	;; [unrolled: 1-line block ×3, first 2 shown]
	s_waitcnt lgkmcnt(3)
	v_dot4c_i32_i8_e32 v154, v2, v20
	v_dot4c_i32_i8_e32 v154, v3, v21
	s_waitcnt lgkmcnt(2)
	v_dot4c_i32_i8_e32 v154, v158, v14
	v_dot4c_i32_i8_e32 v154, v159, v15
	;; [unrolled: 3-line block ×3, first 2 shown]
	v_bfe_u32 v2, v144, 16, 8
	v_lshrrev_b32_e32 v175, 24, v144
	v_mov_b32_e32 v144, 0
	v_mul_lo_u32 v2, v154, v2
	v_add_u32_e32 v154, 0x20e8, v47
	ds_read2_b32 v[158:159], v154 offset1:1
	s_waitcnt lgkmcnt(1)
	v_dot4c_i32_i8_e32 v144, v162, v10
	v_add_u32_e32 v156, 0x20f0, v47
	v_add_u32_e32 v162, 0x20f8, v47
	v_dot4c_i32_i8_e32 v144, v163, v11
	v_add_u32_e32 v154, 0x4140, v47
	ds_read2_b32 v[160:161], v156 offset1:1
	ds_read2_b32 v[162:163], v162 offset1:1
	;; [unrolled: 1-line block ×3, first 2 shown]
	s_waitcnt lgkmcnt(3)
	v_dot4c_i32_i8_e32 v144, v158, v12
	v_dot4c_i32_i8_e32 v144, v159, v13
	s_waitcnt lgkmcnt(2)
	v_dot4c_i32_i8_e32 v144, v160, v6
	v_dot4c_i32_i8_e32 v144, v161, v7
	s_waitcnt lgkmcnt(1)
	v_dot4c_i32_i8_e32 v144, v162, v8
	v_cvt_f32_f16_sdwa v159, v173 dst_sel:DWORD dst_unused:UNUSED_PAD src0_sel:WORD_1
	v_dot4c_i32_i8_e32 v144, v163, v9
	v_cvt_f32_i32_e32 v2, v2
	v_cvt_f32_f16_e32 v158, v173
	v_mul_f32_e32 v146, v146, v159
	v_mul_lo_u32 v144, v144, v175
	v_cvt_f32_i32_e32 v144, v144
	v_cvt_f32_ubyte2_e32 v3, v145
	v_fma_mix_f32 v161, v4, v173, -v146 op_sel_hi:[0,1,0]
	v_mov_b32_e32 v146, v155
	v_cvt_f32_ubyte3_e32 v145, v145
	v_pk_fma_f32 v[2:3], v[146:147], v[2:3], 0 op_sel_hi:[1,1,0]
	v_mov_b32_e32 v4, v157
	v_pk_fma_f32 v[2:3], v[4:5], v[144:145], v[2:3]
	v_mov_b32_e32 v160, v138
	v_pk_mul_f32 v[144:145], v[2:3], v[158:159]
	v_pk_add_f32 v[124:125], v[124:125], v[160:161]
	v_mov_b32_e32 v145, v144
	v_pk_fma_f32 v[2:3], v[2:3], v[158:159], v[144:145] neg_lo:[1,0,0] neg_hi:[1,0,0]
	v_mov_b32_e32 v156, 0
	v_mov_b32_e32 v2, v139
	v_pk_add_f32 v[124:125], v[124:125], v[2:3]
	v_add_u32_e32 v2, 0x4148, v47
	ds_read2_b32 v[2:3], v2 offset1:1
	s_waitcnt lgkmcnt(1)
	v_dot4c_i32_i8_e32 v156, v164, v18
	v_add_u32_e32 v138, 0x4150, v47
	v_add_u32_e32 v144, 0x4158, v47
	v_add_u32_e32 v154, 0x4160, v47
	v_dot4c_i32_i8_e32 v156, v165, v19
	ds_read2_b32 v[138:139], v138 offset1:1
	ds_read2_b32 v[144:145], v144 offset1:1
	;; [unrolled: 1-line block ×3, first 2 shown]
	s_waitcnt lgkmcnt(3)
	v_dot4c_i32_i8_e32 v156, v2, v20
	v_dot4c_i32_i8_e32 v156, v3, v21
	s_waitcnt lgkmcnt(2)
	v_dot4c_i32_i8_e32 v156, v138, v14
	v_add_u32_e32 v138, 0x4168, v47
	v_dot4c_i32_i8_e32 v156, v139, v15
	ds_read2_b32 v[138:139], v138 offset1:1
	s_waitcnt lgkmcnt(2)
	v_dot4c_i32_i8_e32 v156, v144, v16
	v_lshrrev_b32_e32 v180, 24, v142
	v_dot4c_i32_i8_e32 v156, v145, v17
	v_bfe_u32 v2, v142, 16, 8
	v_mov_b32_e32 v142, 0
	s_waitcnt lgkmcnt(1)
	v_dot4c_i32_i8_e32 v142, v154, v10
	v_mul_lo_u32 v2, v156, v2
	v_add_u32_e32 v144, 0x4170, v47
	v_add_u32_e32 v154, 0x4178, v47
	;; [unrolled: 1-line block ×3, first 2 shown]
	v_dot4c_i32_i8_e32 v142, v155, v11
	ds_read2_b32 v[144:145], v144 offset1:1
	ds_read2_b32 v[154:155], v154 offset1:1
	;; [unrolled: 1-line block ×3, first 2 shown]
	s_waitcnt lgkmcnt(3)
	v_dot4c_i32_i8_e32 v142, v138, v12
	v_dot4c_i32_i8_e32 v142, v139, v13
	s_waitcnt lgkmcnt(2)
	v_dot4c_i32_i8_e32 v142, v144, v6
	v_dot4c_i32_i8_e32 v142, v145, v7
	;; [unrolled: 3-line block ×3, first 2 shown]
	v_cvt_f32_i32_e32 v2, v2
	v_cvt_f32_f16_sdwa v139, v174 dst_sel:DWORD dst_unused:UNUSED_PAD src0_sel:WORD_1
	v_cvt_f32_ubyte2_e32 v3, v143
	v_mul_lo_u32 v138, v142, v180
	v_cvt_f32_i32_e32 v142, v138
	v_cvt_f32_f16_e32 v138, v174
	v_cvt_f32_ubyte3_e32 v143, v143
	v_pk_fma_f32 v[2:3], v[146:147], v[2:3], 0 op_sel_hi:[1,1,0]
	v_mul_f32_e32 v144, v167, v139
	v_pk_fma_f32 v[2:3], v[4:5], v[142:143], v[2:3]
	v_fma_mix_f32 v144, v166, v174, -v144 op_sel_hi:[0,1,0]
	v_pk_mul_f32 v[2:3], v[2:3], v[138:139]
	v_add_f32_e32 v23, v23, v144
	v_sub_f32_e32 v2, v2, v3
	v_add_f32_e32 v23, v23, v2
	v_add_u32_e32 v2, 0x61c8, v47
	ds_read2_b32 v[2:3], v2 offset1:1
	v_mov_b32_e32 v144, 0
	s_waitcnt lgkmcnt(1)
	v_dot4c_i32_i8_e32 v144, v156, v18
	v_add_u32_e32 v18, 0x61d0, v47
	v_add_u32_e32 v138, 0x61d8, v47
	;; [unrolled: 1-line block ×3, first 2 shown]
	v_dot4c_i32_i8_e32 v144, v157, v19
	ds_read2_b32 v[18:19], v18 offset1:1
	ds_read2_b32 v[138:139], v138 offset1:1
	ds_read2_b32 v[142:143], v142 offset1:1
	s_waitcnt lgkmcnt(3)
	v_dot4c_i32_i8_e32 v144, v2, v20
	v_dot4c_i32_i8_e32 v144, v3, v21
	s_waitcnt lgkmcnt(2)
	v_dot4c_i32_i8_e32 v144, v18, v14
	v_mov_b32_e32 v18, 0
	s_waitcnt lgkmcnt(0)
	v_dot4c_i32_i8_e32 v18, v142, v10
	v_add_u32_e32 v10, 0x61e8, v47
	v_dot4c_i32_i8_e32 v18, v143, v11
	ds_read2_b32 v[10:11], v10 offset1:1
	v_add_u32_e32 v14, 0x61f0, v47
	v_dot4c_i32_i8_e32 v144, v19, v15
	ds_read2_b32 v[14:15], v14 offset1:1
	v_dot4c_i32_i8_e32 v144, v138, v16
	v_add_u32_e32 v16, 0x61f8, v47
	v_dot4c_i32_i8_e32 v144, v139, v17
	ds_read2_b32 v[16:17], v16 offset1:1
	s_waitcnt lgkmcnt(2)
	v_dot4c_i32_i8_e32 v18, v10, v12
	v_dot4c_i32_i8_e32 v18, v11, v13
	s_waitcnt lgkmcnt(1)
	v_dot4c_i32_i8_e32 v18, v14, v6
	v_dot4c_i32_i8_e32 v18, v15, v7
	v_bfe_u32 v2, v140, 16, 8
	s_waitcnt lgkmcnt(0)
	v_dot4c_i32_i8_e32 v18, v16, v8
	v_lshrrev_b32_e32 v185, 24, v140
	v_mul_lo_u32 v2, v144, v2
	v_dot4c_i32_i8_e32 v18, v17, v9
	v_cvt_f32_i32_e32 v2, v2
	v_cvt_f32_f16_sdwa v7, v25 dst_sel:DWORD dst_unused:UNUSED_PAD src0_sel:WORD_1
	v_cvt_f32_ubyte2_e32 v3, v141
	v_mul_lo_u32 v6, v18, v185
	v_cvt_f32_i32_e32 v8, v6
	v_cvt_f32_f16_e32 v6, v25
	v_cvt_f32_ubyte3_e32 v9, v141
	v_pk_fma_f32 v[2:3], v[146:147], v[2:3], 0 op_sel_hi:[1,1,0]
	v_mul_f32_e32 v10, v169, v7
	v_pk_fma_f32 v[2:3], v[4:5], v[8:9], v[2:3]
	v_fma_mix_f32 v10, v168, v25, -v10 op_sel_hi:[0,1,0]
	v_pk_mul_f32 v[2:3], v[2:3], v[6:7]
	v_add_f32_e32 v10, v27, v10
	v_sub_f32_e32 v2, v2, v3
	v_add_f32_e32 v27, v10, v2
	s_cmp_ge_i32 s4, s5
	s_barrier
	s_cbranch_scc1 .LBB194_5
; %bb.13:                               ;   in Loop: Header=BB194_6 Depth=1
	v_cmp_gt_i32_e64 s[2:3], s8, v51
	s_and_b64 s[22:23], s[0:1], s[2:3]
	s_and_saveexec_b64 s[2:3], s[22:23]
	s_cbranch_execz .LBB194_15
; %bb.14:                               ;   in Loop: Header=BB194_6 Depth=1
	v_add_u32_e32 v2, v60, v51
	v_mad_i64_i32 v[2:3], s[22:23], v2, 36, v[58:59]
	global_load_dword v2, v[2:3], off offset:4
	s_waitcnt vmcnt(0)
	ds_write_b32 v35, v2
.LBB194_15:                             ;   in Loop: Header=BB194_6 Depth=1
	s_or_b64 exec, exec, s[2:3]
	s_and_saveexec_b64 s[22:23], vcc
	s_cbranch_execz .LBB194_4
; %bb.16:                               ;   in Loop: Header=BB194_6 Depth=1
	v_add_u32_e32 v2, 4, v24
	v_cmp_gt_i32_e64 s[2:3], s8, v2
	s_and_b64 s[2:3], s[0:1], s[2:3]
	s_and_b64 exec, exec, s[2:3]
	s_cbranch_execz .LBB194_4
; %bb.17:                               ;   in Loop: Header=BB194_6 Depth=1
	v_ashrrev_i32_e32 v25, 31, v24
	v_lshl_add_u64 v[2:3], v[60:61], 0, v[24:25]
	v_mad_u64_u32 v[4:5], s[2:3], v2, 36, s[20:21]
	v_mad_i32_i24 v5, v3, 36, v5
	global_load_dword v2, v[4:5], off
	s_waitcnt vmcnt(0)
	ds_write_b32 v37, v2
	s_branch .LBB194_4
.LBB194_18:
	v_mov_b32_e32 v23, 0
	v_mov_b32_e32 v125, 0
	;; [unrolled: 1-line block ×3, first 2 shown]
.LBB194_19:
	s_mul_i32 s0, s10, s7
	s_waitcnt vmcnt(0)
	v_cmp_gt_i32_e32 vcc, s0, v1
	s_and_saveexec_b64 s[0:1], vcc
	s_cbranch_execz .LBB194_28
; %bb.20:
	v_and_b32_e32 v0, 0x3ff, v0
	v_add_u32_e32 v2, s11, v0
	v_mul_lo_u32 v0, v1, s9
	v_cmp_gt_u32_e32 vcc, s9, v2
	s_and_saveexec_b64 s[0:1], vcc
	s_cbranch_execz .LBB194_22
; %bb.21:
	v_add_u32_e32 v4, v0, v2
	v_mov_b32_e32 v5, 0
	v_lshl_add_u64 v[4:5], v[4:5], 2, s[16:17]
	global_store_dword v[4:5], v124, off
.LBB194_22:
	s_or_b64 exec, exec, s[0:1]
	v_add_u32_e32 v1, 32, v2
	v_cmp_gt_u32_e32 vcc, s9, v1
	s_and_saveexec_b64 s[0:1], vcc
	s_cbranch_execz .LBB194_24
; %bb.23:
	v_add_u32_e32 v4, v0, v1
	v_mov_b32_e32 v5, 0
	v_lshl_add_u64 v[4:5], v[4:5], 2, s[16:17]
	global_store_dword v[4:5], v125, off
.LBB194_24:
	s_or_b64 exec, exec, s[0:1]
	v_add_u32_e32 v1, 64, v2
	v_cmp_gt_u32_e32 vcc, s9, v1
	s_and_saveexec_b64 s[0:1], vcc
	s_cbranch_execz .LBB194_26
; %bb.25:
	v_add_u32_e32 v4, v0, v1
	v_mov_b32_e32 v5, 0
	v_lshl_add_u64 v[4:5], v[4:5], 2, s[16:17]
	global_store_dword v[4:5], v23, off
.LBB194_26:
	s_or_b64 exec, exec, s[0:1]
	v_add_u32_e32 v1, 0x60, v2
	v_cmp_gt_u32_e32 vcc, s9, v1
	s_and_b64 exec, exec, vcc
	s_cbranch_execz .LBB194_28
; %bb.27:
	v_add_u32_e32 v0, v0, v1
	v_mov_b32_e32 v1, 0
	v_lshl_add_u64 v[0:1], v[0:1], 2, s[16:17]
	global_store_dword v[0:1], v27, off
.LBB194_28:
	s_endpgm
	.section	.rodata,"a",@progbits
	.p2align	6, 0x0
	.amdhsa_kernel _ZL8moe_q5_KIfLb1EEvPKvS1_PT_PKiS5_S5_iiiiiii
		.amdhsa_group_segment_fixed_size 37072
		.amdhsa_private_segment_fixed_size 0
		.amdhsa_kernarg_size 76
		.amdhsa_user_sgpr_count 2
		.amdhsa_user_sgpr_dispatch_ptr 0
		.amdhsa_user_sgpr_queue_ptr 0
		.amdhsa_user_sgpr_kernarg_segment_ptr 1
		.amdhsa_user_sgpr_dispatch_id 0
		.amdhsa_user_sgpr_kernarg_preload_length 0
		.amdhsa_user_sgpr_kernarg_preload_offset 0
		.amdhsa_user_sgpr_private_segment_size 0
		.amdhsa_uses_dynamic_stack 0
		.amdhsa_enable_private_segment 0
		.amdhsa_system_sgpr_workgroup_id_x 1
		.amdhsa_system_sgpr_workgroup_id_y 1
		.amdhsa_system_sgpr_workgroup_id_z 0
		.amdhsa_system_sgpr_workgroup_info 0
		.amdhsa_system_vgpr_workitem_id 1
		.amdhsa_next_free_vgpr 191
		.amdhsa_next_free_sgpr 30
		.amdhsa_accum_offset 192
		.amdhsa_reserve_vcc 1
		.amdhsa_float_round_mode_32 0
		.amdhsa_float_round_mode_16_64 0
		.amdhsa_float_denorm_mode_32 3
		.amdhsa_float_denorm_mode_16_64 3
		.amdhsa_dx10_clamp 1
		.amdhsa_ieee_mode 1
		.amdhsa_fp16_overflow 0
		.amdhsa_tg_split 0
		.amdhsa_exception_fp_ieee_invalid_op 0
		.amdhsa_exception_fp_denorm_src 0
		.amdhsa_exception_fp_ieee_div_zero 0
		.amdhsa_exception_fp_ieee_overflow 0
		.amdhsa_exception_fp_ieee_underflow 0
		.amdhsa_exception_fp_ieee_inexact 0
		.amdhsa_exception_int_div_zero 0
	.end_amdhsa_kernel
	.section	.text._ZL8moe_q5_KIfLb1EEvPKvS1_PT_PKiS5_S5_iiiiiii,"axG",@progbits,_ZL8moe_q5_KIfLb1EEvPKvS1_PT_PKiS5_S5_iiiiiii,comdat
.Lfunc_end194:
	.size	_ZL8moe_q5_KIfLb1EEvPKvS1_PT_PKiS5_S5_iiiiiii, .Lfunc_end194-_ZL8moe_q5_KIfLb1EEvPKvS1_PT_PKiS5_S5_iiiiiii
                                        ; -- End function
	.section	.AMDGPU.csdata,"",@progbits
; Kernel info:
; codeLenInByte = 10380
; NumSgprs: 36
; NumVgprs: 191
; NumAgprs: 0
; TotalNumVgprs: 191
; ScratchSize: 0
; MemoryBound: 0
; FloatMode: 240
; IeeeMode: 1
; LDSByteSize: 37072 bytes/workgroup (compile time only)
; SGPRBlocks: 4
; VGPRBlocks: 23
; NumSGPRsForWavesPerEU: 36
; NumVGPRsForWavesPerEU: 191
; AccumOffset: 192
; Occupancy: 1
; WaveLimiterHint : 1
; COMPUTE_PGM_RSRC2:SCRATCH_EN: 0
; COMPUTE_PGM_RSRC2:USER_SGPR: 2
; COMPUTE_PGM_RSRC2:TRAP_HANDLER: 0
; COMPUTE_PGM_RSRC2:TGID_X_EN: 1
; COMPUTE_PGM_RSRC2:TGID_Y_EN: 1
; COMPUTE_PGM_RSRC2:TGID_Z_EN: 0
; COMPUTE_PGM_RSRC2:TIDIG_COMP_CNT: 1
; COMPUTE_PGM_RSRC3_GFX90A:ACCUM_OFFSET: 47
; COMPUTE_PGM_RSRC3_GFX90A:TG_SPLIT: 0
	.section	.text._ZL8moe_q6_KIfLb0EEvPKvS1_PT_PKiS5_S5_iiiiiii,"axG",@progbits,_ZL8moe_q6_KIfLb0EEvPKvS1_PT_PKiS5_S5_iiiiiii,comdat
	.globl	_ZL8moe_q6_KIfLb0EEvPKvS1_PT_PKiS5_S5_iiiiiii ; -- Begin function _ZL8moe_q6_KIfLb0EEvPKvS1_PT_PKiS5_S5_iiiiiii
	.p2align	8
	.type	_ZL8moe_q6_KIfLb0EEvPKvS1_PT_PKiS5_S5_iiiiiii,@function
_ZL8moe_q6_KIfLb0EEvPKvS1_PT_PKiS5_S5_iiiiiii: ; @_ZL8moe_q6_KIfLb0EEvPKvS1_PT_PKiS5_S5_iiiiiii
; %bb.0:
	s_load_dwordx4 s[4:7], s[0:1], 0x18
	s_mov_b32 s8, s3
	s_mov_b32 s9, 0
	s_lshl_b64 s[10:11], s[8:9], 2
	s_waitcnt lgkmcnt(0)
	s_add_u32 s6, s6, s10
	s_addc_u32 s7, s7, s11
	s_load_dword s3, s[6:7], 0x0
	s_waitcnt lgkmcnt(0)
	s_cmpk_gt_u32 s3, 0xff
	s_cbranch_scc1 .LBB195_28
; %bb.1:
	s_load_dwordx2 s[6:7], s[0:1], 0x28
	s_waitcnt lgkmcnt(0)
	s_load_dword s7, s[6:7], 0x0
	s_lshl_b32 s6, s8, 3
	s_waitcnt lgkmcnt(0)
	s_cmp_gt_u32 s6, s7
	s_cbranch_scc1 .LBB195_28
; %bb.2:
	v_bfe_u32 v2, v0, 10, 10
	v_mov_b32_e32 v4, s4
	v_mov_b32_e32 v5, s5
	v_add_u32_e32 v68, s6, v2
	v_mov_b32_e32 v69, 0
	v_lshl_add_u64 v[4:5], v[68:69], 2, v[4:5]
	global_load_dword v1, v[4:5], off
	s_load_dwordx2 s[14:15], s[0:1], 0x30
	s_load_dwordx2 s[12:13], s[0:1], 0x10
	s_load_dwordx4 s[4:7], s[0:1], 0x3c
	s_lshl_b32 s22, s2, 7
	s_waitcnt lgkmcnt(0)
	s_cmpk_lt_i32 s15, 0x100
	s_cbranch_scc1 .LBB195_18
; %bb.3:
	v_and_b32_e32 v24, 0x3ff, v0
	v_and_b32_e32 v6, 31, v24
	s_load_dwordx4 s[8:11], s[0:1], 0x0
	s_ashr_i32 s0, s15, 31
	v_add_u16_e32 v4, -16, v6
	v_cmp_gt_u32_e32 vcc, 16, v6
	s_lshr_b32 s0, s0, 24
	s_add_i32 s0, s15, s0
	v_cndmask_b32_e32 v4, v4, v6, vcc
	v_cmp_lt_u16_e32 vcc, 7, v4
	s_ashr_i32 s23, s0, 8
	s_ashr_i32 s0, s5, 31
	v_cndmask_b32_e64 v4, 0, 1, vcc
	v_cmp_lt_u32_e32 vcc, 15, v6
	s_lshr_b32 s0, s0, 27
	v_lshlrev_b32_e32 v68, 1, v4
	v_cndmask_b32_e64 v4, 0, 1, vcc
	s_add_i32 s0, s5, s0
	v_lshlrev_b32_e32 v11, 5, v4
	s_ashr_i32 s5, s0, 5
	v_and_or_b32 v4, v24, 15, v11
	v_mul_u32_u24_e32 v5, 0x41, v2
	s_lshl_b32 s0, s23, 3
	v_add_lshl_u32 v110, v4, v5, 2
	v_mov_b32_e32 v4, s0
	v_mad_i32_i24 v14, s23, v2, v4
	v_add_u32_e32 v15, s0, v14
	v_add_u32_e32 v16, s0, v15
	;; [unrolled: 1-line block ×10, first 2 shown]
	v_lshlrev_b32_e32 v7, 5, v2
	v_add_u32_e32 v88, s0, v98
	v_add_u32_e32 v9, v7, v24
	;; [unrolled: 1-line block ×3, first 2 shown]
	v_and_b32_e32 v4, 0x7f, v9
	v_lshrrev_b32_e32 v5, 3, v9
	v_add_u32_e32 v62, s0, v76
	v_mul_i32_i24_e32 v44, s23, v4
	v_and_b32_e32 v5, 12, v5
	v_lshlrev_b32_e32 v4, 2, v4
	s_mov_b32 s0, 0x8e40
	v_lshlrev_b32_e32 v12, 3, v2
	v_lshrrev_b32_e32 v13, 2, v24
	v_add3_u32 v126, v4, v5, s0
	v_add_u32_e32 v26, v13, v12
	v_and_b32_e32 v4, 3, v24
	v_add_u16_e32 v12, v13, v12
	v_lshlrev_b32_e32 v4, 2, v4
	v_and_b32_e32 v26, 0x7f, v26
	v_lshrrev_b16_e32 v12, 1, v12
	v_lshl_or_b32 v27, v26, 4, v4
	v_and_b32_e32 v12, 60, v12
	s_mov_b32 s1, 0x8200
	v_add3_u32 v127, v27, v12, s1
	v_xor_b32_e32 v12, 64, v26
	v_mul_i32_i24_e32 v32, s23, v12
	v_lshl_or_b32 v13, v12, 4, v4
	v_lshrrev_b32_e32 v12, 1, v12
	v_and_b32_e32 v12, 60, v12
	v_mov_b32_e32 v23, 0
	v_add3_u32 v128, v13, v12, s1
	v_lshlrev_b32_e32 v13, 2, v24
	v_lshlrev_b32_e32 v22, 2, v6
	v_or_b32_e32 v12, v7, v6
	v_and_b32_e32 v6, 28, v13
	v_mov_b32_e32 v7, v23
	s_movk_i32 s2, 0xffe4
	v_mul_i32_i24_e32 v38, s23, v26
	s_waitcnt lgkmcnt(0)
	v_lshl_add_u64 v[26:27], s[10:11], 0, v[6:7]
	v_mov_b32_e32 v6, 0x8a40
	v_mad_i32_i24 v7, v2, s2, v9
	v_mov_b32_e32 v9, 0x9050
	v_lshrrev_b32_e32 v131, 3, v24
	v_lshrrev_b32_e32 v3, 5, v24
	v_lshl_add_u32 v129, v12, 2, v6
	v_lshl_add_u32 v130, v7, 2, v9
	v_lshl_add_u32 v132, v2, 7, v6
	v_lshlrev_b32_e32 v6, 2, v131
	v_lshlrev_b32_e32 v7, 4, v24
	v_add3_u32 v134, v7, v6, s1
	v_lshlrev_b32_e32 v6, 2, v3
	v_add3_u32 v136, v6, v13, s0
	v_add_u32_e32 v6, 32, v24
	v_lshrrev_b32_e32 v137, 3, v6
	v_lshlrev_b32_e32 v7, 2, v137
	v_lshlrev_b32_e32 v6, 4, v6
	v_add3_u32 v138, v7, v6, s1
	v_and_b32_e32 v6, 60, v137
	v_add3_u32 v139, v13, v6, s0
	v_add_u32_e32 v6, 64, v24
	v_lshrrev_b32_e32 v7, 3, v6
	v_lshlrev_b32_e32 v9, 2, v7
	v_lshlrev_b32_e32 v6, 4, v6
	s_abs_i32 s2, s7
	v_add3_u32 v140, v9, v6, s1
	v_and_b32_e32 v6, 60, v7
	v_cvt_f32_u32_e32 v12, s2
	v_add3_u32 v141, v13, v6, s0
	v_add_u32_e32 v6, 0x60, v24
	v_lshrrev_b32_e32 v7, 3, v6
	v_lshlrev_b32_e32 v9, 2, v7
	v_lshlrev_b32_e32 v6, 4, v6
	v_add3_u32 v142, v9, v6, s1
	v_and_b32_e32 v6, 60, v7
	v_rcp_iflag_f32_e32 v7, v12
	v_add3_u32 v143, v13, v6, s0
	s_sub_i32 s0, 0, s2
	s_waitcnt vmcnt(0)
	v_sub_u32_e32 v9, 0, v1
	v_mul_f32_e32 v7, 0x4f7ffffe, v7
	v_cvt_u32_f32_e32 v7, v7
	v_max_i32_e32 v9, v1, v9
	v_xor_b32_e32 v6, s7, v1
	v_ashrrev_i32_e32 v6, 31, v6
	v_mul_lo_u32 v12, s0, v7
	v_mul_hi_u32 v12, v7, v12
	v_add_u32_e32 v7, v7, v12
	v_mul_hi_u32 v7, v9, v7
	v_mul_lo_u32 v12, v7, s2
	v_sub_u32_e32 v9, v9, v12
	v_add_u32_e32 v12, 1, v7
	v_cmp_le_u32_e64 s[0:1], s2, v9
	s_mul_i32 s16, s3, s14
	s_mul_i32 s14, s23, s22
	v_cndmask_b32_e64 v7, v7, v12, s[0:1]
	v_subrev_u32_e32 v12, s2, v9
	v_cndmask_b32_e64 v9, v9, v12, s[0:1]
	v_add_u32_e32 v12, 1, v7
	v_cmp_le_u32_e64 s[0:1], s2, v9
	s_mul_hi_i32 s21, s14, 0xd2
	s_mul_i32 s20, s14, 0xd2
	v_cndmask_b32_e64 v7, v7, v12, s[0:1]
	v_xor_b32_e32 v7, v7, v6
	v_sub_u32_e32 v6, v7, v6
	v_cmp_gt_i32_e64 s[0:1], s4, v6
	v_mul_lo_u32 v28, v6, s5
	s_movk_i32 s28, 0xd2
	v_mov_b64_e32 v[6:7], s[20:21]
	v_and_b32_e32 v10, 7, v24
	v_mul_i32_i24_e32 v8, s23, v2
	v_mad_u64_u32 v[6:7], s[2:3], v3, s28, v[6:7]
	v_mad_u64_u32 v[8:9], s[2:3], v8, s28, v[6:7]
	v_lshl_or_b32 v10, v10, 2, v11
	v_mov_b32_e32 v11, v23
	v_lshl_add_u64 v[12:13], v[8:9], 0, v[10:11]
	v_lshl_add_u64 v[12:13], v[12:13], 0, s[8:9]
	s_mov_b64 s[2:3], 0x80
	v_lshl_add_u64 v[30:31], v[12:13], 0, s[2:3]
	v_mad_u64_u32 v[12:13], s[24:25], v32, s28, 0
	v_mov_b32_e32 v3, 0xd2
	v_mov_b32_e32 v5, v23
	v_mad_i64_i32 v[12:13], s[24:25], s14, v3, v[12:13]
	v_lshl_add_u64 v[8:9], v[8:9], 0, v[22:23]
	v_lshl_add_u64 v[12:13], v[12:13], 0, v[4:5]
	;; [unrolled: 1-line block ×4, first 2 shown]
	s_mov_b64 s[24:25], 0xc0
	v_lshl_add_u64 v[34:35], v[8:9], 0, 2
	v_mad_u64_u32 v[8:9], s[26:27], v14, s28, v[6:7]
	v_lshl_add_u64 v[32:33], v[12:13], 0, s[24:25]
	v_lshl_add_u64 v[12:13], v[8:9], 0, v[10:11]
	;; [unrolled: 1-line block ×4, first 2 shown]
	v_mad_u64_u32 v[12:13], s[26:27], v38, s28, 0
	v_mad_i64_i32 v[12:13], s[26:27], s14, v3, v[12:13]
	v_lshl_add_u64 v[4:5], v[12:13], 0, v[4:5]
	v_lshl_add_u64 v[4:5], v[4:5], 0, s[8:9]
	s_ashr_i32 s17, s16, 31
	v_lshl_add_u64 v[38:39], v[4:5], 0, s[24:25]
	v_lshl_add_u64 v[4:5], v[8:9], 0, v[22:23]
	s_add_u32 s18, s10, 0x90
	v_lshl_add_u64 v[4:5], v[4:5], 0, s[8:9]
	s_addc_u32 s19, s11, 0
	v_lshl_add_u64 v[40:41], v[4:5], 0, 2
	v_mad_u64_u32 v[4:5], s[24:25], v15, s28, v[6:7]
	v_lshl_add_u64 v[8:9], v[4:5], 0, v[10:11]
	s_add_u32 s20, s8, s20
	v_lshl_add_u64 v[8:9], v[8:9], 0, s[8:9]
	s_addc_u32 s21, s9, s21
	v_lshl_add_u64 v[42:43], v[8:9], 0, s[2:3]
	v_mov_b64_e32 v[8:9], s[20:21]
	v_mad_u64_u32 v[8:9], s[20:21], v44, s28, v[8:9]
	v_lshl_add_u64 v[4:5], v[4:5], 0, v[22:23]
	s_mov_b64 s[20:21], 0xd0
	v_lshl_add_u64 v[4:5], v[4:5], 0, s[8:9]
	s_mul_i32 s14, s23, 0x78
	v_lshl_add_u64 v[44:45], v[8:9], 0, s[20:21]
	v_lshl_add_u64 v[46:47], v[4:5], 0, 2
	v_mad_u64_u32 v[4:5], s[20:21], v16, s28, v[6:7]
	v_mov_b32_e32 v3, s14
	v_lshlrev_b32_e32 v133, 4, v2
	v_lshl_add_u64 v[8:9], v[4:5], 0, v[10:11]
	v_mad_i32_i24 v2, s23, v2, v3
	v_lshl_add_u64 v[8:9], v[8:9], 0, s[8:9]
	v_mad_u64_u32 v[2:3], s[20:21], v2, s28, v[6:7]
	v_lshl_add_u64 v[4:5], v[4:5], 0, v[22:23]
	v_lshl_add_u64 v[48:49], v[8:9], 0, s[2:3]
	;; [unrolled: 1-line block ×6, first 2 shown]
	v_mad_u64_u32 v[4:5], s[20:21], v17, s28, v[6:7]
	v_lshl_add_u64 v[2:3], v[2:3], 0, s[8:9]
	v_lshl_add_u64 v[56:57], v[2:3], 0, s[2:3]
	;; [unrolled: 1-line block ×5, first 2 shown]
	v_mad_u64_u32 v[2:3], s[20:21], v18, s28, v[6:7]
	v_lshl_add_u64 v[50:51], s[8:9], 0, v[8:9]
	v_lshl_add_u64 v[8:9], v[4:5], 0, v[10:11]
	;; [unrolled: 1-line block ×7, first 2 shown]
	v_mad_u64_u32 v[4:5], s[20:21], v62, s28, v[6:7]
	v_lshl_add_u64 v[2:3], v[2:3], 0, s[8:9]
	v_lshl_add_u64 v[54:55], v[8:9], 0, s[2:3]
	v_lshl_add_u64 v[8:9], v[4:5], 0, v[22:23]
	v_lshl_add_u64 v[64:65], v[2:3], 0, 2
	v_mad_u64_u32 v[2:3], s[20:21], v19, s28, v[6:7]
	v_lshl_add_u64 v[62:63], s[8:9], 0, v[8:9]
	v_lshl_add_u64 v[8:9], v[2:3], 0, v[10:11]
	v_lshl_add_u64 v[2:3], v[2:3], 0, v[22:23]
	v_lshl_add_u64 v[4:5], v[4:5], 0, v[10:11]
	v_lshl_add_u64 v[2:3], v[2:3], 0, s[8:9]
	v_lshl_add_u64 v[4:5], v[4:5], 0, s[8:9]
	v_lshl_add_u64 v[72:73], v[2:3], 0, 2
	v_mad_u64_u32 v[2:3], s[20:21], v20, s28, v[6:7]
	v_lshl_add_u64 v[70:71], v[4:5], 0, s[2:3]
	v_lshl_add_u64 v[4:5], v[2:3], 0, v[10:11]
	v_lshl_add_u64 v[4:5], v[4:5], 0, s[8:9]
	v_lshl_add_u64 v[2:3], v[2:3], 0, v[22:23]
	v_lshl_add_u64 v[8:9], v[8:9], 0, s[8:9]
	v_lshl_add_u64 v[74:75], v[4:5], 0, s[2:3]
	v_mad_u64_u32 v[4:5], s[20:21], v76, s28, v[6:7]
	v_lshl_add_u64 v[2:3], v[2:3], 0, s[8:9]
	v_lshl_add_u64 v[66:67], v[8:9], 0, s[2:3]
	v_lshl_add_u64 v[8:9], v[4:5], 0, v[22:23]
	v_lshl_add_u64 v[78:79], v[2:3], 0, 2
	v_mad_u64_u32 v[2:3], s[20:21], v21, s28, v[6:7]
	v_lshl_add_u64 v[76:77], s[8:9], 0, v[8:9]
	v_lshl_add_u64 v[8:9], v[2:3], 0, v[10:11]
	v_lshl_add_u64 v[2:3], v[2:3], 0, v[22:23]
	v_lshl_add_u64 v[4:5], v[4:5], 0, v[10:11]
	v_lshl_add_u64 v[2:3], v[2:3], 0, s[8:9]
	v_lshl_add_u64 v[4:5], v[4:5], 0, s[8:9]
	v_lshl_add_u64 v[84:85], v[2:3], 0, 2
	v_mad_u64_u32 v[2:3], s[20:21], v25, s28, v[6:7]
	v_lshl_add_u64 v[82:83], v[4:5], 0, s[2:3]
	v_lshl_add_u64 v[4:5], v[2:3], 0, v[10:11]
	v_lshl_add_u64 v[4:5], v[4:5], 0, s[8:9]
	v_lshl_add_u64 v[2:3], v[2:3], 0, v[22:23]
	v_lshl_add_u64 v[8:9], v[8:9], 0, s[8:9]
	v_lshl_add_u64 v[86:87], v[4:5], 0, s[2:3]
	;; [unrolled: 20-line block ×3, first 2 shown]
	v_add_u32_e32 v111, 0x820, v110
	v_add_u32_e32 v112, 0x1040, v110
	;; [unrolled: 1-line block ×15, first 2 shown]
	v_cmp_gt_u32_e32 vcc, 4, v24
	v_mul_u32_u24_e32 v135, 0x104, v24
	v_ashrrev_i32_e32 v29, 31, v28
	v_lshl_add_u64 v[92:93], v[8:9], 0, s[2:3]
	v_lshl_add_u64 v[98:99], v[4:5], 0, s[2:3]
	;; [unrolled: 1-line block ×3, first 2 shown]
	s_movk_i32 s14, 0x80
	s_mov_b32 s24, 0xf0f0f0f
	s_mov_b32 s25, 0x30303030
	s_movk_i32 s26, 0x3f00
	s_movk_i32 s27, 0xe000
	s_mov_b64 s[8:9], 0xd2
	v_mov_b32_e32 v145, 8
	v_mov_b32_e32 v144, v23
	;; [unrolled: 1-line block ×4, first 2 shown]
	s_branch .LBB195_6
.LBB195_4:                              ;   in Loop: Header=BB195_6 Depth=1
	s_or_b64 exec, exec, s[20:21]
	s_waitcnt lgkmcnt(0)
	s_barrier
	ds_read_b128 v[6:9], v132
	ds_read_b128 v[10:13], v132 offset:16
	ds_read_b128 v[14:17], v132 offset:32
	;; [unrolled: 1-line block ×3, first 2 shown]
	ds_read_b32 v25, v136
	ds_read2_b32 v[102:103], v135 offset0:38 offset1:39
	ds_read2_b32 v[106:107], v135 offset0:36 offset1:37
	;; [unrolled: 1-line block ×6, first 2 shown]
	ds_read_b128 v[2:5], v133 offset:36944
	ds_read2_b32 v[104:105], v134 offset0:2 offset1:3
	v_mov_b32_e32 v156, 0
	ds_read2_b32 v[152:153], v135 offset0:42 offset1:43
	ds_read2_b32 v[154:155], v135 offset0:40 offset1:41
	s_waitcnt lgkmcnt(4)
	v_dot4c_i32_i8_e32 v156, v150, v18
	v_dot4c_i32_i8_e32 v156, v151, v19
	;; [unrolled: 1-line block ×4, first 2 shown]
	v_mov_b32_e32 v149, 0
	v_dot4c_i32_i8_e32 v149, v106, v10
	v_dot4c_i32_i8_e32 v149, v107, v11
	;; [unrolled: 1-line block ×4, first 2 shown]
	v_mov_b32_e32 v103, 0
	v_dot4c_i32_i8_e32 v103, v146, v6
	v_dot4c_i32_i8_e32 v103, v147, v7
	s_waitcnt lgkmcnt(2)
	v_bfe_i32 v102, v104, 8, 8
	v_dot4c_i32_i8_e32 v103, v108, v8
	v_mul_lo_u32 v102, v149, v102
	v_dot4c_i32_i8_e32 v103, v109, v9
	v_bfe_i32 v106, v104, 0, 8
	v_mov_b32_e32 v148, 0
	s_waitcnt lgkmcnt(0)
	v_dot4c_i32_i8_e32 v148, v154, v14
	v_mad_u64_u32 v[102:103], s[2:3], v103, v106, v[102:103]
	v_cvt_f32_i32_e32 v102, v102
	v_dot4c_i32_i8_e32 v148, v155, v15
	v_dot4c_i32_i8_e32 v148, v152, v16
	;; [unrolled: 1-line block ×3, first 2 shown]
	v_fma_f32 v160, v2, v102, 0
	v_ashrrev_i32_e32 v102, 24, v104
	v_bfe_i32 v103, v104, 16, 8
	v_mul_lo_u32 v102, v156, v102
	v_mad_u64_u32 v[102:103], s[2:3], v148, v103, v[102:103]
	v_add_u32_e32 v106, 0x2110, v135
	v_add_u32_e32 v146, 0x2108, v135
	;; [unrolled: 1-line block ×5, first 2 shown]
	v_cvt_f32_i32_e32 v161, v102
	ds_read2_b32 v[102:103], v140 offset0:2 offset1:3
	ds_read_b32 v164, v139 offset:128
	ds_read2_b32 v[108:109], v138 offset0:2 offset1:3
	ds_read2_b32 v[106:107], v106 offset1:1
	ds_read2_b32 v[146:147], v146 offset1:1
	;; [unrolled: 1-line block ×5, first 2 shown]
	v_mov_b32_e32 v162, 0
	v_add_u32_e32 v104, 0x2118, v135
	v_add_u32_e32 v154, 0x2128, v135
	;; [unrolled: 1-line block ×3, first 2 shown]
	s_waitcnt lgkmcnt(0)
	v_dot4c_i32_i8_e32 v162, v152, v18
	v_dot4c_i32_i8_e32 v162, v153, v19
	v_add_u32_e32 v158, 0x4198, v135
	v_dot4c_i32_i8_e32 v162, v150, v20
	ds_read2_b32 v[154:155], v154 offset1:1
	ds_read2_b32 v[156:157], v156 offset1:1
	;; [unrolled: 1-line block ×3, first 2 shown]
	v_dot4c_i32_i8_e32 v162, v151, v21
	ds_read2_b32 v[150:151], v104 offset1:1
	v_mov_b32_e32 v153, 0
	v_dot4c_i32_i8_e32 v153, v106, v10
	v_dot4c_i32_i8_e32 v153, v107, v11
	v_mov_b32_e32 v107, 0
	v_dot4c_i32_i8_e32 v107, v148, v6
	s_waitcnt lgkmcnt(0)
	v_dot4c_i32_i8_e32 v153, v150, v12
	v_dot4c_i32_i8_e32 v107, v149, v7
	v_mov_b32_e32 v152, 0
	v_dot4c_i32_i8_e32 v153, v151, v13
	v_bfe_i32 v106, v108, 8, 8
	v_dot4c_i32_i8_e32 v107, v146, v8
	v_dot4c_i32_i8_e32 v152, v156, v14
	v_mul_lo_u32 v106, v153, v106
	v_dot4c_i32_i8_e32 v107, v147, v9
	v_bfe_i32 v146, v108, 0, 8
	v_dot4c_i32_i8_e32 v152, v157, v15
	v_dot4c_i32_i8_e32 v152, v154, v16
	v_mad_u64_u32 v[106:107], s[2:3], v107, v146, v[106:107]
	v_cvt_f32_i32_e32 v146, v106
	v_ashrrev_i32_e32 v106, 24, v108
	v_dot4c_i32_i8_e32 v152, v155, v17
	v_bfe_i32 v107, v108, 16, 8
	v_mul_lo_u32 v106, v162, v106
	v_add_u32_e32 v148, 0x4180, v135
	v_mad_u64_u32 v[106:107], s[2:3], v152, v107, v[106:107]
	v_cvt_f32_i32_e32 v106, v106
	v_fma_f32 v107, v2, v146, 0
	v_add_u32_e32 v146, 0x4188, v135
	v_add_u32_e32 v150, 0x41b8, v135
	v_fmac_f32_e32 v107, v3, v106
	v_add_u32_e32 v106, 0x4190, v135
	v_add_u32_e32 v152, 0x41b0, v135
	ds_read_b32 v104, v143 offset:384
	ds_read_b32 v108, v141 offset:256
	v_fmac_f32_e32 v144, v164, v107
	ds_read2_b32 v[106:107], v106 offset1:1
	ds_read2_b32 v[146:147], v146 offset1:1
	ds_read2_b32 v[148:149], v148 offset1:1
	ds_read2_b32 v[150:151], v150 offset1:1
	ds_read2_b32 v[152:153], v152 offset1:1
	v_mov_b32_e32 v162, 0
	v_fmac_f32_e32 v160, v3, v161
	v_fmac_f32_e32 v23, v25, v160
	v_add_u32_e32 v154, 0x41a8, v135
	s_waitcnt lgkmcnt(0)
	v_dot4c_i32_i8_e32 v162, v152, v18
	v_dot4c_i32_i8_e32 v162, v153, v19
	;; [unrolled: 1-line block ×4, first 2 shown]
	v_mov_b32_e32 v151, 0
	v_dot4c_i32_i8_e32 v151, v106, v10
	v_dot4c_i32_i8_e32 v151, v107, v11
	v_mov_b32_e32 v107, 0
	v_dot4c_i32_i8_e32 v107, v148, v6
	v_dot4c_i32_i8_e32 v151, v158, v12
	v_dot4c_i32_i8_e32 v107, v149, v7
	v_add_u32_e32 v156, 0x41a0, v135
	v_add_u32_e32 v160, 0x6218, v135
	v_dot4c_i32_i8_e32 v151, v159, v13
	v_bfe_i32 v106, v102, 8, 8
	v_dot4c_i32_i8_e32 v107, v146, v8
	ds_read2_b32 v[154:155], v154 offset1:1
	ds_read2_b32 v[156:157], v156 offset1:1
	;; [unrolled: 1-line block ×3, first 2 shown]
	v_mul_lo_u32 v106, v151, v106
	v_dot4c_i32_i8_e32 v107, v147, v9
	v_bfe_i32 v146, v102, 0, 8
	v_mov_b32_e32 v150, 0
	s_waitcnt lgkmcnt(1)
	v_dot4c_i32_i8_e32 v150, v156, v14
	v_mad_u64_u32 v[106:107], s[2:3], v107, v146, v[106:107]
	v_cvt_f32_i32_e32 v106, v106
	v_dot4c_i32_i8_e32 v150, v157, v15
	v_dot4c_i32_i8_e32 v150, v154, v16
	;; [unrolled: 1-line block ×3, first 2 shown]
	v_fma_f32 v165, v2, v106, 0
	v_bfe_i32 v106, v102, 16, 8
	v_ashrrev_i32_e32 v102, 24, v102
	v_mul_lo_u32 v102, v162, v102
	v_mad_u64_u32 v[106:107], s[2:3], v150, v106, v[102:103]
	v_add_u32_e32 v146, 0x6210, v135
	v_add_u32_e32 v148, 0x6208, v135
	;; [unrolled: 1-line block ×5, first 2 shown]
	v_cvt_f32_i32_e32 v102, v106
	ds_read2_b32 v[106:107], v142 offset0:2 offset1:3
	ds_read2_b32 v[146:147], v146 offset1:1
	ds_read2_b32 v[148:149], v148 offset1:1
	;; [unrolled: 1-line block ×5, first 2 shown]
	v_add_u32_e32 v156, 0x6228, v135
	v_add_u32_e32 v158, 0x6220, v135
	;; [unrolled: 1-line block ×3, first 2 shown]
	ds_read2_b32 v[156:157], v156 offset1:1
	ds_read2_b32 v[158:159], v158 offset1:1
	;; [unrolled: 1-line block ×3, first 2 shown]
	v_mov_b32_e32 v166, 0
	s_waitcnt lgkmcnt(3)
	v_dot4c_i32_i8_e32 v166, v154, v18
	v_mov_b32_e32 v18, 0
	s_waitcnt lgkmcnt(1)
	v_dot4c_i32_i8_e32 v18, v158, v14
	v_mov_b32_e32 v14, 0
	v_dot4c_i32_i8_e32 v14, v146, v10
	v_dot4c_i32_i8_e32 v14, v147, v11
	v_mov_b32_e32 v11, 0
	v_dot4c_i32_i8_e32 v11, v150, v6
	v_dot4c_i32_i8_e32 v14, v160, v12
	v_dot4c_i32_i8_e32 v11, v151, v7
	v_dot4c_i32_i8_e32 v14, v161, v13
	v_bfe_i32 v10, v106, 8, 8
	v_dot4c_i32_i8_e32 v11, v148, v8
	v_dot4c_i32_i8_e32 v166, v155, v19
	v_mul_lo_u32 v10, v14, v10
	v_dot4c_i32_i8_e32 v11, v149, v9
	v_bfe_i32 v6, v106, 0, 8
	v_dot4c_i32_i8_e32 v166, v152, v20
	v_dot4c_i32_i8_e32 v18, v159, v15
	v_mad_u64_u32 v[6:7], s[2:3], v11, v6, v[10:11]
	v_dot4c_i32_i8_e32 v166, v153, v21
	v_dot4c_i32_i8_e32 v18, v156, v16
	v_cvt_f32_i32_e32 v8, v6
	v_ashrrev_i32_e32 v6, 24, v106
	v_dot4c_i32_i8_e32 v18, v157, v17
	v_bfe_i32 v7, v106, 16, 8
	v_mul_lo_u32 v6, v166, v6
	v_fma_f32 v2, v2, v8, 0
	v_mad_u64_u32 v[6:7], s[2:3], v18, v7, v[6:7]
	v_cvt_f32_i32_e32 v6, v6
	v_fmac_f32_e32 v165, v3, v102
	v_mov_b32_e32 v102, 0
	v_mov_b32_e32 v106, 0
	v_fmac_f32_e32 v2, v3, v6
	v_fmac_f32_e32 v69, v104, v2
	ds_read_b128 v[10:13], v132 offset:80
	ds_read_b128 v[6:9], v132 offset:64
	;; [unrolled: 1-line block ×4, first 2 shown]
	ds_read2_b32 v[2:3], v135 offset0:62 offset1:63
	ds_read2_b32 v[146:147], v135 offset0:60 offset1:61
	;; [unrolled: 1-line block ×6, first 2 shown]
	s_waitcnt lgkmcnt(4)
	v_dot4c_i32_i8_e32 v102, v146, v18
	v_dot4c_i32_i8_e32 v102, v147, v19
	v_dot4c_i32_i8_e32 v102, v2, v20
	v_mov_b32_e32 v2, 0
	s_waitcnt lgkmcnt(2)
	v_dot4c_i32_i8_e32 v2, v150, v10
	v_dot4c_i32_i8_e32 v2, v151, v11
	;; [unrolled: 1-line block ×5, first 2 shown]
	v_bfe_i32 v3, v105, 8, 8
	ds_read2_b32 v[156:157], v135 offset0:58 offset1:59
	ds_read2_b32 v[158:159], v135 offset0:56 offset1:57
	v_mul_lo_u32 v2, v2, v3
	v_mov_b32_e32 v3, 0
	s_waitcnt lgkmcnt(2)
	v_dot4c_i32_i8_e32 v3, v154, v6
	v_dot4c_i32_i8_e32 v3, v155, v7
	;; [unrolled: 1-line block ×4, first 2 shown]
	v_bfe_i32 v146, v105, 0, 8
	s_waitcnt lgkmcnt(0)
	v_dot4c_i32_i8_e32 v106, v158, v14
	v_dot4c_i32_i8_e32 v106, v159, v15
	v_mad_u64_u32 v[2:3], s[2:3], v3, v146, v[2:3]
	v_cvt_f32_i32_e32 v2, v2
	v_dot4c_i32_i8_e32 v106, v156, v16
	v_dot4c_i32_i8_e32 v106, v157, v17
	v_bfe_i32 v3, v105, 16, 8
	v_fma_f32 v160, v4, v2, 0
	v_ashrrev_i32_e32 v2, 24, v105
	v_mul_lo_u32 v2, v102, v2
	v_mad_u64_u32 v[2:3], s[2:3], v106, v3, v[2:3]
	v_cvt_f32_i32_e32 v102, v2
	v_add_u32_e32 v2, 0x2150, v135
	v_add_u32_e32 v105, 0x2148, v135
	;; [unrolled: 1-line block ×4, first 2 shown]
	ds_read2_b32 v[2:3], v2 offset1:1
	ds_read2_b32 v[146:147], v105 offset1:1
	;; [unrolled: 1-line block ×4, first 2 shown]
	v_add_u32_e32 v105, 0x2170, v135
	ds_read2_b32 v[152:153], v105 offset1:1
	v_mov_b32_e32 v106, 0
	v_add_u32_e32 v154, 0x2168, v135
	v_add_u32_e32 v156, 0x2160, v135
	;; [unrolled: 1-line block ×3, first 2 shown]
	s_waitcnt lgkmcnt(0)
	v_dot4c_i32_i8_e32 v106, v152, v18
	v_dot4c_i32_i8_e32 v106, v153, v19
	;; [unrolled: 1-line block ×3, first 2 shown]
	v_mov_b32_e32 v150, 0
	v_dot4c_i32_i8_e32 v150, v2, v10
	ds_read2_b32 v[154:155], v154 offset1:1
	ds_read2_b32 v[156:157], v156 offset1:1
	;; [unrolled: 1-line block ×3, first 2 shown]
	v_dot4c_i32_i8_e32 v150, v3, v11
	v_mov_b32_e32 v3, 0
	v_dot4c_i32_i8_e32 v3, v148, v6
	v_dot4c_i32_i8_e32 v150, v162, v12
	;; [unrolled: 1-line block ×3, first 2 shown]
	v_mov_b32_e32 v105, 0
	v_dot4c_i32_i8_e32 v150, v163, v13
	v_bfe_i32 v2, v109, 8, 8
	v_dot4c_i32_i8_e32 v3, v146, v8
	s_waitcnt lgkmcnt(1)
	v_dot4c_i32_i8_e32 v105, v156, v14
	v_mul_lo_u32 v2, v150, v2
	v_dot4c_i32_i8_e32 v3, v147, v9
	v_bfe_i32 v146, v109, 0, 8
	v_dot4c_i32_i8_e32 v105, v157, v15
	v_dot4c_i32_i8_e32 v106, v151, v21
	v_mad_u64_u32 v[2:3], s[2:3], v3, v146, v[2:3]
	v_dot4c_i32_i8_e32 v105, v154, v16
	v_cvt_f32_i32_e32 v146, v2
	v_ashrrev_i32_e32 v2, 24, v109
	v_dot4c_i32_i8_e32 v105, v155, v17
	v_bfe_i32 v3, v109, 16, 8
	v_mul_lo_u32 v2, v106, v2
	v_fmac_f32_e32 v160, v5, v102
	v_mad_u64_u32 v[2:3], s[2:3], v105, v3, v[2:3]
	v_cvt_f32_i32_e32 v2, v2
	v_fma_f32 v3, v4, v146, 0
	v_fmac_f32_e32 v23, v25, v160
	v_add_u32_e32 v25, 0x41c8, v135
	v_fmac_f32_e32 v3, v5, v2
	v_add_u32_e32 v2, 0x41d0, v135
	v_add_u32_e32 v105, 0x41f8, v135
	v_fmac_f32_e32 v144, v164, v3
	v_add_u32_e32 v102, 0x41c0, v135
	ds_read2_b32 v[2:3], v2 offset1:1
	ds_read2_b32 v[146:147], v25 offset1:1
	;; [unrolled: 1-line block ×4, first 2 shown]
	v_add_u32_e32 v25, 0x41f0, v135
	v_add_u32_e32 v105, 0x41e8, v135
	;; [unrolled: 1-line block ×3, first 2 shown]
	ds_read2_b32 v[152:153], v25 offset1:1
	v_add_u32_e32 v25, 0x6258, v135
	ds_read2_b32 v[154:155], v105 offset1:1
	ds_read2_b32 v[156:157], v106 offset1:1
	;; [unrolled: 1-line block ×3, first 2 shown]
	v_mov_b32_e32 v105, 0
	s_waitcnt lgkmcnt(7)
	v_dot4c_i32_i8_e32 v105, v2, v10
	v_dot4c_i32_i8_e32 v105, v3, v11
	v_mov_b32_e32 v3, 0
	s_waitcnt lgkmcnt(5)
	v_dot4c_i32_i8_e32 v3, v148, v6
	v_dot4c_i32_i8_e32 v105, v158, v12
	;; [unrolled: 1-line block ×4, first 2 shown]
	v_bfe_i32 v2, v103, 8, 8
	v_dot4c_i32_i8_e32 v3, v146, v8
	v_dot4c_i32_i8_e32 v3, v147, v9
	v_mul_lo_u32 v2, v105, v2
	v_bfe_i32 v105, v103, 0, 8
	v_mov_b32_e32 v102, 0
	v_mad_u64_u32 v[2:3], s[2:3], v3, v105, v[2:3]
	v_cvt_f32_i32_e32 v2, v2
	s_waitcnt lgkmcnt(3)
	v_dot4c_i32_i8_e32 v102, v152, v18
	v_mov_b32_e32 v25, 0
	v_dot4c_i32_i8_e32 v102, v153, v19
	s_waitcnt lgkmcnt(1)
	v_dot4c_i32_i8_e32 v25, v156, v14
	v_dot4c_i32_i8_e32 v102, v150, v20
	;; [unrolled: 1-line block ×5, first 2 shown]
	v_fma_f32 v105, v4, v2, 0
	v_ashrrev_i32_e32 v2, 24, v103
	v_dot4c_i32_i8_e32 v25, v155, v17
	v_bfe_i32 v3, v103, 16, 8
	v_mul_lo_u32 v2, v102, v2
	v_add_u32_e32 v102, 0x6248, v135
	v_mad_u64_u32 v[2:3], s[2:3], v25, v3, v[2:3]
	v_cvt_f32_i32_e32 v25, v2
	v_add_u32_e32 v2, 0x6250, v135
	v_add_u32_e32 v106, 0x6240, v135
	;; [unrolled: 1-line block ×3, first 2 shown]
	ds_read2_b32 v[2:3], v2 offset1:1
	ds_read2_b32 v[102:103], v102 offset1:1
	;; [unrolled: 1-line block ×4, first 2 shown]
	v_add_u32_e32 v106, 0x6270, v135
	ds_read2_b32 v[150:151], v106 offset1:1
	v_add_u32_e32 v106, 0x6268, v135
	v_add_u32_e32 v154, 0x6260, v135
	ds_read2_b32 v[152:153], v106 offset1:1
	ds_read2_b32 v[154:155], v154 offset1:1
	v_mov_b32_e32 v109, 0
	s_waitcnt lgkmcnt(2)
	v_dot4c_i32_i8_e32 v109, v150, v18
	v_mov_b32_e32 v18, 0
	v_dot4c_i32_i8_e32 v109, v151, v19
	s_waitcnt lgkmcnt(0)
	v_dot4c_i32_i8_e32 v18, v154, v14
	v_mov_b32_e32 v14, 0
	v_dot4c_i32_i8_e32 v14, v2, v10
	v_dot4c_i32_i8_e32 v14, v3, v11
	v_mov_b32_e32 v3, 0
	v_dot4c_i32_i8_e32 v3, v146, v6
	v_dot4c_i32_i8_e32 v14, v160, v12
	;; [unrolled: 1-line block ×4, first 2 shown]
	v_bfe_i32 v2, v107, 8, 8
	v_dot4c_i32_i8_e32 v3, v102, v8
	v_dot4c_i32_i8_e32 v3, v103, v9
	v_mul_lo_u32 v2, v14, v2
	v_bfe_i32 v6, v107, 0, 8
	v_dot4c_i32_i8_e32 v109, v148, v20
	v_dot4c_i32_i8_e32 v18, v155, v15
	v_mad_u64_u32 v[2:3], s[2:3], v3, v6, v[2:3]
	v_dot4c_i32_i8_e32 v109, v149, v21
	v_dot4c_i32_i8_e32 v18, v152, v16
	v_cvt_f32_i32_e32 v6, v2
	v_ashrrev_i32_e32 v2, 24, v107
	v_dot4c_i32_i8_e32 v18, v153, v17
	v_bfe_i32 v3, v107, 16, 8
	v_mul_lo_u32 v2, v109, v2
	v_fmac_f32_e32 v22, v108, v165
	v_mad_u64_u32 v[2:3], s[2:3], v18, v3, v[2:3]
	v_cvt_f32_i32_e32 v2, v2
	v_fma_f32 v3, v4, v6, 0
	v_fmac_f32_e32 v105, v5, v25
	v_fmac_f32_e32 v22, v108, v105
	;; [unrolled: 1-line block ×4, first 2 shown]
	s_barrier
.LBB195_5:                              ;   in Loop: Header=BB195_6 Depth=1
	s_add_i32 s23, s23, -1
	s_addk_i32 s14, 0x100
	v_add_u32_e32 v24, 8, v24
	v_add_u32_e32 v137, 8, v137
	;; [unrolled: 1-line block ×3, first 2 shown]
	v_lshl_add_u64 v[30:31], v[30:31], 0, s[8:9]
	v_lshl_add_u64 v[32:33], v[32:33], 0, s[8:9]
	;; [unrolled: 1-line block ×34, first 2 shown]
	s_cmp_eq_u32 s23, 0
	v_lshl_add_u64 v[100:101], v[100:101], 0, s[8:9]
	s_cbranch_scc1 .LBB195_19
.LBB195_6:                              ; =>This Inner Loop Header: Depth=1
	v_lshl_add_u64 v[2:3], v[34:35], 0, s[16:17]
	global_load_dword v10, v[2:3], off offset:-2
	v_lshl_add_u64 v[2:3], v[30:31], 0, s[16:17]
	global_load_dword v11, v[2:3], off
	v_lshl_add_u64 v[2:3], v[40:41], 0, s[16:17]
	global_load_dword v12, v[2:3], off offset:-2
	v_lshl_add_u64 v[2:3], v[36:37], 0, s[16:17]
	global_load_dword v13, v[2:3], off
	;; [unrolled: 4-line block ×3, first 2 shown]
	v_lshl_add_u64 v[2:3], v[52:53], 0, s[16:17]
	v_lshl_add_u64 v[4:5], v[48:49], 0, s[16:17]
	;; [unrolled: 1-line block ×4, first 2 shown]
	global_load_dword v16, v[2:3], off offset:-2
	s_nop 0
	global_load_dword v4, v[4:5], off
	s_nop 0
	global_load_dword v5, v[6:7], off offset:-2
	s_nop 0
	global_load_dword v6, v[8:9], off
	s_add_i32 s2, s14, 0xffffff80
	s_cmp_lt_i32 s2, s15
	s_waitcnt vmcnt(9)
	v_and_b32_e32 v2, 0xf0f0f0f, v10
	v_lshrrev_b32_e32 v3, 4, v10
	s_waitcnt vmcnt(8)
	v_ashrrev_i32_e32 v7, v68, v11
	s_waitcnt vmcnt(7)
	v_and_b32_e32 v8, 0xf0f0f0f, v12
	v_lshrrev_b32_e32 v9, 4, v12
	s_waitcnt vmcnt(6)
	v_ashrrev_i32_e32 v10, v68, v13
	;; [unrolled: 5-line block ×3, first 2 shown]
	v_lshlrev_b32_e32 v14, 4, v7
	v_and_b32_e32 v7, 0x30303030, v7
	v_lshlrev_b32_e32 v15, 4, v10
	v_and_b32_e32 v10, 0x30303030, v10
	v_lshlrev_b32_e32 v17, 4, v13
	v_and_or_b32 v2, v14, s25, v2
	v_and_or_b32 v3, v3, s24, v7
	;; [unrolled: 1-line block ×5, first 2 shown]
	v_and_b32_e32 v10, 0x3f00, v2
	v_lshlrev_b16_e32 v11, 8, v2
	v_and_b32_sdwa v14, v2, s26 dst_sel:DWORD dst_unused:UNUSED_PAD src0_sel:WORD_1 src1_sel:DWORD
	v_lshlrev_b16_sdwa v2, v145, v2 dst_sel:DWORD dst_unused:UNUSED_PAD src0_sel:DWORD src1_sel:WORD_1
	v_and_b32_e32 v15, 0x3f00, v3
	v_lshlrev_b16_e32 v17, 8, v3
	v_and_b32_sdwa v18, v3, s26 dst_sel:DWORD dst_unused:UNUSED_PAD src0_sel:WORD_1 src1_sel:DWORD
	v_lshlrev_b16_sdwa v3, v145, v3 dst_sel:DWORD dst_unused:UNUSED_PAD src0_sel:DWORD src1_sel:WORD_1
	;; [unrolled: 4-line block ×4, first 2 shown]
	v_add_u16_e32 v11, 0xe000, v11
	v_add_u16_e32 v2, 0xe000, v2
	;; [unrolled: 1-line block ×8, first 2 shown]
	v_or_b32_sdwa v10, v10, v11 dst_sel:DWORD dst_unused:UNUSED_PAD src0_sel:DWORD src1_sel:BYTE_1
	v_or_b32_sdwa v2, v14, v2 dst_sel:DWORD dst_unused:UNUSED_PAD src0_sel:DWORD src1_sel:BYTE_1
	;; [unrolled: 1-line block ×8, first 2 shown]
	v_add_u16_e32 v10, 0xe000, v10
	v_add_u16_sdwa v2, v2, s27 dst_sel:WORD_1 dst_unused:UNUSED_PAD src0_sel:DWORD src1_sel:DWORD
	v_add_u16_e32 v11, 0xe000, v11
	v_add_u16_sdwa v3, v3, s27 dst_sel:WORD_1 dst_unused:UNUSED_PAD src0_sel:DWORD src1_sel:DWORD
	;; [unrolled: 2-line block ×4, first 2 shown]
	v_or_b32_e32 v2, v10, v2
	v_or_b32_e32 v3, v11, v3
	;; [unrolled: 1-line block ×3, first 2 shown]
	v_lshlrev_b16_e32 v105, 8, v9
	v_or_b32_e32 v8, v15, v8
	ds_write2_b32 v110, v2, v3 offset1:16
	ds_write2_b32 v111, v7, v8 offset1:16
	v_lshlrev_b16_sdwa v7, v145, v9 dst_sel:DWORD dst_unused:UNUSED_PAD src0_sel:DWORD src1_sel:WORD_1
	v_and_b32_e32 v104, 0x3f00, v9
	v_add_u16_e32 v105, 0xe000, v105
	v_and_b32_sdwa v3, v9, s26 dst_sel:DWORD dst_unused:UNUSED_PAD src0_sel:WORD_1 src1_sel:DWORD
	v_add_u16_e32 v7, 0xe000, v7
	v_and_b32_e32 v13, 0x30303030, v13
	v_or_b32_sdwa v17, v104, v105 dst_sel:DWORD dst_unused:UNUSED_PAD src0_sel:DWORD src1_sel:BYTE_1
	v_or_b32_sdwa v3, v3, v7 dst_sel:DWORD dst_unused:UNUSED_PAD src0_sel:DWORD src1_sel:BYTE_1
	v_add_u16_e32 v2, 0xe000, v17
	v_add_u16_sdwa v3, v3, s27 dst_sel:WORD_1 dst_unused:UNUSED_PAD src0_sel:DWORD src1_sel:DWORD
	v_and_or_b32 v8, v12, s24, v13
	v_or_b32_e32 v7, v2, v3
	v_lshlrev_b16_e32 v2, 8, v8
	v_add_u16_e32 v10, 0xe000, v2
	v_lshl_add_u64 v[2:3], v[64:65], 0, s[16:17]
	global_load_dword v11, v[2:3], off offset:-2
	v_lshl_add_u64 v[2:3], v[60:61], 0, s[16:17]
	global_load_dword v12, v[2:3], off
	v_and_b32_e32 v9, 0x3f00, v8
	v_and_b32_sdwa v3, v8, s26 dst_sel:DWORD dst_unused:UNUSED_PAD src0_sel:WORD_1 src1_sel:DWORD
	v_lshlrev_b16_sdwa v8, v145, v8 dst_sel:DWORD dst_unused:UNUSED_PAD src0_sel:DWORD src1_sel:WORD_1
	v_add_u16_e32 v8, 0xe000, v8
	v_or_b32_sdwa v2, v9, v10 dst_sel:DWORD dst_unused:UNUSED_PAD src0_sel:DWORD src1_sel:BYTE_1
	v_or_b32_sdwa v3, v3, v8 dst_sel:DWORD dst_unused:UNUSED_PAD src0_sel:DWORD src1_sel:BYTE_1
	v_add_u16_e32 v2, 0xe000, v2
	v_add_u16_sdwa v3, v3, s27 dst_sel:WORD_1 dst_unused:UNUSED_PAD src0_sel:DWORD src1_sel:DWORD
	s_waitcnt vmcnt(4)
	v_ashrrev_i32_e32 v4, v68, v4
	v_or_b32_e32 v2, v2, v3
	ds_write2_b32 v112, v7, v2 offset1:16
	v_and_b32_e32 v2, 0xf0f0f0f, v16
	v_lshlrev_b32_e32 v7, 4, v4
	v_and_or_b32 v2, v7, s25, v2
	v_lshlrev_b16_e32 v8, 8, v2
	v_and_b32_e32 v7, 0x3f00, v2
	v_add_u16_e32 v8, 0xe000, v8
	v_or_b32_sdwa v7, v7, v8 dst_sel:DWORD dst_unused:UNUSED_PAD src0_sel:DWORD src1_sel:BYTE_1
	v_and_b32_sdwa v8, v2, s26 dst_sel:DWORD dst_unused:UNUSED_PAD src0_sel:WORD_1 src1_sel:DWORD
	v_lshlrev_b16_sdwa v2, v145, v2 dst_sel:DWORD dst_unused:UNUSED_PAD src0_sel:DWORD src1_sel:WORD_1
	v_add_u16_e32 v2, 0xe000, v2
	v_lshrrev_b32_e32 v3, 4, v16
	v_and_b32_e32 v4, 0x30303030, v4
	v_or_b32_sdwa v2, v8, v2 dst_sel:DWORD dst_unused:UNUSED_PAD src0_sel:DWORD src1_sel:BYTE_1
	v_add_u16_e32 v7, 0xe000, v7
	v_add_u16_sdwa v2, v2, s27 dst_sel:WORD_1 dst_unused:UNUSED_PAD src0_sel:DWORD src1_sel:DWORD
	v_and_or_b32 v4, v3, s24, v4
	v_or_b32_e32 v7, v7, v2
	v_lshlrev_b16_e32 v2, 8, v4
	v_add_u16_e32 v9, 0xe000, v2
	v_lshl_add_u64 v[2:3], v[72:73], 0, s[16:17]
	global_load_dword v10, v[2:3], off offset:-2
	v_lshl_add_u64 v[2:3], v[66:67], 0, s[16:17]
	v_and_b32_e32 v8, 0x3f00, v4
	global_load_dword v13, v[2:3], off
	v_and_b32_sdwa v3, v4, s26 dst_sel:DWORD dst_unused:UNUSED_PAD src0_sel:WORD_1 src1_sel:DWORD
	v_lshlrev_b16_sdwa v4, v145, v4 dst_sel:DWORD dst_unused:UNUSED_PAD src0_sel:DWORD src1_sel:WORD_1
	v_add_u16_e32 v4, 0xe000, v4
	v_or_b32_sdwa v2, v8, v9 dst_sel:DWORD dst_unused:UNUSED_PAD src0_sel:DWORD src1_sel:BYTE_1
	v_or_b32_sdwa v3, v3, v4 dst_sel:DWORD dst_unused:UNUSED_PAD src0_sel:DWORD src1_sel:BYTE_1
	v_add_u16_e32 v2, 0xe000, v2
	v_add_u16_sdwa v3, v3, s27 dst_sel:WORD_1 dst_unused:UNUSED_PAD src0_sel:DWORD src1_sel:DWORD
	s_waitcnt vmcnt(4)
	v_ashrrev_i32_e32 v4, v68, v6
	v_or_b32_e32 v2, v2, v3
	ds_write2_b32 v113, v7, v2 offset1:16
	v_and_b32_e32 v2, 0xf0f0f0f, v5
	v_lshrrev_b32_e32 v3, 4, v5
	v_lshlrev_b32_e32 v5, 4, v4
	v_and_or_b32 v2, v5, s25, v2
	v_lshlrev_b16_e32 v6, 8, v2
	v_and_b32_e32 v5, 0x3f00, v2
	v_add_u16_e32 v6, 0xe000, v6
	v_or_b32_sdwa v5, v5, v6 dst_sel:DWORD dst_unused:UNUSED_PAD src0_sel:DWORD src1_sel:BYTE_1
	v_and_b32_sdwa v6, v2, s26 dst_sel:DWORD dst_unused:UNUSED_PAD src0_sel:WORD_1 src1_sel:DWORD
	v_lshlrev_b16_sdwa v2, v145, v2 dst_sel:DWORD dst_unused:UNUSED_PAD src0_sel:DWORD src1_sel:WORD_1
	v_add_u16_e32 v2, 0xe000, v2
	v_and_b32_e32 v4, 0x30303030, v4
	v_or_b32_sdwa v2, v6, v2 dst_sel:DWORD dst_unused:UNUSED_PAD src0_sel:DWORD src1_sel:BYTE_1
	v_add_u16_e32 v5, 0xe000, v5
	v_add_u16_sdwa v2, v2, s27 dst_sel:WORD_1 dst_unused:UNUSED_PAD src0_sel:DWORD src1_sel:DWORD
	v_and_or_b32 v4, v3, s24, v4
	v_or_b32_e32 v5, v5, v2
	v_lshlrev_b16_e32 v2, 8, v4
	v_add_u16_e32 v7, 0xe000, v2
	v_lshl_add_u64 v[2:3], v[78:79], 0, s[16:17]
	global_load_dword v8, v[2:3], off offset:-2
	v_lshl_add_u64 v[2:3], v[74:75], 0, s[16:17]
	global_load_dword v9, v[2:3], off
	v_and_b32_e32 v6, 0x3f00, v4
	v_and_b32_sdwa v3, v4, s26 dst_sel:DWORD dst_unused:UNUSED_PAD src0_sel:WORD_1 src1_sel:DWORD
	v_lshlrev_b16_sdwa v4, v145, v4 dst_sel:DWORD dst_unused:UNUSED_PAD src0_sel:DWORD src1_sel:WORD_1
	v_add_u16_e32 v4, 0xe000, v4
	v_or_b32_sdwa v2, v6, v7 dst_sel:DWORD dst_unused:UNUSED_PAD src0_sel:DWORD src1_sel:BYTE_1
	v_or_b32_sdwa v3, v3, v4 dst_sel:DWORD dst_unused:UNUSED_PAD src0_sel:DWORD src1_sel:BYTE_1
	v_add_u16_e32 v2, 0xe000, v2
	v_add_u16_sdwa v3, v3, s27 dst_sel:WORD_1 dst_unused:UNUSED_PAD src0_sel:DWORD src1_sel:DWORD
	s_waitcnt vmcnt(4)
	v_ashrrev_i32_e32 v4, v68, v12
	v_or_b32_e32 v2, v2, v3
	ds_write2_b32 v114, v5, v2 offset1:16
	v_and_b32_e32 v2, 0xf0f0f0f, v11
	v_lshlrev_b32_e32 v5, 4, v4
	v_and_or_b32 v2, v5, s25, v2
	v_lshlrev_b16_e32 v6, 8, v2
	v_and_b32_e32 v5, 0x3f00, v2
	v_add_u16_e32 v6, 0xe000, v6
	v_or_b32_sdwa v5, v5, v6 dst_sel:DWORD dst_unused:UNUSED_PAD src0_sel:DWORD src1_sel:BYTE_1
	v_and_b32_sdwa v6, v2, s26 dst_sel:DWORD dst_unused:UNUSED_PAD src0_sel:WORD_1 src1_sel:DWORD
	v_lshlrev_b16_sdwa v2, v145, v2 dst_sel:DWORD dst_unused:UNUSED_PAD src0_sel:DWORD src1_sel:WORD_1
	v_add_u16_e32 v2, 0xe000, v2
	v_lshrrev_b32_e32 v3, 4, v11
	v_and_b32_e32 v4, 0x30303030, v4
	v_or_b32_sdwa v2, v6, v2 dst_sel:DWORD dst_unused:UNUSED_PAD src0_sel:DWORD src1_sel:BYTE_1
	v_add_u16_e32 v5, 0xe000, v5
	v_add_u16_sdwa v2, v2, s27 dst_sel:WORD_1 dst_unused:UNUSED_PAD src0_sel:DWORD src1_sel:DWORD
	v_and_or_b32 v4, v3, s24, v4
	v_or_b32_e32 v5, v5, v2
	v_lshlrev_b16_e32 v2, 8, v4
	v_add_u16_e32 v7, 0xe000, v2
	v_lshl_add_u64 v[2:3], v[84:85], 0, s[16:17]
	global_load_dword v11, v[2:3], off offset:-2
	v_lshl_add_u64 v[2:3], v[80:81], 0, s[16:17]
	global_load_dword v12, v[2:3], off
	v_and_b32_e32 v6, 0x3f00, v4
	v_and_b32_sdwa v3, v4, s26 dst_sel:DWORD dst_unused:UNUSED_PAD src0_sel:WORD_1 src1_sel:DWORD
	v_lshlrev_b16_sdwa v4, v145, v4 dst_sel:DWORD dst_unused:UNUSED_PAD src0_sel:DWORD src1_sel:WORD_1
	v_add_u16_e32 v4, 0xe000, v4
	v_or_b32_sdwa v2, v6, v7 dst_sel:DWORD dst_unused:UNUSED_PAD src0_sel:DWORD src1_sel:BYTE_1
	v_or_b32_sdwa v3, v3, v4 dst_sel:DWORD dst_unused:UNUSED_PAD src0_sel:DWORD src1_sel:BYTE_1
	v_add_u16_e32 v2, 0xe000, v2
	v_add_u16_sdwa v3, v3, s27 dst_sel:WORD_1 dst_unused:UNUSED_PAD src0_sel:DWORD src1_sel:DWORD
	s_waitcnt vmcnt(4)
	v_ashrrev_i32_e32 v4, v68, v13
	v_or_b32_e32 v2, v2, v3
	ds_write2_b32 v115, v5, v2 offset1:16
	v_and_b32_e32 v2, 0xf0f0f0f, v10
	v_lshlrev_b32_e32 v5, 4, v4
	v_and_or_b32 v2, v5, s25, v2
	v_lshlrev_b16_e32 v6, 8, v2
	v_and_b32_e32 v5, 0x3f00, v2
	v_add_u16_e32 v6, 0xe000, v6
	v_or_b32_sdwa v5, v5, v6 dst_sel:DWORD dst_unused:UNUSED_PAD src0_sel:DWORD src1_sel:BYTE_1
	v_and_b32_sdwa v6, v2, s26 dst_sel:DWORD dst_unused:UNUSED_PAD src0_sel:WORD_1 src1_sel:DWORD
	v_lshlrev_b16_sdwa v2, v145, v2 dst_sel:DWORD dst_unused:UNUSED_PAD src0_sel:DWORD src1_sel:WORD_1
	v_add_u16_e32 v2, 0xe000, v2
	v_lshrrev_b32_e32 v3, 4, v10
	v_and_b32_e32 v4, 0x30303030, v4
	v_or_b32_sdwa v2, v6, v2 dst_sel:DWORD dst_unused:UNUSED_PAD src0_sel:DWORD src1_sel:BYTE_1
	v_add_u16_e32 v5, 0xe000, v5
	v_add_u16_sdwa v2, v2, s27 dst_sel:WORD_1 dst_unused:UNUSED_PAD src0_sel:DWORD src1_sel:DWORD
	v_and_or_b32 v4, v3, s24, v4
	v_or_b32_e32 v5, v5, v2
	v_lshlrev_b16_e32 v2, 8, v4
	v_add_u16_e32 v7, 0xe000, v2
	v_lshl_add_u64 v[2:3], v[90:91], 0, s[16:17]
	global_load_dword v10, v[2:3], off offset:-2
	v_lshl_add_u64 v[2:3], v[86:87], 0, s[16:17]
	v_and_b32_e32 v6, 0x3f00, v4
	global_load_dword v13, v[2:3], off
	v_and_b32_sdwa v3, v4, s26 dst_sel:DWORD dst_unused:UNUSED_PAD src0_sel:WORD_1 src1_sel:DWORD
	v_lshlrev_b16_sdwa v4, v145, v4 dst_sel:DWORD dst_unused:UNUSED_PAD src0_sel:DWORD src1_sel:WORD_1
	v_add_u16_e32 v4, 0xe000, v4
	v_or_b32_sdwa v2, v6, v7 dst_sel:DWORD dst_unused:UNUSED_PAD src0_sel:DWORD src1_sel:BYTE_1
	v_or_b32_sdwa v3, v3, v4 dst_sel:DWORD dst_unused:UNUSED_PAD src0_sel:DWORD src1_sel:BYTE_1
	v_add_u16_e32 v2, 0xe000, v2
	v_add_u16_sdwa v3, v3, s27 dst_sel:WORD_1 dst_unused:UNUSED_PAD src0_sel:DWORD src1_sel:DWORD
	s_waitcnt vmcnt(4)
	v_ashrrev_i32_e32 v4, v68, v9
	v_or_b32_e32 v2, v2, v3
	ds_write2_b32 v116, v5, v2 offset1:16
	v_and_b32_e32 v2, 0xf0f0f0f, v8
	v_lshlrev_b32_e32 v5, 4, v4
	v_and_or_b32 v2, v5, s25, v2
	v_lshlrev_b16_e32 v6, 8, v2
	v_and_b32_e32 v5, 0x3f00, v2
	v_add_u16_e32 v6, 0xe000, v6
	v_or_b32_sdwa v5, v5, v6 dst_sel:DWORD dst_unused:UNUSED_PAD src0_sel:DWORD src1_sel:BYTE_1
	v_and_b32_sdwa v6, v2, s26 dst_sel:DWORD dst_unused:UNUSED_PAD src0_sel:WORD_1 src1_sel:DWORD
	v_lshlrev_b16_sdwa v2, v145, v2 dst_sel:DWORD dst_unused:UNUSED_PAD src0_sel:DWORD src1_sel:WORD_1
	v_add_u16_e32 v2, 0xe000, v2
	v_lshrrev_b32_e32 v3, 4, v8
	v_and_b32_e32 v4, 0x30303030, v4
	v_or_b32_sdwa v2, v6, v2 dst_sel:DWORD dst_unused:UNUSED_PAD src0_sel:DWORD src1_sel:BYTE_1
	v_add_u16_e32 v5, 0xe000, v5
	v_add_u16_sdwa v2, v2, s27 dst_sel:WORD_1 dst_unused:UNUSED_PAD src0_sel:DWORD src1_sel:DWORD
	v_and_or_b32 v4, v3, s24, v4
	v_or_b32_e32 v5, v5, v2
	v_lshlrev_b16_e32 v2, 8, v4
	v_add_u16_e32 v7, 0xe000, v2
	v_lshl_add_u64 v[2:3], v[96:97], 0, s[16:17]
	global_load_dword v8, v[2:3], off offset:-2
	v_lshl_add_u64 v[2:3], v[92:93], 0, s[16:17]
	global_load_dword v9, v[2:3], off
	v_and_b32_e32 v6, 0x3f00, v4
	v_and_b32_sdwa v3, v4, s26 dst_sel:DWORD dst_unused:UNUSED_PAD src0_sel:WORD_1 src1_sel:DWORD
	v_lshlrev_b16_sdwa v4, v145, v4 dst_sel:DWORD dst_unused:UNUSED_PAD src0_sel:DWORD src1_sel:WORD_1
	v_add_u16_e32 v4, 0xe000, v4
	v_or_b32_sdwa v2, v6, v7 dst_sel:DWORD dst_unused:UNUSED_PAD src0_sel:DWORD src1_sel:BYTE_1
	v_or_b32_sdwa v3, v3, v4 dst_sel:DWORD dst_unused:UNUSED_PAD src0_sel:DWORD src1_sel:BYTE_1
	v_add_u16_e32 v2, 0xe000, v2
	v_add_u16_sdwa v3, v3, s27 dst_sel:WORD_1 dst_unused:UNUSED_PAD src0_sel:DWORD src1_sel:DWORD
	s_waitcnt vmcnt(4)
	v_ashrrev_i32_e32 v4, v68, v12
	v_or_b32_e32 v2, v2, v3
	ds_write2_b32 v117, v5, v2 offset1:16
	v_and_b32_e32 v2, 0xf0f0f0f, v11
	v_lshlrev_b32_e32 v5, 4, v4
	v_and_or_b32 v2, v5, s25, v2
	v_lshlrev_b16_e32 v6, 8, v2
	v_and_b32_e32 v5, 0x3f00, v2
	v_add_u16_e32 v6, 0xe000, v6
	v_or_b32_sdwa v5, v5, v6 dst_sel:DWORD dst_unused:UNUSED_PAD src0_sel:DWORD src1_sel:BYTE_1
	v_and_b32_sdwa v6, v2, s26 dst_sel:DWORD dst_unused:UNUSED_PAD src0_sel:WORD_1 src1_sel:DWORD
	v_lshlrev_b16_sdwa v2, v145, v2 dst_sel:DWORD dst_unused:UNUSED_PAD src0_sel:DWORD src1_sel:WORD_1
	v_add_u16_e32 v2, 0xe000, v2
	v_lshrrev_b32_e32 v3, 4, v11
	v_and_b32_e32 v4, 0x30303030, v4
	v_or_b32_sdwa v2, v6, v2 dst_sel:DWORD dst_unused:UNUSED_PAD src0_sel:DWORD src1_sel:BYTE_1
	v_add_u16_e32 v5, 0xe000, v5
	v_add_u16_sdwa v2, v2, s27 dst_sel:WORD_1 dst_unused:UNUSED_PAD src0_sel:DWORD src1_sel:DWORD
	v_and_or_b32 v4, v3, s24, v4
	v_or_b32_e32 v5, v5, v2
	v_lshlrev_b16_e32 v2, 8, v4
	v_add_u16_e32 v7, 0xe000, v2
	v_lshl_add_u64 v[2:3], v[100:101], 0, s[16:17]
	global_load_dword v11, v[2:3], off offset:-2
	v_lshl_add_u64 v[2:3], v[98:99], 0, s[16:17]
	global_load_dword v12, v[2:3], off
	v_and_b32_e32 v6, 0x3f00, v4
	v_and_b32_sdwa v3, v4, s26 dst_sel:DWORD dst_unused:UNUSED_PAD src0_sel:WORD_1 src1_sel:DWORD
	v_lshlrev_b16_sdwa v4, v145, v4 dst_sel:DWORD dst_unused:UNUSED_PAD src0_sel:DWORD src1_sel:WORD_1
	v_add_u16_e32 v4, 0xe000, v4
	v_or_b32_sdwa v2, v6, v7 dst_sel:DWORD dst_unused:UNUSED_PAD src0_sel:DWORD src1_sel:BYTE_1
	v_or_b32_sdwa v3, v3, v4 dst_sel:DWORD dst_unused:UNUSED_PAD src0_sel:DWORD src1_sel:BYTE_1
	v_add_u16_e32 v2, 0xe000, v2
	v_add_u16_sdwa v3, v3, s27 dst_sel:WORD_1 dst_unused:UNUSED_PAD src0_sel:DWORD src1_sel:DWORD
	s_waitcnt vmcnt(4)
	v_ashrrev_i32_e32 v4, v68, v13
	v_or_b32_e32 v2, v2, v3
	ds_write2_b32 v118, v5, v2 offset1:16
	v_and_b32_e32 v2, 0xf0f0f0f, v10
	v_lshlrev_b32_e32 v5, 4, v4
	v_and_or_b32 v2, v5, s25, v2
	v_lshlrev_b16_e32 v6, 8, v2
	v_and_b32_e32 v5, 0x3f00, v2
	v_add_u16_e32 v6, 0xe000, v6
	v_or_b32_sdwa v5, v5, v6 dst_sel:DWORD dst_unused:UNUSED_PAD src0_sel:DWORD src1_sel:BYTE_1
	v_and_b32_sdwa v6, v2, s26 dst_sel:DWORD dst_unused:UNUSED_PAD src0_sel:WORD_1 src1_sel:DWORD
	v_lshlrev_b16_sdwa v2, v145, v2 dst_sel:DWORD dst_unused:UNUSED_PAD src0_sel:DWORD src1_sel:WORD_1
	v_add_u16_e32 v2, 0xe000, v2
	v_lshrrev_b32_e32 v3, 4, v10
	v_and_b32_e32 v4, 0x30303030, v4
	v_or_b32_sdwa v2, v6, v2 dst_sel:DWORD dst_unused:UNUSED_PAD src0_sel:DWORD src1_sel:BYTE_1
	v_add_u16_e32 v5, 0xe000, v5
	v_add_u16_sdwa v2, v2, s27 dst_sel:WORD_1 dst_unused:UNUSED_PAD src0_sel:DWORD src1_sel:DWORD
	v_and_or_b32 v4, v3, s24, v4
	v_or_b32_e32 v5, v5, v2
	v_lshlrev_b16_e32 v2, 8, v4
	v_add_u16_e32 v7, 0xe000, v2
	v_lshl_add_u64 v[2:3], v[88:89], 0, s[16:17]
	global_load_dword v10, v[2:3], off
	v_lshl_add_u64 v[2:3], v[94:95], 0, s[16:17]
	v_and_b32_e32 v6, 0x3f00, v4
	global_load_dword v13, v[2:3], off
	v_and_b32_sdwa v3, v4, s26 dst_sel:DWORD dst_unused:UNUSED_PAD src0_sel:WORD_1 src1_sel:DWORD
	v_lshlrev_b16_sdwa v4, v145, v4 dst_sel:DWORD dst_unused:UNUSED_PAD src0_sel:DWORD src1_sel:WORD_1
	v_add_u16_e32 v4, 0xe000, v4
	v_or_b32_sdwa v2, v6, v7 dst_sel:DWORD dst_unused:UNUSED_PAD src0_sel:DWORD src1_sel:BYTE_1
	v_or_b32_sdwa v3, v3, v4 dst_sel:DWORD dst_unused:UNUSED_PAD src0_sel:DWORD src1_sel:BYTE_1
	v_add_u16_e32 v2, 0xe000, v2
	v_add_u16_sdwa v3, v3, s27 dst_sel:WORD_1 dst_unused:UNUSED_PAD src0_sel:DWORD src1_sel:DWORD
	s_waitcnt vmcnt(4)
	v_ashrrev_i32_e32 v4, v68, v9
	v_or_b32_e32 v2, v2, v3
	ds_write2_b32 v119, v5, v2 offset1:16
	v_and_b32_e32 v2, 0xf0f0f0f, v8
	v_lshlrev_b32_e32 v5, 4, v4
	v_and_or_b32 v2, v5, s25, v2
	v_lshlrev_b16_e32 v6, 8, v2
	v_and_b32_e32 v5, 0x3f00, v2
	v_add_u16_e32 v6, 0xe000, v6
	v_or_b32_sdwa v5, v5, v6 dst_sel:DWORD dst_unused:UNUSED_PAD src0_sel:DWORD src1_sel:BYTE_1
	v_and_b32_sdwa v6, v2, s26 dst_sel:DWORD dst_unused:UNUSED_PAD src0_sel:WORD_1 src1_sel:DWORD
	v_lshlrev_b16_sdwa v2, v145, v2 dst_sel:DWORD dst_unused:UNUSED_PAD src0_sel:DWORD src1_sel:WORD_1
	v_add_u16_e32 v2, 0xe000, v2
	v_lshrrev_b32_e32 v3, 4, v8
	v_and_b32_e32 v4, 0x30303030, v4
	v_or_b32_sdwa v2, v6, v2 dst_sel:DWORD dst_unused:UNUSED_PAD src0_sel:DWORD src1_sel:BYTE_1
	v_add_u16_e32 v5, 0xe000, v5
	v_add_u16_sdwa v2, v2, s27 dst_sel:WORD_1 dst_unused:UNUSED_PAD src0_sel:DWORD src1_sel:DWORD
	v_and_or_b32 v4, v3, s24, v4
	v_or_b32_e32 v5, v5, v2
	v_lshlrev_b16_e32 v2, 8, v4
	v_add_u16_e32 v7, 0xe000, v2
	v_lshl_add_u64 v[2:3], v[76:77], 0, s[16:17]
	global_load_dword v8, v[2:3], off
	v_lshl_add_u64 v[2:3], v[82:83], 0, s[16:17]
	global_load_dword v9, v[2:3], off
	v_and_b32_e32 v6, 0x3f00, v4
	v_and_b32_sdwa v3, v4, s26 dst_sel:DWORD dst_unused:UNUSED_PAD src0_sel:WORD_1 src1_sel:DWORD
	v_lshlrev_b16_sdwa v4, v145, v4 dst_sel:DWORD dst_unused:UNUSED_PAD src0_sel:DWORD src1_sel:WORD_1
	v_add_u16_e32 v4, 0xe000, v4
	v_or_b32_sdwa v2, v6, v7 dst_sel:DWORD dst_unused:UNUSED_PAD src0_sel:DWORD src1_sel:BYTE_1
	v_or_b32_sdwa v3, v3, v4 dst_sel:DWORD dst_unused:UNUSED_PAD src0_sel:DWORD src1_sel:BYTE_1
	v_add_u16_e32 v2, 0xe000, v2
	v_add_u16_sdwa v3, v3, s27 dst_sel:WORD_1 dst_unused:UNUSED_PAD src0_sel:DWORD src1_sel:DWORD
	s_waitcnt vmcnt(4)
	v_ashrrev_i32_e32 v4, v68, v12
	v_or_b32_e32 v2, v2, v3
	ds_write2_b32 v120, v5, v2 offset1:16
	v_and_b32_e32 v2, 0xf0f0f0f, v11
	v_lshlrev_b32_e32 v5, 4, v4
	v_and_or_b32 v2, v5, s25, v2
	v_lshlrev_b16_e32 v6, 8, v2
	v_and_b32_e32 v5, 0x3f00, v2
	v_add_u16_e32 v6, 0xe000, v6
	v_or_b32_sdwa v5, v5, v6 dst_sel:DWORD dst_unused:UNUSED_PAD src0_sel:DWORD src1_sel:BYTE_1
	v_and_b32_sdwa v6, v2, s26 dst_sel:DWORD dst_unused:UNUSED_PAD src0_sel:WORD_1 src1_sel:DWORD
	v_lshlrev_b16_sdwa v2, v145, v2 dst_sel:DWORD dst_unused:UNUSED_PAD src0_sel:DWORD src1_sel:WORD_1
	v_lshrrev_b32_e32 v3, 4, v11
	v_and_b32_e32 v4, 0x30303030, v4
	v_add_u16_e32 v2, 0xe000, v2
	v_or_b32_sdwa v2, v6, v2 dst_sel:DWORD dst_unused:UNUSED_PAD src0_sel:DWORD src1_sel:BYTE_1
	v_and_or_b32 v4, v3, s24, v4
	v_add_u16_e32 v5, 0xe000, v5
	v_add_u16_sdwa v2, v2, s27 dst_sel:WORD_1 dst_unused:UNUSED_PAD src0_sel:DWORD src1_sel:DWORD
	v_lshlrev_b16_e32 v3, 8, v4
	v_or_b32_e32 v5, v5, v2
	v_and_b32_e32 v2, 0x3f00, v4
	v_add_u16_e32 v3, 0xe000, v3
	v_or_b32_sdwa v2, v2, v3 dst_sel:DWORD dst_unused:UNUSED_PAD src0_sel:DWORD src1_sel:BYTE_1
	v_add_u16_e32 v6, 0xe000, v2
	v_lshl_add_u64 v[2:3], v[62:63], 0, s[16:17]
	global_load_dword v7, v[2:3], off
	v_lshl_add_u64 v[2:3], v[70:71], 0, s[16:17]
	global_load_dword v11, v[2:3], off
	v_lshlrev_b16_sdwa v3, v145, v4 dst_sel:DWORD dst_unused:UNUSED_PAD src0_sel:DWORD src1_sel:WORD_1
	v_and_b32_sdwa v2, v4, s26 dst_sel:DWORD dst_unused:UNUSED_PAD src0_sel:WORD_1 src1_sel:DWORD
	v_add_u16_e32 v3, 0xe000, v3
	v_or_b32_sdwa v2, v2, v3 dst_sel:DWORD dst_unused:UNUSED_PAD src0_sel:DWORD src1_sel:BYTE_1
	v_add_u16_sdwa v2, v2, s27 dst_sel:WORD_1 dst_unused:UNUSED_PAD src0_sel:DWORD src1_sel:DWORD
	s_waitcnt vmcnt(5)
	v_lshrrev_b32_e32 v3, 4, v10
	v_or_b32_e32 v2, v6, v2
	ds_write2_b32 v121, v5, v2 offset1:16
	s_waitcnt vmcnt(4)
	v_ashrrev_i32_e32 v4, v68, v13
	v_and_b32_e32 v2, 0xf0f0f0f, v10
	v_lshlrev_b32_e32 v5, 4, v4
	v_and_or_b32 v2, v5, s25, v2
	v_lshlrev_b16_e32 v6, 8, v2
	v_and_b32_e32 v5, 0x3f00, v2
	v_add_u16_e32 v6, 0xe000, v6
	v_or_b32_sdwa v5, v5, v6 dst_sel:DWORD dst_unused:UNUSED_PAD src0_sel:DWORD src1_sel:BYTE_1
	v_and_b32_sdwa v6, v2, s26 dst_sel:DWORD dst_unused:UNUSED_PAD src0_sel:WORD_1 src1_sel:DWORD
	v_lshlrev_b16_sdwa v2, v145, v2 dst_sel:DWORD dst_unused:UNUSED_PAD src0_sel:DWORD src1_sel:WORD_1
	v_add_u16_e32 v2, 0xe000, v2
	v_or_b32_sdwa v2, v6, v2 dst_sel:DWORD dst_unused:UNUSED_PAD src0_sel:DWORD src1_sel:BYTE_1
	v_and_b32_e32 v4, 0x30303030, v4
	v_add_u16_e32 v5, 0xe000, v5
	v_add_u16_sdwa v2, v2, s27 dst_sel:WORD_1 dst_unused:UNUSED_PAD src0_sel:DWORD src1_sel:DWORD
	v_and_or_b32 v4, v3, s24, v4
	v_or_b32_e32 v5, v5, v2
	v_lshl_add_u64 v[2:3], v[50:51], 0, s[16:17]
	global_load_dword v10, v[2:3], off
	v_lshl_add_u64 v[2:3], v[56:57], 0, s[16:17]
	global_load_dword v12, v[2:3], off
	v_and_b32_e32 v6, 0x3f00, v4
	v_lshlrev_b16_e32 v2, 8, v4
	v_and_b32_sdwa v3, v4, s26 dst_sel:DWORD dst_unused:UNUSED_PAD src0_sel:WORD_1 src1_sel:DWORD
	v_lshlrev_b16_sdwa v4, v145, v4 dst_sel:DWORD dst_unused:UNUSED_PAD src0_sel:DWORD src1_sel:WORD_1
	v_add_u16_e32 v2, 0xe000, v2
	v_add_u16_e32 v4, 0xe000, v4
	v_or_b32_sdwa v2, v6, v2 dst_sel:DWORD dst_unused:UNUSED_PAD src0_sel:DWORD src1_sel:BYTE_1
	v_or_b32_sdwa v3, v3, v4 dst_sel:DWORD dst_unused:UNUSED_PAD src0_sel:DWORD src1_sel:BYTE_1
	v_add_u16_e32 v2, 0xe000, v2
	v_add_u16_sdwa v3, v3, s27 dst_sel:WORD_1 dst_unused:UNUSED_PAD src0_sel:DWORD src1_sel:DWORD
	s_waitcnt vmcnt(5)
	v_lshrrev_b32_e32 v4, 4, v8
	v_or_b32_e32 v2, v2, v3
	s_waitcnt vmcnt(4)
	v_ashrrev_i32_e32 v3, v68, v9
	ds_write2_b32 v122, v5, v2 offset1:16
	v_and_b32_e32 v2, 0xf0f0f0f, v8
	v_lshlrev_b32_e32 v5, 4, v3
	v_and_or_b32 v5, v5, s25, v2
	v_and_b32_e32 v6, 0x30303030, v3
	v_lshlrev_b16_e32 v3, 8, v5
	v_and_b32_e32 v2, 0x3f00, v5
	v_add_u16_e32 v3, 0xe000, v3
	v_or_b32_sdwa v2, v2, v3 dst_sel:DWORD dst_unused:UNUSED_PAD src0_sel:DWORD src1_sel:BYTE_1
	v_add_u16_e32 v8, 0xe000, v2
	v_lshl_add_u64 v[2:3], v[44:45], 0, s[16:17]
	global_load_ushort v13, v[2:3], off
	v_lshlrev_b16_sdwa v2, v145, v5 dst_sel:DWORD dst_unused:UNUSED_PAD src0_sel:DWORD src1_sel:WORD_1
	v_and_b32_sdwa v9, v5, s26 dst_sel:DWORD dst_unused:UNUSED_PAD src0_sel:WORD_1 src1_sel:DWORD
	v_add_u16_e32 v2, 0xe000, v2
	v_or_b32_sdwa v5, v9, v2 dst_sel:DWORD dst_unused:UNUSED_PAD src0_sel:DWORD src1_sel:BYTE_1
	v_lshl_add_u64 v[2:3], v[38:39], 0, s[16:17]
	global_load_dword v9, v[2:3], off
	v_lshl_add_u64 v[2:3], v[32:33], 0, s[16:17]
	global_load_dword v2, v[2:3], off
	v_and_or_b32 v4, v4, s24, v6
	v_add_u16_sdwa v5, v5, s27 dst_sel:WORD_1 dst_unused:UNUSED_PAD src0_sel:DWORD src1_sel:DWORD
	v_lshlrev_b16_e32 v6, 8, v4
	v_or_b32_e32 v3, v8, v5
	v_and_b32_e32 v5, 0x3f00, v4
	v_add_u16_e32 v6, 0xe000, v6
	v_or_b32_sdwa v5, v5, v6 dst_sel:DWORD dst_unused:UNUSED_PAD src0_sel:DWORD src1_sel:BYTE_1
	v_and_b32_sdwa v6, v4, s26 dst_sel:DWORD dst_unused:UNUSED_PAD src0_sel:WORD_1 src1_sel:DWORD
	v_lshlrev_b16_sdwa v4, v145, v4 dst_sel:DWORD dst_unused:UNUSED_PAD src0_sel:DWORD src1_sel:WORD_1
	v_add_u16_e32 v4, 0xe000, v4
	v_or_b32_sdwa v4, v6, v4 dst_sel:DWORD dst_unused:UNUSED_PAD src0_sel:DWORD src1_sel:BYTE_1
	v_add_u16_e32 v5, 0xe000, v5
	v_add_u16_sdwa v4, v4, s27 dst_sel:WORD_1 dst_unused:UNUSED_PAD src0_sel:DWORD src1_sel:DWORD
	s_nop 0
	v_or_b32_e32 v4, v5, v4
	ds_write2_b32 v123, v3, v4 offset1:16
	s_waitcnt vmcnt(6)
	v_and_b32_e32 v3, 0xf0f0f0f, v7
	s_waitcnt vmcnt(5)
	v_ashrrev_i32_e32 v5, v68, v11
	v_lshlrev_b32_e32 v6, 4, v5
	v_and_or_b32 v3, v6, s25, v3
	v_lshrrev_b32_e32 v4, 4, v7
	v_lshlrev_b16_e32 v7, 8, v3
	v_and_b32_e32 v6, 0x3f00, v3
	v_add_u16_e32 v7, 0xe000, v7
	v_or_b32_sdwa v6, v6, v7 dst_sel:DWORD dst_unused:UNUSED_PAD src0_sel:DWORD src1_sel:BYTE_1
	v_and_b32_sdwa v7, v3, s26 dst_sel:DWORD dst_unused:UNUSED_PAD src0_sel:WORD_1 src1_sel:DWORD
	v_lshlrev_b16_sdwa v3, v145, v3 dst_sel:DWORD dst_unused:UNUSED_PAD src0_sel:DWORD src1_sel:WORD_1
	v_add_u16_e32 v3, 0xe000, v3
	v_and_b32_e32 v5, 0x30303030, v5
	v_or_b32_sdwa v3, v7, v3 dst_sel:DWORD dst_unused:UNUSED_PAD src0_sel:DWORD src1_sel:BYTE_1
	v_add_u16_e32 v6, 0xe000, v6
	v_add_u16_sdwa v3, v3, s27 dst_sel:WORD_1 dst_unused:UNUSED_PAD src0_sel:DWORD src1_sel:DWORD
	v_and_or_b32 v4, v4, s24, v5
	v_or_b32_e32 v3, v6, v3
	v_lshlrev_b16_e32 v6, 8, v4
	v_and_b32_e32 v5, 0x3f00, v4
	v_add_u16_e32 v6, 0xe000, v6
	v_or_b32_sdwa v5, v5, v6 dst_sel:DWORD dst_unused:UNUSED_PAD src0_sel:DWORD src1_sel:BYTE_1
	v_and_b32_sdwa v6, v4, s26 dst_sel:DWORD dst_unused:UNUSED_PAD src0_sel:WORD_1 src1_sel:DWORD
	v_lshlrev_b16_sdwa v4, v145, v4 dst_sel:DWORD dst_unused:UNUSED_PAD src0_sel:DWORD src1_sel:WORD_1
	v_add_u16_e32 v4, 0xe000, v4
	v_or_b32_sdwa v4, v6, v4 dst_sel:DWORD dst_unused:UNUSED_PAD src0_sel:DWORD src1_sel:BYTE_1
	v_add_u16_e32 v5, 0xe000, v5
	v_add_u16_sdwa v4, v4, s27 dst_sel:WORD_1 dst_unused:UNUSED_PAD src0_sel:DWORD src1_sel:DWORD
	s_nop 0
	v_or_b32_e32 v4, v5, v4
	s_waitcnt vmcnt(3)
	v_ashrrev_i32_e32 v5, v68, v12
	ds_write2_b32 v124, v3, v4 offset1:16
	v_and_b32_e32 v3, 0xf0f0f0f, v10
	v_lshlrev_b32_e32 v6, 4, v5
	v_and_or_b32 v3, v6, s25, v3
	v_lshlrev_b16_e32 v7, 8, v3
	v_and_b32_e32 v6, 0x3f00, v3
	v_add_u16_e32 v7, 0xe000, v7
	v_or_b32_sdwa v6, v6, v7 dst_sel:DWORD dst_unused:UNUSED_PAD src0_sel:DWORD src1_sel:BYTE_1
	v_and_b32_sdwa v7, v3, s26 dst_sel:DWORD dst_unused:UNUSED_PAD src0_sel:WORD_1 src1_sel:DWORD
	v_lshlrev_b16_sdwa v3, v145, v3 dst_sel:DWORD dst_unused:UNUSED_PAD src0_sel:DWORD src1_sel:WORD_1
	v_add_u16_e32 v3, 0xe000, v3
	v_lshrrev_b32_e32 v4, 4, v10
	v_and_b32_e32 v5, 0x30303030, v5
	v_or_b32_sdwa v3, v7, v3 dst_sel:DWORD dst_unused:UNUSED_PAD src0_sel:DWORD src1_sel:BYTE_1
	v_add_u16_e32 v6, 0xe000, v6
	v_add_u16_sdwa v3, v3, s27 dst_sel:WORD_1 dst_unused:UNUSED_PAD src0_sel:DWORD src1_sel:DWORD
	v_and_or_b32 v4, v4, s24, v5
	v_or_b32_e32 v3, v6, v3
	v_lshlrev_b16_e32 v6, 8, v4
	v_and_b32_e32 v5, 0x3f00, v4
	v_add_u16_e32 v6, 0xe000, v6
	v_or_b32_sdwa v5, v5, v6 dst_sel:DWORD dst_unused:UNUSED_PAD src0_sel:DWORD src1_sel:BYTE_1
	v_and_b32_sdwa v6, v4, s26 dst_sel:DWORD dst_unused:UNUSED_PAD src0_sel:WORD_1 src1_sel:DWORD
	v_lshlrev_b16_sdwa v4, v145, v4 dst_sel:DWORD dst_unused:UNUSED_PAD src0_sel:DWORD src1_sel:WORD_1
	v_add_u16_e32 v4, 0xe000, v4
	v_or_b32_sdwa v4, v6, v4 dst_sel:DWORD dst_unused:UNUSED_PAD src0_sel:DWORD src1_sel:BYTE_1
	s_waitcnt vmcnt(2)
	v_cvt_f32_f16_e32 v6, v13
	v_add_u16_e32 v5, 0xe000, v5
	v_add_u16_sdwa v4, v4, s27 dst_sel:WORD_1 dst_unused:UNUSED_PAD src0_sel:DWORD src1_sel:DWORD
	s_nop 0
	v_or_b32_e32 v4, v5, v4
	ds_write2_b32 v125, v3, v4 offset1:16
	ds_write_b32 v126, v6
	s_waitcnt vmcnt(1)
	ds_write_b32 v127, v9
	s_waitcnt vmcnt(0)
	ds_write_b32 v128, v2
	s_cbranch_scc0 .LBB195_5
; %bb.7:                                ;   in Loop: Header=BB195_6 Depth=1
	v_cmp_gt_i32_e64 s[2:3], s5, v131
	s_and_b64 s[20:21], s[0:1], s[2:3]
	s_and_saveexec_b64 s[2:3], s[20:21]
	s_cbranch_execz .LBB195_9
; %bb.8:                                ;   in Loop: Header=BB195_6 Depth=1
	v_add_u32_e32 v2, v28, v131
	v_mad_i64_i32 v[2:3], s[20:21], v2, 36, v[26:27]
	global_load_dword v2, v[2:3], off offset:4
	s_waitcnt vmcnt(0)
	ds_write_b32 v129, v2
.LBB195_9:                              ;   in Loop: Header=BB195_6 Depth=1
	s_or_b64 exec, exec, s[2:3]
	s_and_saveexec_b64 s[20:21], vcc
	s_cbranch_execz .LBB195_12
; %bb.10:                               ;   in Loop: Header=BB195_6 Depth=1
	v_cmp_gt_i32_e64 s[2:3], s5, v24
	s_and_b64 s[2:3], s[0:1], s[2:3]
	s_and_b64 exec, exec, s[2:3]
	s_cbranch_execz .LBB195_12
; %bb.11:                               ;   in Loop: Header=BB195_6 Depth=1
	v_add_u32_e32 v2, v28, v24
	v_mad_i64_i32 v[2:3], s[2:3], v2, 36, s[10:11]
	global_load_dword v2, v[2:3], off
	s_waitcnt vmcnt(0)
	v_cvt_f32_f16_e32 v2, v2
	ds_write_b32 v130, v2
.LBB195_12:                             ;   in Loop: Header=BB195_6 Depth=1
	s_or_b64 exec, exec, s[20:21]
	s_waitcnt lgkmcnt(0)
	s_barrier
	ds_read_b128 v[6:9], v132
	ds_read_b128 v[10:13], v132 offset:16
	ds_read_b128 v[14:17], v132 offset:32
	ds_read_b128 v[18:21], v132 offset:48
	ds_read_b32 v25, v136
	ds_read2_b32 v[102:103], v135 offset0:6 offset1:7
	ds_read2_b32 v[106:107], v135 offset0:4 offset1:5
	;; [unrolled: 1-line block ×3, first 2 shown]
	ds_read2_b32 v[146:147], v135 offset1:1
	ds_read2_b32 v[148:149], v135 offset0:14 offset1:15
	ds_read2_b32 v[150:151], v135 offset0:12 offset1:13
	ds_read_b128 v[2:5], v133 offset:36944
	ds_read2_b32 v[104:105], v134 offset1:1
	v_mov_b32_e32 v156, 0
	ds_read2_b32 v[152:153], v135 offset0:10 offset1:11
	ds_read2_b32 v[154:155], v135 offset0:8 offset1:9
	s_waitcnt lgkmcnt(4)
	v_dot4c_i32_i8_e32 v156, v150, v18
	v_dot4c_i32_i8_e32 v156, v151, v19
	;; [unrolled: 1-line block ×4, first 2 shown]
	v_mov_b32_e32 v149, 0
	v_dot4c_i32_i8_e32 v149, v106, v10
	v_dot4c_i32_i8_e32 v149, v107, v11
	;; [unrolled: 1-line block ×4, first 2 shown]
	v_mov_b32_e32 v103, 0
	v_dot4c_i32_i8_e32 v103, v146, v6
	v_dot4c_i32_i8_e32 v103, v147, v7
	s_waitcnt lgkmcnt(2)
	v_bfe_i32 v102, v104, 8, 8
	v_dot4c_i32_i8_e32 v103, v108, v8
	v_mul_lo_u32 v102, v149, v102
	v_dot4c_i32_i8_e32 v103, v109, v9
	v_bfe_i32 v106, v104, 0, 8
	v_mov_b32_e32 v148, 0
	s_waitcnt lgkmcnt(0)
	v_dot4c_i32_i8_e32 v148, v154, v14
	v_mad_u64_u32 v[102:103], s[2:3], v103, v106, v[102:103]
	v_cvt_f32_i32_e32 v102, v102
	v_dot4c_i32_i8_e32 v148, v155, v15
	v_dot4c_i32_i8_e32 v148, v152, v16
	;; [unrolled: 1-line block ×3, first 2 shown]
	v_fma_f32 v160, v2, v102, 0
	v_ashrrev_i32_e32 v102, 24, v104
	v_bfe_i32 v103, v104, 16, 8
	v_mul_lo_u32 v102, v156, v102
	v_mad_u64_u32 v[102:103], s[2:3], v148, v103, v[102:103]
	v_add_u32_e32 v106, 0x2090, v135
	v_add_u32_e32 v146, 0x2088, v135
	;; [unrolled: 1-line block ×5, first 2 shown]
	v_cvt_f32_i32_e32 v161, v102
	ds_read2_b32 v[102:103], v140 offset1:1
	ds_read_b32 v164, v139 offset:128
	ds_read2_b32 v[108:109], v138 offset1:1
	ds_read2_b32 v[106:107], v106 offset1:1
	;; [unrolled: 1-line block ×6, first 2 shown]
	v_mov_b32_e32 v162, 0
	v_add_u32_e32 v104, 0x2098, v135
	v_add_u32_e32 v154, 0x20a8, v135
	;; [unrolled: 1-line block ×3, first 2 shown]
	s_waitcnt lgkmcnt(0)
	v_dot4c_i32_i8_e32 v162, v152, v18
	v_dot4c_i32_i8_e32 v162, v153, v19
	v_add_u32_e32 v158, 0x4118, v135
	v_dot4c_i32_i8_e32 v162, v150, v20
	ds_read2_b32 v[154:155], v154 offset1:1
	ds_read2_b32 v[156:157], v156 offset1:1
	;; [unrolled: 1-line block ×3, first 2 shown]
	v_dot4c_i32_i8_e32 v162, v151, v21
	ds_read2_b32 v[150:151], v104 offset1:1
	v_mov_b32_e32 v153, 0
	v_dot4c_i32_i8_e32 v153, v106, v10
	v_dot4c_i32_i8_e32 v153, v107, v11
	v_mov_b32_e32 v107, 0
	v_dot4c_i32_i8_e32 v107, v148, v6
	s_waitcnt lgkmcnt(0)
	v_dot4c_i32_i8_e32 v153, v150, v12
	v_dot4c_i32_i8_e32 v107, v149, v7
	v_mov_b32_e32 v152, 0
	v_dot4c_i32_i8_e32 v153, v151, v13
	v_bfe_i32 v106, v108, 8, 8
	v_dot4c_i32_i8_e32 v107, v146, v8
	v_dot4c_i32_i8_e32 v152, v156, v14
	v_mul_lo_u32 v106, v153, v106
	v_dot4c_i32_i8_e32 v107, v147, v9
	v_bfe_i32 v146, v108, 0, 8
	v_dot4c_i32_i8_e32 v152, v157, v15
	v_dot4c_i32_i8_e32 v152, v154, v16
	v_mad_u64_u32 v[106:107], s[2:3], v107, v146, v[106:107]
	v_cvt_f32_i32_e32 v146, v106
	v_ashrrev_i32_e32 v106, 24, v108
	v_dot4c_i32_i8_e32 v152, v155, v17
	v_bfe_i32 v107, v108, 16, 8
	v_mul_lo_u32 v106, v162, v106
	v_add_u32_e32 v148, 0x4100, v135
	v_mad_u64_u32 v[106:107], s[2:3], v152, v107, v[106:107]
	v_cvt_f32_i32_e32 v106, v106
	v_fma_f32 v107, v2, v146, 0
	v_add_u32_e32 v146, 0x4108, v135
	v_add_u32_e32 v150, 0x4138, v135
	v_fmac_f32_e32 v107, v3, v106
	v_add_u32_e32 v106, 0x4110, v135
	v_add_u32_e32 v152, 0x4130, v135
	ds_read_b32 v104, v143 offset:384
	ds_read_b32 v108, v141 offset:256
	v_fmac_f32_e32 v144, v164, v107
	ds_read2_b32 v[106:107], v106 offset1:1
	ds_read2_b32 v[146:147], v146 offset1:1
	;; [unrolled: 1-line block ×5, first 2 shown]
	v_mov_b32_e32 v162, 0
	v_fmac_f32_e32 v160, v3, v161
	v_fmac_f32_e32 v23, v25, v160
	v_add_u32_e32 v154, 0x4128, v135
	s_waitcnt lgkmcnt(0)
	v_dot4c_i32_i8_e32 v162, v152, v18
	v_dot4c_i32_i8_e32 v162, v153, v19
	;; [unrolled: 1-line block ×4, first 2 shown]
	v_mov_b32_e32 v151, 0
	v_dot4c_i32_i8_e32 v151, v106, v10
	v_dot4c_i32_i8_e32 v151, v107, v11
	v_mov_b32_e32 v107, 0
	v_dot4c_i32_i8_e32 v107, v148, v6
	v_dot4c_i32_i8_e32 v151, v158, v12
	v_dot4c_i32_i8_e32 v107, v149, v7
	v_add_u32_e32 v156, 0x4120, v135
	v_add_u32_e32 v160, 0x6198, v135
	v_dot4c_i32_i8_e32 v151, v159, v13
	v_bfe_i32 v106, v102, 8, 8
	v_dot4c_i32_i8_e32 v107, v146, v8
	ds_read2_b32 v[154:155], v154 offset1:1
	ds_read2_b32 v[156:157], v156 offset1:1
	;; [unrolled: 1-line block ×3, first 2 shown]
	v_mul_lo_u32 v106, v151, v106
	v_dot4c_i32_i8_e32 v107, v147, v9
	v_bfe_i32 v146, v102, 0, 8
	v_mov_b32_e32 v150, 0
	s_waitcnt lgkmcnt(1)
	v_dot4c_i32_i8_e32 v150, v156, v14
	v_mad_u64_u32 v[106:107], s[2:3], v107, v146, v[106:107]
	v_cvt_f32_i32_e32 v106, v106
	v_dot4c_i32_i8_e32 v150, v157, v15
	v_dot4c_i32_i8_e32 v150, v154, v16
	v_dot4c_i32_i8_e32 v150, v155, v17
	v_fma_f32 v165, v2, v106, 0
	v_bfe_i32 v106, v102, 16, 8
	v_ashrrev_i32_e32 v102, 24, v102
	v_mul_lo_u32 v102, v162, v102
	v_mad_u64_u32 v[106:107], s[2:3], v150, v106, v[102:103]
	v_add_u32_e32 v146, 0x6190, v135
	v_add_u32_e32 v148, 0x6188, v135
	;; [unrolled: 1-line block ×5, first 2 shown]
	v_cvt_f32_i32_e32 v102, v106
	ds_read2_b32 v[106:107], v142 offset1:1
	ds_read2_b32 v[146:147], v146 offset1:1
	;; [unrolled: 1-line block ×6, first 2 shown]
	v_add_u32_e32 v156, 0x61a8, v135
	v_add_u32_e32 v158, 0x61a0, v135
	;; [unrolled: 1-line block ×3, first 2 shown]
	ds_read2_b32 v[156:157], v156 offset1:1
	ds_read2_b32 v[158:159], v158 offset1:1
	;; [unrolled: 1-line block ×3, first 2 shown]
	v_mov_b32_e32 v166, 0
	s_waitcnt lgkmcnt(3)
	v_dot4c_i32_i8_e32 v166, v154, v18
	v_mov_b32_e32 v18, 0
	s_waitcnt lgkmcnt(1)
	v_dot4c_i32_i8_e32 v18, v158, v14
	v_mov_b32_e32 v14, 0
	v_dot4c_i32_i8_e32 v14, v146, v10
	v_dot4c_i32_i8_e32 v14, v147, v11
	v_mov_b32_e32 v11, 0
	v_dot4c_i32_i8_e32 v11, v150, v6
	v_dot4c_i32_i8_e32 v14, v160, v12
	;; [unrolled: 1-line block ×4, first 2 shown]
	v_bfe_i32 v10, v106, 8, 8
	v_dot4c_i32_i8_e32 v11, v148, v8
	v_dot4c_i32_i8_e32 v166, v155, v19
	v_mul_lo_u32 v10, v14, v10
	v_dot4c_i32_i8_e32 v11, v149, v9
	v_bfe_i32 v6, v106, 0, 8
	v_dot4c_i32_i8_e32 v166, v152, v20
	v_dot4c_i32_i8_e32 v18, v159, v15
	v_mad_u64_u32 v[6:7], s[2:3], v11, v6, v[10:11]
	v_dot4c_i32_i8_e32 v166, v153, v21
	v_dot4c_i32_i8_e32 v18, v156, v16
	v_cvt_f32_i32_e32 v8, v6
	v_ashrrev_i32_e32 v6, 24, v106
	v_dot4c_i32_i8_e32 v18, v157, v17
	v_bfe_i32 v7, v106, 16, 8
	v_mul_lo_u32 v6, v166, v6
	v_fma_f32 v2, v2, v8, 0
	v_mad_u64_u32 v[6:7], s[2:3], v18, v7, v[6:7]
	v_cvt_f32_i32_e32 v6, v6
	v_fmac_f32_e32 v165, v3, v102
	v_mov_b32_e32 v102, 0
	v_mov_b32_e32 v106, 0
	v_fmac_f32_e32 v2, v3, v6
	v_fmac_f32_e32 v69, v104, v2
	ds_read_b128 v[10:13], v132 offset:80
	ds_read_b128 v[6:9], v132 offset:64
	;; [unrolled: 1-line block ×4, first 2 shown]
	ds_read2_b32 v[2:3], v135 offset0:30 offset1:31
	ds_read2_b32 v[146:147], v135 offset0:28 offset1:29
	;; [unrolled: 1-line block ×6, first 2 shown]
	s_waitcnt lgkmcnt(4)
	v_dot4c_i32_i8_e32 v102, v146, v18
	v_dot4c_i32_i8_e32 v102, v147, v19
	;; [unrolled: 1-line block ×3, first 2 shown]
	v_mov_b32_e32 v2, 0
	s_waitcnt lgkmcnt(2)
	v_dot4c_i32_i8_e32 v2, v150, v10
	v_dot4c_i32_i8_e32 v2, v151, v11
	;; [unrolled: 1-line block ×5, first 2 shown]
	v_bfe_i32 v3, v105, 8, 8
	ds_read2_b32 v[156:157], v135 offset0:26 offset1:27
	ds_read2_b32 v[158:159], v135 offset0:24 offset1:25
	v_mul_lo_u32 v2, v2, v3
	v_mov_b32_e32 v3, 0
	s_waitcnt lgkmcnt(2)
	v_dot4c_i32_i8_e32 v3, v154, v6
	v_dot4c_i32_i8_e32 v3, v155, v7
	;; [unrolled: 1-line block ×4, first 2 shown]
	v_bfe_i32 v146, v105, 0, 8
	s_waitcnt lgkmcnt(0)
	v_dot4c_i32_i8_e32 v106, v158, v14
	v_dot4c_i32_i8_e32 v106, v159, v15
	v_mad_u64_u32 v[2:3], s[2:3], v3, v146, v[2:3]
	v_cvt_f32_i32_e32 v2, v2
	v_dot4c_i32_i8_e32 v106, v156, v16
	v_dot4c_i32_i8_e32 v106, v157, v17
	v_bfe_i32 v3, v105, 16, 8
	v_fma_f32 v160, v4, v2, 0
	v_ashrrev_i32_e32 v2, 24, v105
	v_mul_lo_u32 v2, v102, v2
	v_mad_u64_u32 v[2:3], s[2:3], v106, v3, v[2:3]
	v_cvt_f32_i32_e32 v102, v2
	v_add_u32_e32 v2, 0x20d0, v135
	v_add_u32_e32 v105, 0x20c8, v135
	;; [unrolled: 1-line block ×4, first 2 shown]
	ds_read2_b32 v[2:3], v2 offset1:1
	ds_read2_b32 v[146:147], v105 offset1:1
	;; [unrolled: 1-line block ×4, first 2 shown]
	v_add_u32_e32 v105, 0x20f0, v135
	ds_read2_b32 v[152:153], v105 offset1:1
	v_mov_b32_e32 v106, 0
	v_add_u32_e32 v154, 0x20e8, v135
	v_add_u32_e32 v156, 0x20e0, v135
	;; [unrolled: 1-line block ×3, first 2 shown]
	s_waitcnt lgkmcnt(0)
	v_dot4c_i32_i8_e32 v106, v152, v18
	v_dot4c_i32_i8_e32 v106, v153, v19
	;; [unrolled: 1-line block ×3, first 2 shown]
	v_mov_b32_e32 v150, 0
	v_dot4c_i32_i8_e32 v150, v2, v10
	ds_read2_b32 v[154:155], v154 offset1:1
	ds_read2_b32 v[156:157], v156 offset1:1
	;; [unrolled: 1-line block ×3, first 2 shown]
	v_dot4c_i32_i8_e32 v150, v3, v11
	v_mov_b32_e32 v3, 0
	v_dot4c_i32_i8_e32 v3, v148, v6
	v_dot4c_i32_i8_e32 v150, v162, v12
	v_dot4c_i32_i8_e32 v3, v149, v7
	v_mov_b32_e32 v105, 0
	v_dot4c_i32_i8_e32 v150, v163, v13
	v_bfe_i32 v2, v109, 8, 8
	v_dot4c_i32_i8_e32 v3, v146, v8
	s_waitcnt lgkmcnt(1)
	v_dot4c_i32_i8_e32 v105, v156, v14
	v_mul_lo_u32 v2, v150, v2
	v_dot4c_i32_i8_e32 v3, v147, v9
	v_bfe_i32 v146, v109, 0, 8
	v_dot4c_i32_i8_e32 v105, v157, v15
	v_dot4c_i32_i8_e32 v106, v151, v21
	v_mad_u64_u32 v[2:3], s[2:3], v3, v146, v[2:3]
	v_dot4c_i32_i8_e32 v105, v154, v16
	v_cvt_f32_i32_e32 v146, v2
	v_ashrrev_i32_e32 v2, 24, v109
	v_dot4c_i32_i8_e32 v105, v155, v17
	v_bfe_i32 v3, v109, 16, 8
	v_mul_lo_u32 v2, v106, v2
	v_fmac_f32_e32 v160, v5, v102
	v_mad_u64_u32 v[2:3], s[2:3], v105, v3, v[2:3]
	v_cvt_f32_i32_e32 v2, v2
	v_fma_f32 v3, v4, v146, 0
	v_fmac_f32_e32 v23, v25, v160
	v_add_u32_e32 v25, 0x4148, v135
	v_fmac_f32_e32 v3, v5, v2
	v_add_u32_e32 v2, 0x4150, v135
	v_add_u32_e32 v105, 0x4178, v135
	v_fmac_f32_e32 v144, v164, v3
	v_add_u32_e32 v102, 0x4140, v135
	ds_read2_b32 v[2:3], v2 offset1:1
	ds_read2_b32 v[146:147], v25 offset1:1
	;; [unrolled: 1-line block ×4, first 2 shown]
	v_add_u32_e32 v25, 0x4170, v135
	v_add_u32_e32 v105, 0x4168, v135
	;; [unrolled: 1-line block ×3, first 2 shown]
	ds_read2_b32 v[152:153], v25 offset1:1
	v_add_u32_e32 v25, 0x61d8, v135
	ds_read2_b32 v[154:155], v105 offset1:1
	ds_read2_b32 v[156:157], v106 offset1:1
	;; [unrolled: 1-line block ×3, first 2 shown]
	v_mov_b32_e32 v105, 0
	s_waitcnt lgkmcnt(7)
	v_dot4c_i32_i8_e32 v105, v2, v10
	v_dot4c_i32_i8_e32 v105, v3, v11
	v_mov_b32_e32 v3, 0
	s_waitcnt lgkmcnt(5)
	v_dot4c_i32_i8_e32 v3, v148, v6
	v_dot4c_i32_i8_e32 v105, v158, v12
	;; [unrolled: 1-line block ×4, first 2 shown]
	v_bfe_i32 v2, v103, 8, 8
	v_dot4c_i32_i8_e32 v3, v146, v8
	v_dot4c_i32_i8_e32 v3, v147, v9
	v_mul_lo_u32 v2, v105, v2
	v_bfe_i32 v105, v103, 0, 8
	v_mov_b32_e32 v102, 0
	v_mad_u64_u32 v[2:3], s[2:3], v3, v105, v[2:3]
	v_cvt_f32_i32_e32 v2, v2
	s_waitcnt lgkmcnt(3)
	v_dot4c_i32_i8_e32 v102, v152, v18
	v_mov_b32_e32 v25, 0
	v_dot4c_i32_i8_e32 v102, v153, v19
	s_waitcnt lgkmcnt(1)
	v_dot4c_i32_i8_e32 v25, v156, v14
	v_dot4c_i32_i8_e32 v102, v150, v20
	;; [unrolled: 1-line block ×5, first 2 shown]
	v_fma_f32 v105, v4, v2, 0
	v_ashrrev_i32_e32 v2, 24, v103
	v_dot4c_i32_i8_e32 v25, v155, v17
	v_bfe_i32 v3, v103, 16, 8
	v_mul_lo_u32 v2, v102, v2
	v_add_u32_e32 v102, 0x61c8, v135
	v_mad_u64_u32 v[2:3], s[2:3], v25, v3, v[2:3]
	v_cvt_f32_i32_e32 v25, v2
	v_add_u32_e32 v2, 0x61d0, v135
	v_add_u32_e32 v106, 0x61c0, v135
	;; [unrolled: 1-line block ×3, first 2 shown]
	ds_read2_b32 v[2:3], v2 offset1:1
	ds_read2_b32 v[102:103], v102 offset1:1
	;; [unrolled: 1-line block ×4, first 2 shown]
	v_add_u32_e32 v106, 0x61f0, v135
	ds_read2_b32 v[150:151], v106 offset1:1
	v_add_u32_e32 v106, 0x61e8, v135
	v_add_u32_e32 v154, 0x61e0, v135
	ds_read2_b32 v[152:153], v106 offset1:1
	ds_read2_b32 v[154:155], v154 offset1:1
	v_mov_b32_e32 v109, 0
	s_waitcnt lgkmcnt(2)
	v_dot4c_i32_i8_e32 v109, v150, v18
	v_mov_b32_e32 v18, 0
	v_dot4c_i32_i8_e32 v109, v151, v19
	s_waitcnt lgkmcnt(0)
	v_dot4c_i32_i8_e32 v18, v154, v14
	v_mov_b32_e32 v14, 0
	v_dot4c_i32_i8_e32 v14, v2, v10
	v_dot4c_i32_i8_e32 v14, v3, v11
	v_mov_b32_e32 v3, 0
	v_dot4c_i32_i8_e32 v3, v146, v6
	v_dot4c_i32_i8_e32 v14, v160, v12
	;; [unrolled: 1-line block ×4, first 2 shown]
	v_bfe_i32 v2, v107, 8, 8
	v_dot4c_i32_i8_e32 v3, v102, v8
	v_dot4c_i32_i8_e32 v3, v103, v9
	v_mul_lo_u32 v2, v14, v2
	v_bfe_i32 v6, v107, 0, 8
	v_dot4c_i32_i8_e32 v109, v148, v20
	v_dot4c_i32_i8_e32 v18, v155, v15
	v_mad_u64_u32 v[2:3], s[2:3], v3, v6, v[2:3]
	v_dot4c_i32_i8_e32 v109, v149, v21
	v_dot4c_i32_i8_e32 v18, v152, v16
	v_cvt_f32_i32_e32 v6, v2
	v_ashrrev_i32_e32 v2, 24, v107
	v_dot4c_i32_i8_e32 v18, v153, v17
	v_bfe_i32 v3, v107, 16, 8
	v_mul_lo_u32 v2, v109, v2
	v_fmac_f32_e32 v22, v108, v165
	v_mad_u64_u32 v[2:3], s[2:3], v18, v3, v[2:3]
	v_cvt_f32_i32_e32 v2, v2
	v_fma_f32 v3, v4, v6, 0
	v_fmac_f32_e32 v105, v5, v25
	v_fmac_f32_e32 v22, v108, v105
	;; [unrolled: 1-line block ×4, first 2 shown]
	s_cmp_ge_i32 s14, s15
	s_barrier
	s_cbranch_scc1 .LBB195_5
; %bb.13:                               ;   in Loop: Header=BB195_6 Depth=1
	v_cmp_gt_i32_e64 s[2:3], s5, v137
	s_and_b64 s[20:21], s[0:1], s[2:3]
	s_and_saveexec_b64 s[2:3], s[20:21]
	s_cbranch_execz .LBB195_15
; %bb.14:                               ;   in Loop: Header=BB195_6 Depth=1
	v_add_u32_e32 v2, v28, v137
	v_mad_i64_i32 v[2:3], s[20:21], v2, 36, v[26:27]
	global_load_dword v2, v[2:3], off offset:4
	s_waitcnt vmcnt(0)
	ds_write_b32 v129, v2
.LBB195_15:                             ;   in Loop: Header=BB195_6 Depth=1
	s_or_b64 exec, exec, s[2:3]
	s_and_saveexec_b64 s[20:21], vcc
	s_cbranch_execz .LBB195_4
; %bb.16:                               ;   in Loop: Header=BB195_6 Depth=1
	v_add_u32_e32 v2, 4, v24
	v_cmp_gt_i32_e64 s[2:3], s5, v2
	s_and_b64 s[2:3], s[0:1], s[2:3]
	s_and_b64 exec, exec, s[2:3]
	s_cbranch_execz .LBB195_4
; %bb.17:                               ;   in Loop: Header=BB195_6 Depth=1
	v_ashrrev_i32_e32 v25, 31, v24
	v_lshl_add_u64 v[2:3], v[28:29], 0, v[24:25]
	v_mad_u64_u32 v[4:5], s[2:3], v2, 36, s[18:19]
	v_mad_i32_i24 v5, v3, 36, v5
	global_load_dword v2, v[4:5], off
	s_waitcnt vmcnt(0)
	v_cvt_f32_f16_e32 v2, v2
	ds_write_b32 v130, v2
	s_branch .LBB195_4
.LBB195_18:
	v_mov_b32_e32 v22, 0
	v_mov_b32_e32 v144, 0
	;; [unrolled: 1-line block ×3, first 2 shown]
.LBB195_19:
	s_mul_i32 s0, s7, s4
	s_waitcnt vmcnt(0)
	v_cmp_gt_i32_e32 vcc, s0, v1
	s_and_saveexec_b64 s[0:1], vcc
	s_cbranch_execz .LBB195_28
; %bb.20:
	v_and_b32_e32 v0, 0x3ff, v0
	v_add_u32_e32 v2, s22, v0
	v_mul_lo_u32 v0, v1, s6
	v_cmp_gt_u32_e32 vcc, s6, v2
	s_and_saveexec_b64 s[0:1], vcc
	s_cbranch_execz .LBB195_22
; %bb.21:
	v_add_u32_e32 v4, v0, v2
	v_mov_b32_e32 v5, 0
	v_lshl_add_u64 v[4:5], v[4:5], 2, s[12:13]
	global_store_dword v[4:5], v23, off
.LBB195_22:
	s_or_b64 exec, exec, s[0:1]
	v_add_u32_e32 v1, 32, v2
	v_cmp_gt_u32_e32 vcc, s6, v1
	s_and_saveexec_b64 s[0:1], vcc
	s_cbranch_execz .LBB195_24
; %bb.23:
	v_add_u32_e32 v4, v0, v1
	v_mov_b32_e32 v5, 0
	v_lshl_add_u64 v[4:5], v[4:5], 2, s[12:13]
	global_store_dword v[4:5], v144, off
.LBB195_24:
	s_or_b64 exec, exec, s[0:1]
	v_add_u32_e32 v1, 64, v2
	;; [unrolled: 11-line block ×3, first 2 shown]
	v_cmp_gt_u32_e32 vcc, s6, v1
	s_and_b64 exec, exec, vcc
	s_cbranch_execz .LBB195_28
; %bb.27:
	v_add_u32_e32 v0, v0, v1
	v_mov_b32_e32 v1, 0
	v_lshl_add_u64 v[0:1], v[0:1], 2, s[12:13]
	global_store_dword v[0:1], v69, off
.LBB195_28:
	s_endpgm
	.section	.rodata,"a",@progbits
	.p2align	6, 0x0
	.amdhsa_kernel _ZL8moe_q6_KIfLb0EEvPKvS1_PT_PKiS5_S5_iiiiiii
		.amdhsa_group_segment_fixed_size 37072
		.amdhsa_private_segment_fixed_size 0
		.amdhsa_kernarg_size 76
		.amdhsa_user_sgpr_count 2
		.amdhsa_user_sgpr_dispatch_ptr 0
		.amdhsa_user_sgpr_queue_ptr 0
		.amdhsa_user_sgpr_kernarg_segment_ptr 1
		.amdhsa_user_sgpr_dispatch_id 0
		.amdhsa_user_sgpr_kernarg_preload_length 0
		.amdhsa_user_sgpr_kernarg_preload_offset 0
		.amdhsa_user_sgpr_private_segment_size 0
		.amdhsa_uses_dynamic_stack 0
		.amdhsa_enable_private_segment 0
		.amdhsa_system_sgpr_workgroup_id_x 1
		.amdhsa_system_sgpr_workgroup_id_y 1
		.amdhsa_system_sgpr_workgroup_id_z 0
		.amdhsa_system_sgpr_workgroup_info 0
		.amdhsa_system_vgpr_workitem_id 1
		.amdhsa_next_free_vgpr 167
		.amdhsa_next_free_sgpr 29
		.amdhsa_accum_offset 168
		.amdhsa_reserve_vcc 1
		.amdhsa_float_round_mode_32 0
		.amdhsa_float_round_mode_16_64 0
		.amdhsa_float_denorm_mode_32 3
		.amdhsa_float_denorm_mode_16_64 3
		.amdhsa_dx10_clamp 1
		.amdhsa_ieee_mode 1
		.amdhsa_fp16_overflow 0
		.amdhsa_tg_split 0
		.amdhsa_exception_fp_ieee_invalid_op 0
		.amdhsa_exception_fp_denorm_src 0
		.amdhsa_exception_fp_ieee_div_zero 0
		.amdhsa_exception_fp_ieee_overflow 0
		.amdhsa_exception_fp_ieee_underflow 0
		.amdhsa_exception_fp_ieee_inexact 0
		.amdhsa_exception_int_div_zero 0
	.end_amdhsa_kernel
	.section	.text._ZL8moe_q6_KIfLb0EEvPKvS1_PT_PKiS5_S5_iiiiiii,"axG",@progbits,_ZL8moe_q6_KIfLb0EEvPKvS1_PT_PKiS5_S5_iiiiiii,comdat
.Lfunc_end195:
	.size	_ZL8moe_q6_KIfLb0EEvPKvS1_PT_PKiS5_S5_iiiiiii, .Lfunc_end195-_ZL8moe_q6_KIfLb0EEvPKvS1_PT_PKiS5_S5_iiiiiii
                                        ; -- End function
	.section	.AMDGPU.csdata,"",@progbits
; Kernel info:
; codeLenInByte = 12020
; NumSgprs: 35
; NumVgprs: 167
; NumAgprs: 0
; TotalNumVgprs: 167
; ScratchSize: 0
; MemoryBound: 0
; FloatMode: 240
; IeeeMode: 1
; LDSByteSize: 37072 bytes/workgroup (compile time only)
; SGPRBlocks: 4
; VGPRBlocks: 20
; NumSGPRsForWavesPerEU: 35
; NumVGPRsForWavesPerEU: 167
; AccumOffset: 168
; Occupancy: 1
; WaveLimiterHint : 1
; COMPUTE_PGM_RSRC2:SCRATCH_EN: 0
; COMPUTE_PGM_RSRC2:USER_SGPR: 2
; COMPUTE_PGM_RSRC2:TRAP_HANDLER: 0
; COMPUTE_PGM_RSRC2:TGID_X_EN: 1
; COMPUTE_PGM_RSRC2:TGID_Y_EN: 1
; COMPUTE_PGM_RSRC2:TGID_Z_EN: 0
; COMPUTE_PGM_RSRC2:TIDIG_COMP_CNT: 1
; COMPUTE_PGM_RSRC3_GFX90A:ACCUM_OFFSET: 41
; COMPUTE_PGM_RSRC3_GFX90A:TG_SPLIT: 0
	.section	.text._ZL8moe_q6_KIfLb1EEvPKvS1_PT_PKiS5_S5_iiiiiii,"axG",@progbits,_ZL8moe_q6_KIfLb1EEvPKvS1_PT_PKiS5_S5_iiiiiii,comdat
	.globl	_ZL8moe_q6_KIfLb1EEvPKvS1_PT_PKiS5_S5_iiiiiii ; -- Begin function _ZL8moe_q6_KIfLb1EEvPKvS1_PT_PKiS5_S5_iiiiiii
	.p2align	8
	.type	_ZL8moe_q6_KIfLb1EEvPKvS1_PT_PKiS5_S5_iiiiiii,@function
_ZL8moe_q6_KIfLb1EEvPKvS1_PT_PKiS5_S5_iiiiiii: ; @_ZL8moe_q6_KIfLb1EEvPKvS1_PT_PKiS5_S5_iiiiiii
; %bb.0:
	s_load_dwordx4 s[4:7], s[0:1], 0x18
	s_mov_b32 s8, s3
	s_mov_b32 s9, 0
	s_lshl_b64 s[10:11], s[8:9], 2
	s_waitcnt lgkmcnt(0)
	s_add_u32 s6, s6, s10
	s_addc_u32 s7, s7, s11
	s_load_dword s3, s[6:7], 0x0
	s_waitcnt lgkmcnt(0)
	s_cmpk_gt_u32 s3, 0xff
	s_cbranch_scc1 .LBB196_28
; %bb.1:
	s_load_dwordx2 s[6:7], s[0:1], 0x28
	s_waitcnt lgkmcnt(0)
	s_load_dword s7, s[6:7], 0x0
	s_lshl_b32 s6, s8, 3
	s_waitcnt lgkmcnt(0)
	s_cmp_gt_u32 s6, s7
	s_cbranch_scc1 .LBB196_28
; %bb.2:
	v_bfe_u32 v2, v0, 10, 10
	v_mov_b32_e32 v4, s4
	v_mov_b32_e32 v5, s5
	v_add_u32_e32 v26, s6, v2
	v_mov_b32_e32 v27, 0
	v_lshl_add_u64 v[4:5], v[26:27], 2, v[4:5]
	global_load_dword v1, v[4:5], off
	s_load_dwordx8 s[4:11], s[0:1], 0x30
	s_load_dwordx2 s[16:17], s[0:1], 0x10
	s_waitcnt lgkmcnt(0)
	s_lshl_b32 s11, s2, 7
	s_cmpk_lt_i32 s5, 0x100
	s_cbranch_scc1 .LBB196_18
; %bb.3:
	v_and_b32_e32 v24, 0x3ff, v0
	s_load_dwordx4 s[12:15], s[0:1], 0x0
	s_ashr_i32 s0, s5, 31
	v_and_b32_e32 v3, 31, v24
	s_lshr_b32 s0, s0, 24
	v_add_u16_e32 v4, -16, v3
	v_cmp_gt_u32_e32 vcc, 16, v3
	s_add_i32 s0, s5, s0
	s_ashr_i32 s24, s0, 8
	v_cndmask_b32_e32 v4, v4, v3, vcc
	s_ashr_i32 s0, s8, 31
	v_cmp_lt_u16_e32 vcc, 7, v4
	s_lshr_b32 s0, s0, 27
	s_add_i32 s0, s8, s0
	v_cndmask_b32_e64 v4, 0, 1, vcc
	v_cmp_lt_u32_e32 vcc, 15, v3
	v_lshlrev_b32_e32 v140, 1, v4
	s_ashr_i32 s8, s0, 5
	v_cndmask_b32_e64 v4, 0, 1, vcc
	s_not_b32 s0, s11
	v_lshlrev_b32_e32 v10, 5, v4
	s_add_i32 s2, s0, s6
	v_and_or_b32 v4, v24, 15, v10
	s_mul_i32 s18, s3, s4
	v_min_i32_e32 v5, s2, v2
	v_lshlrev_b32_e32 v4, 2, v4
	s_movk_i32 s3, 0x104
	v_mul_lo_u32 v11, v5, s24
	v_mad_u64_u32 v[26:27], s[0:1], v5, s3, v[4:5]
	v_add_u32_e32 v5, 8, v2
	v_min_i32_e32 v5, s2, v5
	v_mul_lo_u32 v12, v5, s24
	v_mad_u64_u32 v[28:29], s[0:1], v5, s3, v[4:5]
	v_add_u32_e32 v5, 16, v2
	v_min_i32_e32 v5, s2, v5
	;; [unrolled: 4-line block ×14, first 2 shown]
	v_mul_lo_u32 v94, v5, s24
	v_mad_u64_u32 v[54:55], s[0:1], v5, s3, v[4:5]
	v_add_u32_e32 v5, 0x78, v2
	v_lshlrev_b32_e32 v6, 5, v2
	v_min_i32_e32 v5, s2, v5
	v_add_u32_e32 v33, v6, v24
	v_mad_u64_u32 v[56:57], s[0:1], v5, s3, v[4:5]
	v_and_b32_e32 v4, 0x7f, v33
	v_min_i32_e32 v4, s2, v4
	v_mul_lo_u32 v82, v5, s24
	v_ashrrev_i32_e32 v5, 31, v4
	v_lshrrev_b32_e32 v5, 27, v5
	v_add_u32_e32 v5, v4, v5
	v_ashrrev_i32_e32 v5, 5, v5
	v_mul_lo_u32 v76, v4, s24
	v_lshlrev_b32_e32 v5, 2, v5
	v_lshlrev_b32_e32 v4, 2, v4
	s_mov_b32 s0, 0x8e40
	v_add3_u32 v29, v5, v4, s0
	v_lshrrev_b32_e32 v4, 2, v24
	v_lshl_add_u32 v7, v2, 3, v4
	v_and_b32_e32 v7, 0x7f, v7
	v_min_i32_e32 v31, s2, v7
	v_ashrrev_i32_e32 v35, 31, v31
	v_xor_b32_e32 v7, 64, v7
	v_lshrrev_b32_e32 v35, 29, v35
	v_min_i32_e32 v7, s2, v7
	v_mul_lo_u32 v70, v31, s24
	v_add_u32_e32 v35, v31, v35
	v_lshlrev_b32_e32 v133, 4, v31
	v_ashrrev_i32_e32 v31, 31, v7
	v_lshrrev_b32_e32 v31, 29, v31
	v_mov_b32_e32 v23, 0
	v_add_u32_e32 v31, v7, v31
	v_lshlrev_b32_e32 v60, 2, v24
	v_lshlrev_b32_e32 v22, 2, v3
	v_and_b32_e32 v4, 3, v24
	v_ashrrev_i32_e32 v35, 3, v35
	v_mul_lo_u32 v64, v7, s24
	v_ashrrev_i32_e32 v31, 3, v31
	v_lshlrev_b32_e32 v135, 4, v7
	v_or_b32_e32 v3, v6, v3
	v_and_b32_e32 v6, 28, v60
	v_mov_b32_e32 v7, v23
	v_lshlrev_b32_e32 v4, 2, v4
	v_lshlrev_b32_e32 v35, 2, v35
	s_mov_b32 s1, 0x8200
	v_lshlrev_b32_e32 v31, 2, v31
	s_waitcnt lgkmcnt(0)
	v_lshl_add_u64 v[58:59], s[14:15], 0, v[6:7]
	v_mov_b32_e32 v6, 0x8a40
	s_movk_i32 s2, 0xffe4
	v_add3_u32 v132, v35, v4, s1
	v_add3_u32 v134, v31, v4, s1
	v_lshl_add_u32 v31, v3, 2, v6
	v_mad_i32_i24 v3, v2, s2, v33
	v_mov_b32_e32 v7, 0x9050
	v_lshrrev_b32_e32 v35, 3, v24
	v_lshrrev_b32_e32 v8, 5, v24
	v_lshl_add_u32 v33, v3, 2, v7
	v_lshl_add_u32 v37, v2, 7, v6
	v_lshlrev_b32_e32 v39, 4, v2
	v_lshlrev_b32_e32 v2, 2, v35
	;; [unrolled: 1-line block ×3, first 2 shown]
	v_add3_u32 v41, v3, v2, s1
	v_lshlrev_b32_e32 v2, 2, v8
	v_add3_u32 v45, v2, v60, s0
	v_add_u32_e32 v2, 32, v24
	v_lshrrev_b32_e32 v47, 3, v2
	v_lshlrev_b32_e32 v3, 2, v47
	v_lshlrev_b32_e32 v2, 4, v2
	v_add3_u32 v49, v3, v2, s1
	v_and_b32_e32 v2, 60, v47
	v_add3_u32 v51, v60, v2, s0
	v_add_u32_e32 v2, 64, v24
	v_lshrrev_b32_e32 v3, 3, v2
	v_lshlrev_b32_e32 v6, 2, v3
	v_lshlrev_b32_e32 v2, 4, v2
	s_abs_i32 s2, s10
	v_add3_u32 v53, v6, v2, s1
	v_and_b32_e32 v2, 60, v3
	v_cvt_f32_u32_e32 v7, s2
	v_add3_u32 v55, v60, v2, s0
	v_add_u32_e32 v2, 0x60, v24
	v_lshrrev_b32_e32 v3, 3, v2
	v_lshlrev_b32_e32 v6, 2, v3
	v_lshlrev_b32_e32 v2, 4, v2
	v_add3_u32 v57, v6, v2, s1
	v_and_b32_e32 v2, 60, v3
	v_rcp_iflag_f32_e32 v3, v7
	v_add3_u32 v141, v60, v2, s0
	s_sub_i32 s0, 0, s2
	s_waitcnt vmcnt(0)
	v_sub_u32_e32 v6, 0, v1
	v_mul_f32_e32 v3, 0x4f7ffffe, v3
	v_cvt_u32_f32_e32 v3, v3
	v_max_i32_e32 v6, v1, v6
	v_xor_b32_e32 v2, s10, v1
	v_ashrrev_i32_e32 v2, 31, v2
	v_mul_lo_u32 v7, s0, v3
	v_mul_hi_u32 v7, v3, v7
	v_add_u32_e32 v3, v3, v7
	v_mul_hi_u32 v3, v6, v3
	v_mul_lo_u32 v7, v3, s2
	v_sub_u32_e32 v6, v6, v7
	v_add_u32_e32 v7, 1, v3
	v_cmp_le_u32_e64 s[0:1], s2, v6
	s_mul_i32 s4, s24, s11
	s_mul_hi_i32 s23, s4, 0xd2
	v_cndmask_b32_e64 v3, v3, v7, s[0:1]
	v_subrev_u32_e32 v7, s2, v6
	v_cndmask_b32_e64 v6, v6, v7, s[0:1]
	v_add_u32_e32 v7, 1, v3
	v_cmp_le_u32_e64 s[0:1], s2, v6
	s_mul_i32 s22, s4, 0xd2
	s_movk_i32 s6, 0xd2
	v_cndmask_b32_e64 v3, v3, v7, s[0:1]
	v_xor_b32_e32 v3, v3, v2
	v_sub_u32_e32 v2, v3, v2
	v_cmp_gt_i32_e64 s[0:1], s7, v2
	v_mul_lo_u32 v60, v2, s8
	v_mov_b64_e32 v[2:3], s[22:23]
	v_and_b32_e32 v9, 7, v24
	v_mad_u64_u32 v[2:3], s[2:3], v8, s6, v[2:3]
	v_mad_i64_i32 v[6:7], s[2:3], v11, s6, v[2:3]
	v_lshl_or_b32 v8, v9, 2, v10
	v_mov_b32_e32 v9, v23
	v_lshl_add_u64 v[10:11], v[6:7], 0, v[8:9]
	v_lshl_add_u64 v[10:11], v[10:11], 0, s[12:13]
	s_mov_b64 s[2:3], 0x80
	v_lshl_add_u64 v[62:63], v[10:11], 0, s[2:3]
	v_mad_i64_i32 v[10:11], s[26:27], v64, s6, 0
	v_mov_b32_e32 v71, 0xd2
	v_mov_b32_e32 v5, v23
	v_mad_i64_i32 v[10:11], s[26:27], s4, v71, v[10:11]
	v_lshl_add_u64 v[6:7], v[6:7], 0, v[22:23]
	v_lshl_add_u64 v[10:11], v[10:11], 0, v[4:5]
	;; [unrolled: 1-line block ×4, first 2 shown]
	s_mov_b64 s[26:27], 0xc0
	v_lshl_add_u64 v[66:67], v[6:7], 0, 2
	v_mad_i64_i32 v[6:7], s[28:29], v12, s6, v[2:3]
	v_lshl_add_u64 v[64:65], v[10:11], 0, s[26:27]
	v_lshl_add_u64 v[10:11], v[6:7], 0, v[8:9]
	;; [unrolled: 1-line block ×4, first 2 shown]
	v_mad_i64_i32 v[10:11], s[28:29], v70, s6, 0
	v_mad_i64_i32 v[10:11], s[28:29], s4, v71, v[10:11]
	v_lshl_add_u64 v[4:5], v[10:11], 0, v[4:5]
	v_lshl_add_u64 v[4:5], v[4:5], 0, s[12:13]
	s_ashr_i32 s19, s18, 31
	v_lshl_add_u64 v[70:71], v[4:5], 0, s[26:27]
	v_lshl_add_u64 v[4:5], v[6:7], 0, v[22:23]
	s_add_u32 s20, s14, 0x90
	v_lshl_add_u64 v[4:5], v[4:5], 0, s[12:13]
	s_addc_u32 s21, s15, 0
	v_lshl_add_u64 v[72:73], v[4:5], 0, 2
	v_mad_i64_i32 v[4:5], s[26:27], v13, s6, v[2:3]
	v_lshl_add_u64 v[6:7], v[4:5], 0, v[8:9]
	s_add_u32 s22, s12, s22
	v_lshl_add_u64 v[6:7], v[6:7], 0, s[12:13]
	s_addc_u32 s23, s13, s23
	v_lshl_add_u64 v[74:75], v[6:7], 0, s[2:3]
	v_mov_b64_e32 v[6:7], s[22:23]
	v_mad_i64_i32 v[6:7], s[22:23], v76, s6, v[6:7]
	v_lshl_add_u64 v[4:5], v[4:5], 0, v[22:23]
	s_mov_b64 s[22:23], 0xd0
	v_lshl_add_u64 v[4:5], v[4:5], 0, s[12:13]
	v_lshl_add_u64 v[76:77], v[6:7], 0, s[22:23]
	;; [unrolled: 1-line block ×3, first 2 shown]
	v_mad_i64_i32 v[4:5], s[22:23], v14, s6, v[2:3]
	v_lshl_add_u64 v[6:7], v[4:5], 0, v[8:9]
	v_lshl_add_u64 v[6:7], v[6:7], 0, s[12:13]
	v_lshl_add_u64 v[4:5], v[4:5], 0, v[22:23]
	v_lshl_add_u64 v[80:81], v[6:7], 0, s[2:3]
	v_mad_i64_i32 v[6:7], s[22:23], v82, s6, v[2:3]
	v_lshl_add_u64 v[4:5], v[4:5], 0, s[12:13]
	v_lshl_add_u64 v[10:11], v[6:7], 0, v[22:23]
	v_lshl_add_u64 v[84:85], v[4:5], 0, 2
	v_mad_i64_i32 v[4:5], s[22:23], v15, s6, v[2:3]
	v_lshl_add_u64 v[82:83], s[12:13], 0, v[10:11]
	v_lshl_add_u64 v[10:11], v[4:5], 0, v[8:9]
	v_lshl_add_u64 v[4:5], v[4:5], 0, v[22:23]
	v_lshl_add_u64 v[6:7], v[6:7], 0, v[8:9]
	v_lshl_add_u64 v[4:5], v[4:5], 0, s[12:13]
	v_lshl_add_u64 v[6:7], v[6:7], 0, s[12:13]
	v_lshl_add_u64 v[90:91], v[4:5], 0, 2
	v_mad_i64_i32 v[4:5], s[22:23], v16, s6, v[2:3]
	v_lshl_add_u64 v[88:89], v[6:7], 0, s[2:3]
	v_lshl_add_u64 v[6:7], v[4:5], 0, v[8:9]
	v_lshl_add_u64 v[6:7], v[6:7], 0, s[12:13]
	v_lshl_add_u64 v[4:5], v[4:5], 0, v[22:23]
	v_lshl_add_u64 v[10:11], v[10:11], 0, s[12:13]
	v_lshl_add_u64 v[92:93], v[6:7], 0, s[2:3]
	v_mad_i64_i32 v[6:7], s[22:23], v94, s6, v[2:3]
	v_lshl_add_u64 v[4:5], v[4:5], 0, s[12:13]
	v_lshl_add_u64 v[86:87], v[10:11], 0, s[2:3]
	v_lshl_add_u64 v[10:11], v[6:7], 0, v[22:23]
	v_lshl_add_u64 v[96:97], v[4:5], 0, 2
	v_mad_i64_i32 v[4:5], s[22:23], v17, s6, v[2:3]
	v_lshl_add_u64 v[94:95], s[12:13], 0, v[10:11]
	v_lshl_add_u64 v[10:11], v[4:5], 0, v[8:9]
	v_lshl_add_u64 v[4:5], v[4:5], 0, v[22:23]
	v_lshl_add_u64 v[6:7], v[6:7], 0, v[8:9]
	v_lshl_add_u64 v[4:5], v[4:5], 0, s[12:13]
	v_lshl_add_u64 v[6:7], v[6:7], 0, s[12:13]
	v_lshl_add_u64 v[102:103], v[4:5], 0, 2
	v_mad_i64_i32 v[4:5], s[22:23], v18, s6, v[2:3]
	v_lshl_add_u64 v[100:101], v[6:7], 0, s[2:3]
	v_lshl_add_u64 v[6:7], v[4:5], 0, v[8:9]
	v_lshl_add_u64 v[6:7], v[6:7], 0, s[12:13]
	v_lshl_add_u64 v[4:5], v[4:5], 0, v[22:23]
	v_lshl_add_u64 v[10:11], v[10:11], 0, s[12:13]
	v_lshl_add_u64 v[104:105], v[6:7], 0, s[2:3]
	v_mad_i64_i32 v[6:7], s[22:23], v106, s6, v[2:3]
	v_lshl_add_u64 v[4:5], v[4:5], 0, s[12:13]
	;; [unrolled: 20-line block ×3, first 2 shown]
	v_lshl_add_u64 v[110:111], v[10:11], 0, s[2:3]
	v_lshl_add_u64 v[10:11], v[6:7], 0, v[22:23]
	;; [unrolled: 1-line block ×3, first 2 shown]
	v_mad_i64_i32 v[4:5], s[22:23], v21, s6, v[2:3]
	v_lshl_add_u64 v[118:119], s[12:13], 0, v[10:11]
	v_lshl_add_u64 v[10:11], v[4:5], 0, v[8:9]
	;; [unrolled: 1-line block ×4, first 2 shown]
	v_mad_i64_i32 v[2:3], s[22:23], v25, s6, v[2:3]
	v_lshl_add_u64 v[6:7], v[6:7], 0, v[8:9]
	v_lshl_add_u64 v[126:127], v[4:5], 0, 2
	;; [unrolled: 1-line block ×8, first 2 shown]
	v_cmp_gt_u32_e32 vcc, 4, v24
	v_mul_u32_u24_e32 v43, 0x104, v24
	v_ashrrev_i32_e32 v61, 31, v60
	v_lshl_add_u64 v[122:123], v[10:11], 0, s[2:3]
	v_lshl_add_u64 v[124:125], v[6:7], 0, s[2:3]
	;; [unrolled: 1-line block ×4, first 2 shown]
	s_movk_i32 s4, 0x80
	s_mov_b32 s6, 0xf0f0f0f
	s_mov_b32 s25, 0x30303030
	s_movk_i32 s26, 0x3f00
	s_movk_i32 s27, 0xe000
	v_add_u32_e32 v143, v132, v133
	v_add_u32_e32 v144, v134, v135
	s_mov_b64 s[12:13], 0xd2
	v_mov_b32_e32 v145, 8
	v_mov_b32_e32 v142, v23
	;; [unrolled: 1-line block ×4, first 2 shown]
	s_branch .LBB196_6
.LBB196_4:                              ;   in Loop: Header=BB196_6 Depth=1
	s_or_b64 exec, exec, s[22:23]
	s_waitcnt lgkmcnt(0)
	s_barrier
	ds_read_b128 v[6:9], v37
	ds_read_b128 v[10:13], v37 offset:16
	ds_read_b128 v[14:17], v37 offset:32
	;; [unrolled: 1-line block ×3, first 2 shown]
	ds_read_b32 v25, v45
	ds_read2_b32 v[132:133], v43 offset0:38 offset1:39
	ds_read2_b32 v[136:137], v43 offset0:36 offset1:37
	;; [unrolled: 1-line block ×6, first 2 shown]
	ds_read_b128 v[2:5], v39 offset:36944
	ds_read2_b32 v[134:135], v41 offset0:2 offset1:3
	v_mov_b32_e32 v156, 0
	ds_read2_b32 v[152:153], v43 offset0:42 offset1:43
	ds_read2_b32 v[154:155], v43 offset0:40 offset1:41
	s_waitcnt lgkmcnt(4)
	v_dot4c_i32_i8_e32 v156, v150, v18
	v_dot4c_i32_i8_e32 v156, v151, v19
	;; [unrolled: 1-line block ×4, first 2 shown]
	v_mov_b32_e32 v149, 0
	v_dot4c_i32_i8_e32 v149, v136, v10
	v_dot4c_i32_i8_e32 v149, v137, v11
	;; [unrolled: 1-line block ×4, first 2 shown]
	v_mov_b32_e32 v133, 0
	v_dot4c_i32_i8_e32 v133, v146, v6
	v_dot4c_i32_i8_e32 v133, v147, v7
	s_waitcnt lgkmcnt(2)
	v_bfe_i32 v132, v134, 8, 8
	v_dot4c_i32_i8_e32 v133, v138, v8
	v_mul_lo_u32 v132, v149, v132
	v_dot4c_i32_i8_e32 v133, v139, v9
	v_bfe_i32 v136, v134, 0, 8
	v_mov_b32_e32 v148, 0
	s_waitcnt lgkmcnt(0)
	v_dot4c_i32_i8_e32 v148, v154, v14
	v_mad_u64_u32 v[132:133], s[2:3], v133, v136, v[132:133]
	v_cvt_f32_i32_e32 v132, v132
	v_dot4c_i32_i8_e32 v148, v155, v15
	v_dot4c_i32_i8_e32 v148, v152, v16
	;; [unrolled: 1-line block ×3, first 2 shown]
	v_fma_f32 v160, v2, v132, 0
	v_ashrrev_i32_e32 v132, 24, v134
	v_bfe_i32 v133, v134, 16, 8
	v_mul_lo_u32 v132, v156, v132
	v_mad_u64_u32 v[132:133], s[2:3], v148, v133, v[132:133]
	v_add_u32_e32 v136, 0x2110, v43
	v_add_u32_e32 v146, 0x2108, v43
	;; [unrolled: 1-line block ×5, first 2 shown]
	v_cvt_f32_i32_e32 v161, v132
	ds_read2_b32 v[132:133], v53 offset0:2 offset1:3
	ds_read_b32 v164, v51 offset:128
	ds_read2_b32 v[138:139], v49 offset0:2 offset1:3
	ds_read2_b32 v[136:137], v136 offset1:1
	ds_read2_b32 v[146:147], v146 offset1:1
	;; [unrolled: 1-line block ×5, first 2 shown]
	v_mov_b32_e32 v162, 0
	v_add_u32_e32 v134, 0x2118, v43
	v_add_u32_e32 v154, 0x2128, v43
	;; [unrolled: 1-line block ×3, first 2 shown]
	s_waitcnt lgkmcnt(0)
	v_dot4c_i32_i8_e32 v162, v152, v18
	v_dot4c_i32_i8_e32 v162, v153, v19
	v_add_u32_e32 v158, 0x4198, v43
	v_dot4c_i32_i8_e32 v162, v150, v20
	ds_read2_b32 v[154:155], v154 offset1:1
	ds_read2_b32 v[156:157], v156 offset1:1
	;; [unrolled: 1-line block ×3, first 2 shown]
	v_dot4c_i32_i8_e32 v162, v151, v21
	ds_read2_b32 v[150:151], v134 offset1:1
	v_mov_b32_e32 v153, 0
	v_dot4c_i32_i8_e32 v153, v136, v10
	v_dot4c_i32_i8_e32 v153, v137, v11
	v_mov_b32_e32 v137, 0
	v_dot4c_i32_i8_e32 v137, v148, v6
	s_waitcnt lgkmcnt(0)
	v_dot4c_i32_i8_e32 v153, v150, v12
	v_dot4c_i32_i8_e32 v137, v149, v7
	v_mov_b32_e32 v152, 0
	v_dot4c_i32_i8_e32 v153, v151, v13
	v_bfe_i32 v136, v138, 8, 8
	v_dot4c_i32_i8_e32 v137, v146, v8
	v_dot4c_i32_i8_e32 v152, v156, v14
	v_mul_lo_u32 v136, v153, v136
	v_dot4c_i32_i8_e32 v137, v147, v9
	v_bfe_i32 v146, v138, 0, 8
	v_dot4c_i32_i8_e32 v152, v157, v15
	v_dot4c_i32_i8_e32 v152, v154, v16
	v_mad_u64_u32 v[136:137], s[2:3], v137, v146, v[136:137]
	v_cvt_f32_i32_e32 v146, v136
	v_ashrrev_i32_e32 v136, 24, v138
	v_dot4c_i32_i8_e32 v152, v155, v17
	v_bfe_i32 v137, v138, 16, 8
	v_mul_lo_u32 v136, v162, v136
	v_add_u32_e32 v148, 0x4180, v43
	v_mad_u64_u32 v[136:137], s[2:3], v152, v137, v[136:137]
	v_cvt_f32_i32_e32 v136, v136
	v_fma_f32 v137, v2, v146, 0
	v_add_u32_e32 v146, 0x4188, v43
	v_add_u32_e32 v150, 0x41b8, v43
	v_fmac_f32_e32 v137, v3, v136
	v_add_u32_e32 v136, 0x4190, v43
	v_add_u32_e32 v152, 0x41b0, v43
	ds_read_b32 v134, v141 offset:384
	ds_read_b32 v138, v55 offset:256
	v_fmac_f32_e32 v142, v164, v137
	ds_read2_b32 v[136:137], v136 offset1:1
	ds_read2_b32 v[146:147], v146 offset1:1
	;; [unrolled: 1-line block ×5, first 2 shown]
	v_mov_b32_e32 v162, 0
	v_fmac_f32_e32 v160, v3, v161
	v_fmac_f32_e32 v23, v25, v160
	v_add_u32_e32 v154, 0x41a8, v43
	s_waitcnt lgkmcnt(0)
	v_dot4c_i32_i8_e32 v162, v152, v18
	v_dot4c_i32_i8_e32 v162, v153, v19
	;; [unrolled: 1-line block ×4, first 2 shown]
	v_mov_b32_e32 v151, 0
	v_dot4c_i32_i8_e32 v151, v136, v10
	v_dot4c_i32_i8_e32 v151, v137, v11
	v_mov_b32_e32 v137, 0
	v_dot4c_i32_i8_e32 v137, v148, v6
	v_dot4c_i32_i8_e32 v151, v158, v12
	;; [unrolled: 1-line block ×3, first 2 shown]
	v_add_u32_e32 v156, 0x41a0, v43
	v_add_u32_e32 v160, 0x6218, v43
	v_dot4c_i32_i8_e32 v151, v159, v13
	v_bfe_i32 v136, v132, 8, 8
	v_dot4c_i32_i8_e32 v137, v146, v8
	ds_read2_b32 v[154:155], v154 offset1:1
	ds_read2_b32 v[156:157], v156 offset1:1
	;; [unrolled: 1-line block ×3, first 2 shown]
	v_mul_lo_u32 v136, v151, v136
	v_dot4c_i32_i8_e32 v137, v147, v9
	v_bfe_i32 v146, v132, 0, 8
	v_mov_b32_e32 v150, 0
	s_waitcnt lgkmcnt(1)
	v_dot4c_i32_i8_e32 v150, v156, v14
	v_mad_u64_u32 v[136:137], s[2:3], v137, v146, v[136:137]
	v_cvt_f32_i32_e32 v136, v136
	v_dot4c_i32_i8_e32 v150, v157, v15
	v_dot4c_i32_i8_e32 v150, v154, v16
	;; [unrolled: 1-line block ×3, first 2 shown]
	v_fma_f32 v165, v2, v136, 0
	v_bfe_i32 v136, v132, 16, 8
	v_ashrrev_i32_e32 v132, 24, v132
	v_mul_lo_u32 v132, v162, v132
	v_mad_u64_u32 v[136:137], s[2:3], v150, v136, v[132:133]
	v_add_u32_e32 v146, 0x6210, v43
	v_add_u32_e32 v148, 0x6208, v43
	;; [unrolled: 1-line block ×5, first 2 shown]
	v_cvt_f32_i32_e32 v132, v136
	ds_read2_b32 v[136:137], v57 offset0:2 offset1:3
	ds_read2_b32 v[146:147], v146 offset1:1
	ds_read2_b32 v[148:149], v148 offset1:1
	;; [unrolled: 1-line block ×5, first 2 shown]
	v_add_u32_e32 v156, 0x6228, v43
	v_add_u32_e32 v158, 0x6220, v43
	;; [unrolled: 1-line block ×3, first 2 shown]
	ds_read2_b32 v[156:157], v156 offset1:1
	ds_read2_b32 v[158:159], v158 offset1:1
	;; [unrolled: 1-line block ×3, first 2 shown]
	v_mov_b32_e32 v166, 0
	s_waitcnt lgkmcnt(3)
	v_dot4c_i32_i8_e32 v166, v154, v18
	v_mov_b32_e32 v18, 0
	s_waitcnt lgkmcnt(1)
	v_dot4c_i32_i8_e32 v18, v158, v14
	v_mov_b32_e32 v14, 0
	v_dot4c_i32_i8_e32 v14, v146, v10
	v_dot4c_i32_i8_e32 v14, v147, v11
	v_mov_b32_e32 v11, 0
	v_dot4c_i32_i8_e32 v11, v150, v6
	v_dot4c_i32_i8_e32 v14, v160, v12
	;; [unrolled: 1-line block ×4, first 2 shown]
	v_bfe_i32 v10, v136, 8, 8
	v_dot4c_i32_i8_e32 v11, v148, v8
	v_dot4c_i32_i8_e32 v166, v155, v19
	v_mul_lo_u32 v10, v14, v10
	v_dot4c_i32_i8_e32 v11, v149, v9
	v_bfe_i32 v6, v136, 0, 8
	v_dot4c_i32_i8_e32 v166, v152, v20
	v_dot4c_i32_i8_e32 v18, v159, v15
	v_mad_u64_u32 v[6:7], s[2:3], v11, v6, v[10:11]
	v_dot4c_i32_i8_e32 v166, v153, v21
	v_dot4c_i32_i8_e32 v18, v156, v16
	v_cvt_f32_i32_e32 v8, v6
	v_ashrrev_i32_e32 v6, 24, v136
	v_dot4c_i32_i8_e32 v18, v157, v17
	v_bfe_i32 v7, v136, 16, 8
	v_mul_lo_u32 v6, v166, v6
	v_fma_f32 v2, v2, v8, 0
	v_mad_u64_u32 v[6:7], s[2:3], v18, v7, v[6:7]
	v_cvt_f32_i32_e32 v6, v6
	v_fmac_f32_e32 v165, v3, v132
	v_mov_b32_e32 v132, 0
	v_mov_b32_e32 v136, 0
	v_fmac_f32_e32 v2, v3, v6
	v_fmac_f32_e32 v27, v134, v2
	ds_read_b128 v[10:13], v37 offset:80
	ds_read_b128 v[6:9], v37 offset:64
	;; [unrolled: 1-line block ×4, first 2 shown]
	ds_read2_b32 v[2:3], v43 offset0:62 offset1:63
	ds_read2_b32 v[146:147], v43 offset0:60 offset1:61
	;; [unrolled: 1-line block ×6, first 2 shown]
	s_waitcnt lgkmcnt(4)
	v_dot4c_i32_i8_e32 v132, v146, v18
	v_dot4c_i32_i8_e32 v132, v147, v19
	;; [unrolled: 1-line block ×3, first 2 shown]
	v_mov_b32_e32 v2, 0
	s_waitcnt lgkmcnt(2)
	v_dot4c_i32_i8_e32 v2, v150, v10
	v_dot4c_i32_i8_e32 v2, v151, v11
	;; [unrolled: 1-line block ×5, first 2 shown]
	v_bfe_i32 v3, v135, 8, 8
	ds_read2_b32 v[156:157], v43 offset0:58 offset1:59
	ds_read2_b32 v[158:159], v43 offset0:56 offset1:57
	v_mul_lo_u32 v2, v2, v3
	v_mov_b32_e32 v3, 0
	s_waitcnt lgkmcnt(2)
	v_dot4c_i32_i8_e32 v3, v154, v6
	v_dot4c_i32_i8_e32 v3, v155, v7
	v_dot4c_i32_i8_e32 v3, v152, v8
	v_dot4c_i32_i8_e32 v3, v153, v9
	v_bfe_i32 v146, v135, 0, 8
	s_waitcnt lgkmcnt(0)
	v_dot4c_i32_i8_e32 v136, v158, v14
	v_dot4c_i32_i8_e32 v136, v159, v15
	v_mad_u64_u32 v[2:3], s[2:3], v3, v146, v[2:3]
	v_cvt_f32_i32_e32 v2, v2
	v_dot4c_i32_i8_e32 v136, v156, v16
	v_dot4c_i32_i8_e32 v136, v157, v17
	v_bfe_i32 v3, v135, 16, 8
	v_fma_f32 v160, v4, v2, 0
	v_ashrrev_i32_e32 v2, 24, v135
	v_mul_lo_u32 v2, v132, v2
	v_mad_u64_u32 v[2:3], s[2:3], v136, v3, v[2:3]
	v_cvt_f32_i32_e32 v132, v2
	v_add_u32_e32 v2, 0x2150, v43
	v_add_u32_e32 v135, 0x2148, v43
	;; [unrolled: 1-line block ×4, first 2 shown]
	ds_read2_b32 v[2:3], v2 offset1:1
	ds_read2_b32 v[146:147], v135 offset1:1
	;; [unrolled: 1-line block ×4, first 2 shown]
	v_add_u32_e32 v135, 0x2170, v43
	ds_read2_b32 v[152:153], v135 offset1:1
	v_mov_b32_e32 v136, 0
	v_add_u32_e32 v154, 0x2168, v43
	v_add_u32_e32 v156, 0x2160, v43
	;; [unrolled: 1-line block ×3, first 2 shown]
	s_waitcnt lgkmcnt(0)
	v_dot4c_i32_i8_e32 v136, v152, v18
	v_dot4c_i32_i8_e32 v136, v153, v19
	;; [unrolled: 1-line block ×3, first 2 shown]
	v_mov_b32_e32 v150, 0
	v_dot4c_i32_i8_e32 v150, v2, v10
	ds_read2_b32 v[154:155], v154 offset1:1
	ds_read2_b32 v[156:157], v156 offset1:1
	ds_read2_b32 v[158:159], v135 offset1:1
	v_dot4c_i32_i8_e32 v150, v3, v11
	v_mov_b32_e32 v3, 0
	v_dot4c_i32_i8_e32 v3, v148, v6
	v_dot4c_i32_i8_e32 v150, v162, v12
	;; [unrolled: 1-line block ×3, first 2 shown]
	v_mov_b32_e32 v135, 0
	v_dot4c_i32_i8_e32 v150, v163, v13
	v_bfe_i32 v2, v139, 8, 8
	v_dot4c_i32_i8_e32 v3, v146, v8
	s_waitcnt lgkmcnt(1)
	v_dot4c_i32_i8_e32 v135, v156, v14
	v_mul_lo_u32 v2, v150, v2
	v_dot4c_i32_i8_e32 v3, v147, v9
	v_bfe_i32 v146, v139, 0, 8
	v_dot4c_i32_i8_e32 v135, v157, v15
	v_dot4c_i32_i8_e32 v136, v151, v21
	v_mad_u64_u32 v[2:3], s[2:3], v3, v146, v[2:3]
	v_dot4c_i32_i8_e32 v135, v154, v16
	v_cvt_f32_i32_e32 v146, v2
	v_ashrrev_i32_e32 v2, 24, v139
	v_dot4c_i32_i8_e32 v135, v155, v17
	v_bfe_i32 v3, v139, 16, 8
	v_mul_lo_u32 v2, v136, v2
	v_fmac_f32_e32 v160, v5, v132
	v_mad_u64_u32 v[2:3], s[2:3], v135, v3, v[2:3]
	v_cvt_f32_i32_e32 v2, v2
	v_fma_f32 v3, v4, v146, 0
	v_fmac_f32_e32 v23, v25, v160
	v_add_u32_e32 v25, 0x41c8, v43
	v_fmac_f32_e32 v3, v5, v2
	v_add_u32_e32 v2, 0x41d0, v43
	v_add_u32_e32 v135, 0x41f8, v43
	v_fmac_f32_e32 v142, v164, v3
	v_add_u32_e32 v132, 0x41c0, v43
	ds_read2_b32 v[2:3], v2 offset1:1
	ds_read2_b32 v[146:147], v25 offset1:1
	;; [unrolled: 1-line block ×4, first 2 shown]
	v_add_u32_e32 v25, 0x41f0, v43
	v_add_u32_e32 v135, 0x41e8, v43
	;; [unrolled: 1-line block ×3, first 2 shown]
	ds_read2_b32 v[152:153], v25 offset1:1
	v_add_u32_e32 v25, 0x6258, v43
	ds_read2_b32 v[154:155], v135 offset1:1
	ds_read2_b32 v[156:157], v136 offset1:1
	ds_read2_b32 v[160:161], v25 offset1:1
	v_mov_b32_e32 v135, 0
	s_waitcnt lgkmcnt(7)
	v_dot4c_i32_i8_e32 v135, v2, v10
	v_dot4c_i32_i8_e32 v135, v3, v11
	v_mov_b32_e32 v3, 0
	s_waitcnt lgkmcnt(5)
	v_dot4c_i32_i8_e32 v3, v148, v6
	v_dot4c_i32_i8_e32 v135, v158, v12
	;; [unrolled: 1-line block ×4, first 2 shown]
	v_bfe_i32 v2, v133, 8, 8
	v_dot4c_i32_i8_e32 v3, v146, v8
	v_dot4c_i32_i8_e32 v3, v147, v9
	v_mul_lo_u32 v2, v135, v2
	v_bfe_i32 v135, v133, 0, 8
	v_mov_b32_e32 v132, 0
	v_mad_u64_u32 v[2:3], s[2:3], v3, v135, v[2:3]
	v_cvt_f32_i32_e32 v2, v2
	s_waitcnt lgkmcnt(3)
	v_dot4c_i32_i8_e32 v132, v152, v18
	v_mov_b32_e32 v25, 0
	v_dot4c_i32_i8_e32 v132, v153, v19
	s_waitcnt lgkmcnt(1)
	v_dot4c_i32_i8_e32 v25, v156, v14
	v_dot4c_i32_i8_e32 v132, v150, v20
	;; [unrolled: 1-line block ×5, first 2 shown]
	v_fma_f32 v135, v4, v2, 0
	v_ashrrev_i32_e32 v2, 24, v133
	v_dot4c_i32_i8_e32 v25, v155, v17
	v_bfe_i32 v3, v133, 16, 8
	v_mul_lo_u32 v2, v132, v2
	v_add_u32_e32 v132, 0x6248, v43
	v_mad_u64_u32 v[2:3], s[2:3], v25, v3, v[2:3]
	v_cvt_f32_i32_e32 v25, v2
	v_add_u32_e32 v2, 0x6250, v43
	v_add_u32_e32 v136, 0x6240, v43
	;; [unrolled: 1-line block ×3, first 2 shown]
	ds_read2_b32 v[2:3], v2 offset1:1
	ds_read2_b32 v[132:133], v132 offset1:1
	ds_read2_b32 v[146:147], v136 offset1:1
	ds_read2_b32 v[148:149], v139 offset1:1
	v_add_u32_e32 v136, 0x6270, v43
	ds_read2_b32 v[150:151], v136 offset1:1
	v_add_u32_e32 v136, 0x6268, v43
	v_add_u32_e32 v154, 0x6260, v43
	ds_read2_b32 v[152:153], v136 offset1:1
	ds_read2_b32 v[154:155], v154 offset1:1
	v_mov_b32_e32 v139, 0
	s_waitcnt lgkmcnt(2)
	v_dot4c_i32_i8_e32 v139, v150, v18
	v_mov_b32_e32 v18, 0
	v_dot4c_i32_i8_e32 v139, v151, v19
	s_waitcnt lgkmcnt(0)
	v_dot4c_i32_i8_e32 v18, v154, v14
	v_mov_b32_e32 v14, 0
	v_dot4c_i32_i8_e32 v14, v2, v10
	v_dot4c_i32_i8_e32 v14, v3, v11
	v_mov_b32_e32 v3, 0
	v_dot4c_i32_i8_e32 v3, v146, v6
	v_dot4c_i32_i8_e32 v14, v160, v12
	;; [unrolled: 1-line block ×4, first 2 shown]
	v_bfe_i32 v2, v137, 8, 8
	v_dot4c_i32_i8_e32 v3, v132, v8
	v_dot4c_i32_i8_e32 v3, v133, v9
	v_mul_lo_u32 v2, v14, v2
	v_bfe_i32 v6, v137, 0, 8
	v_dot4c_i32_i8_e32 v139, v148, v20
	v_dot4c_i32_i8_e32 v18, v155, v15
	v_mad_u64_u32 v[2:3], s[2:3], v3, v6, v[2:3]
	v_dot4c_i32_i8_e32 v139, v149, v21
	v_dot4c_i32_i8_e32 v18, v152, v16
	v_cvt_f32_i32_e32 v6, v2
	v_ashrrev_i32_e32 v2, 24, v137
	v_dot4c_i32_i8_e32 v18, v153, v17
	v_bfe_i32 v3, v137, 16, 8
	v_mul_lo_u32 v2, v139, v2
	v_fmac_f32_e32 v22, v138, v165
	v_mad_u64_u32 v[2:3], s[2:3], v18, v3, v[2:3]
	v_cvt_f32_i32_e32 v2, v2
	v_fma_f32 v3, v4, v6, 0
	v_fmac_f32_e32 v135, v5, v25
	v_fmac_f32_e32 v22, v138, v135
	v_fmac_f32_e32 v3, v5, v2
	v_fmac_f32_e32 v27, v134, v3
	s_barrier
.LBB196_5:                              ;   in Loop: Header=BB196_6 Depth=1
	s_add_i32 s24, s24, -1
	s_addk_i32 s4, 0x100
	v_add_u32_e32 v24, 8, v24
	v_add_u32_e32 v47, 8, v47
	;; [unrolled: 1-line block ×3, first 2 shown]
	v_lshl_add_u64 v[62:63], v[62:63], 0, s[12:13]
	v_lshl_add_u64 v[64:65], v[64:65], 0, s[12:13]
	;; [unrolled: 1-line block ×34, first 2 shown]
	s_cmp_eq_u32 s24, 0
	v_lshl_add_u64 v[130:131], v[130:131], 0, s[12:13]
	s_cbranch_scc1 .LBB196_19
.LBB196_6:                              ; =>This Inner Loop Header: Depth=1
	v_lshl_add_u64 v[2:3], v[66:67], 0, s[18:19]
	global_load_dword v10, v[2:3], off offset:-2
	v_lshl_add_u64 v[2:3], v[62:63], 0, s[18:19]
	global_load_dword v11, v[2:3], off
	v_lshl_add_u64 v[2:3], v[72:73], 0, s[18:19]
	global_load_dword v12, v[2:3], off offset:-2
	v_lshl_add_u64 v[2:3], v[68:69], 0, s[18:19]
	global_load_dword v13, v[2:3], off
	;; [unrolled: 4-line block ×3, first 2 shown]
	v_lshl_add_u64 v[2:3], v[84:85], 0, s[18:19]
	v_lshl_add_u64 v[4:5], v[80:81], 0, s[18:19]
	;; [unrolled: 1-line block ×4, first 2 shown]
	global_load_dword v16, v[2:3], off offset:-2
	s_nop 0
	global_load_dword v4, v[4:5], off
	s_nop 0
	global_load_dword v5, v[6:7], off offset:-2
	s_nop 0
	global_load_dword v6, v[8:9], off
	s_add_i32 s2, s4, 0xffffff80
	s_cmp_lt_i32 s2, s5
	s_waitcnt vmcnt(9)
	v_and_b32_e32 v2, 0xf0f0f0f, v10
	v_lshrrev_b32_e32 v3, 4, v10
	s_waitcnt vmcnt(8)
	v_ashrrev_i32_e32 v7, v140, v11
	s_waitcnt vmcnt(7)
	v_and_b32_e32 v8, 0xf0f0f0f, v12
	v_lshrrev_b32_e32 v9, 4, v12
	s_waitcnt vmcnt(6)
	v_ashrrev_i32_e32 v10, v140, v13
	;; [unrolled: 5-line block ×3, first 2 shown]
	v_lshlrev_b32_e32 v14, 4, v7
	v_and_b32_e32 v7, 0x30303030, v7
	v_lshlrev_b32_e32 v15, 4, v10
	v_and_b32_e32 v10, 0x30303030, v10
	v_lshlrev_b32_e32 v17, 4, v13
	v_and_or_b32 v2, v14, s25, v2
	v_and_or_b32 v3, v3, s6, v7
	v_and_or_b32 v7, v15, s25, v8
	v_and_or_b32 v8, v9, s6, v10
	v_and_or_b32 v9, v17, s25, v11
	v_and_b32_e32 v10, 0x3f00, v2
	v_lshlrev_b16_e32 v11, 8, v2
	v_and_b32_sdwa v14, v2, s26 dst_sel:DWORD dst_unused:UNUSED_PAD src0_sel:WORD_1 src1_sel:DWORD
	v_lshlrev_b16_sdwa v2, v145, v2 dst_sel:DWORD dst_unused:UNUSED_PAD src0_sel:DWORD src1_sel:WORD_1
	v_and_b32_e32 v15, 0x3f00, v3
	v_lshlrev_b16_e32 v17, 8, v3
	v_and_b32_sdwa v18, v3, s26 dst_sel:DWORD dst_unused:UNUSED_PAD src0_sel:WORD_1 src1_sel:DWORD
	v_lshlrev_b16_sdwa v3, v145, v3 dst_sel:DWORD dst_unused:UNUSED_PAD src0_sel:DWORD src1_sel:WORD_1
	v_and_b32_e32 v19, 0x3f00, v7
	v_lshlrev_b16_e32 v20, 8, v7
	v_and_b32_sdwa v21, v7, s26 dst_sel:DWORD dst_unused:UNUSED_PAD src0_sel:WORD_1 src1_sel:DWORD
	v_lshlrev_b16_sdwa v7, v145, v7 dst_sel:DWORD dst_unused:UNUSED_PAD src0_sel:DWORD src1_sel:WORD_1
	v_and_b32_e32 v25, 0x3f00, v8
	v_lshlrev_b16_e32 v132, 8, v8
	v_and_b32_sdwa v133, v8, s26 dst_sel:DWORD dst_unused:UNUSED_PAD src0_sel:WORD_1 src1_sel:DWORD
	v_lshlrev_b16_sdwa v8, v145, v8 dst_sel:DWORD dst_unused:UNUSED_PAD src0_sel:DWORD src1_sel:WORD_1
	v_add_u16_e32 v11, 0xe000, v11
	v_add_u16_e32 v2, 0xe000, v2
	;; [unrolled: 1-line block ×8, first 2 shown]
	v_or_b32_sdwa v10, v10, v11 dst_sel:DWORD dst_unused:UNUSED_PAD src0_sel:DWORD src1_sel:BYTE_1
	v_or_b32_sdwa v2, v14, v2 dst_sel:DWORD dst_unused:UNUSED_PAD src0_sel:DWORD src1_sel:BYTE_1
	;; [unrolled: 1-line block ×8, first 2 shown]
	v_add_u16_e32 v10, 0xe000, v10
	v_add_u16_sdwa v2, v2, s27 dst_sel:WORD_1 dst_unused:UNUSED_PAD src0_sel:DWORD src1_sel:DWORD
	v_add_u16_e32 v11, 0xe000, v11
	v_add_u16_sdwa v3, v3, s27 dst_sel:WORD_1 dst_unused:UNUSED_PAD src0_sel:DWORD src1_sel:DWORD
	v_add_u16_e32 v14, 0xe000, v14
	v_add_u16_sdwa v7, v7, s27 dst_sel:WORD_1 dst_unused:UNUSED_PAD src0_sel:DWORD src1_sel:DWORD
	v_add_u16_e32 v15, 0xe000, v15
	v_add_u16_sdwa v8, v8, s27 dst_sel:WORD_1 dst_unused:UNUSED_PAD src0_sel:DWORD src1_sel:DWORD
	v_or_b32_e32 v2, v10, v2
	v_or_b32_e32 v3, v11, v3
	;; [unrolled: 1-line block ×3, first 2 shown]
	v_lshlrev_b16_e32 v135, 8, v9
	v_or_b32_e32 v8, v15, v8
	ds_write2_b32 v26, v2, v3 offset1:16
	ds_write2_b32 v28, v7, v8 offset1:16
	v_lshlrev_b16_sdwa v7, v145, v9 dst_sel:DWORD dst_unused:UNUSED_PAD src0_sel:DWORD src1_sel:WORD_1
	v_and_b32_e32 v134, 0x3f00, v9
	v_add_u16_e32 v135, 0xe000, v135
	v_and_b32_sdwa v3, v9, s26 dst_sel:DWORD dst_unused:UNUSED_PAD src0_sel:WORD_1 src1_sel:DWORD
	v_add_u16_e32 v7, 0xe000, v7
	v_and_b32_e32 v13, 0x30303030, v13
	v_or_b32_sdwa v17, v134, v135 dst_sel:DWORD dst_unused:UNUSED_PAD src0_sel:DWORD src1_sel:BYTE_1
	v_or_b32_sdwa v3, v3, v7 dst_sel:DWORD dst_unused:UNUSED_PAD src0_sel:DWORD src1_sel:BYTE_1
	v_add_u16_e32 v2, 0xe000, v17
	v_add_u16_sdwa v3, v3, s27 dst_sel:WORD_1 dst_unused:UNUSED_PAD src0_sel:DWORD src1_sel:DWORD
	v_and_or_b32 v8, v12, s6, v13
	v_or_b32_e32 v7, v2, v3
	v_lshlrev_b16_e32 v2, 8, v8
	v_add_u16_e32 v10, 0xe000, v2
	v_lshl_add_u64 v[2:3], v[96:97], 0, s[18:19]
	global_load_dword v11, v[2:3], off offset:-2
	v_lshl_add_u64 v[2:3], v[92:93], 0, s[18:19]
	global_load_dword v12, v[2:3], off
	v_and_b32_e32 v9, 0x3f00, v8
	v_and_b32_sdwa v3, v8, s26 dst_sel:DWORD dst_unused:UNUSED_PAD src0_sel:WORD_1 src1_sel:DWORD
	v_lshlrev_b16_sdwa v8, v145, v8 dst_sel:DWORD dst_unused:UNUSED_PAD src0_sel:DWORD src1_sel:WORD_1
	v_add_u16_e32 v8, 0xe000, v8
	v_or_b32_sdwa v2, v9, v10 dst_sel:DWORD dst_unused:UNUSED_PAD src0_sel:DWORD src1_sel:BYTE_1
	v_or_b32_sdwa v3, v3, v8 dst_sel:DWORD dst_unused:UNUSED_PAD src0_sel:DWORD src1_sel:BYTE_1
	v_add_u16_e32 v2, 0xe000, v2
	v_add_u16_sdwa v3, v3, s27 dst_sel:WORD_1 dst_unused:UNUSED_PAD src0_sel:DWORD src1_sel:DWORD
	s_waitcnt vmcnt(4)
	v_ashrrev_i32_e32 v4, v140, v4
	v_or_b32_e32 v2, v2, v3
	ds_write2_b32 v30, v7, v2 offset1:16
	v_and_b32_e32 v2, 0xf0f0f0f, v16
	v_lshlrev_b32_e32 v7, 4, v4
	v_and_or_b32 v2, v7, s25, v2
	v_lshlrev_b16_e32 v8, 8, v2
	v_and_b32_e32 v7, 0x3f00, v2
	v_add_u16_e32 v8, 0xe000, v8
	v_or_b32_sdwa v7, v7, v8 dst_sel:DWORD dst_unused:UNUSED_PAD src0_sel:DWORD src1_sel:BYTE_1
	v_and_b32_sdwa v8, v2, s26 dst_sel:DWORD dst_unused:UNUSED_PAD src0_sel:WORD_1 src1_sel:DWORD
	v_lshlrev_b16_sdwa v2, v145, v2 dst_sel:DWORD dst_unused:UNUSED_PAD src0_sel:DWORD src1_sel:WORD_1
	v_add_u16_e32 v2, 0xe000, v2
	v_lshrrev_b32_e32 v3, 4, v16
	v_and_b32_e32 v4, 0x30303030, v4
	v_or_b32_sdwa v2, v8, v2 dst_sel:DWORD dst_unused:UNUSED_PAD src0_sel:DWORD src1_sel:BYTE_1
	v_add_u16_e32 v7, 0xe000, v7
	v_add_u16_sdwa v2, v2, s27 dst_sel:WORD_1 dst_unused:UNUSED_PAD src0_sel:DWORD src1_sel:DWORD
	v_and_or_b32 v4, v3, s6, v4
	v_or_b32_e32 v7, v7, v2
	v_lshlrev_b16_e32 v2, 8, v4
	v_add_u16_e32 v9, 0xe000, v2
	v_lshl_add_u64 v[2:3], v[102:103], 0, s[18:19]
	global_load_dword v10, v[2:3], off offset:-2
	v_lshl_add_u64 v[2:3], v[98:99], 0, s[18:19]
	v_and_b32_e32 v8, 0x3f00, v4
	global_load_dword v13, v[2:3], off
	v_and_b32_sdwa v3, v4, s26 dst_sel:DWORD dst_unused:UNUSED_PAD src0_sel:WORD_1 src1_sel:DWORD
	v_lshlrev_b16_sdwa v4, v145, v4 dst_sel:DWORD dst_unused:UNUSED_PAD src0_sel:DWORD src1_sel:WORD_1
	v_add_u16_e32 v4, 0xe000, v4
	v_or_b32_sdwa v2, v8, v9 dst_sel:DWORD dst_unused:UNUSED_PAD src0_sel:DWORD src1_sel:BYTE_1
	v_or_b32_sdwa v3, v3, v4 dst_sel:DWORD dst_unused:UNUSED_PAD src0_sel:DWORD src1_sel:BYTE_1
	v_add_u16_e32 v2, 0xe000, v2
	v_add_u16_sdwa v3, v3, s27 dst_sel:WORD_1 dst_unused:UNUSED_PAD src0_sel:DWORD src1_sel:DWORD
	s_waitcnt vmcnt(4)
	v_ashrrev_i32_e32 v4, v140, v6
	v_or_b32_e32 v2, v2, v3
	ds_write2_b32 v32, v7, v2 offset1:16
	v_and_b32_e32 v2, 0xf0f0f0f, v5
	v_lshrrev_b32_e32 v3, 4, v5
	v_lshlrev_b32_e32 v5, 4, v4
	v_and_or_b32 v2, v5, s25, v2
	v_lshlrev_b16_e32 v6, 8, v2
	v_and_b32_e32 v5, 0x3f00, v2
	v_add_u16_e32 v6, 0xe000, v6
	v_or_b32_sdwa v5, v5, v6 dst_sel:DWORD dst_unused:UNUSED_PAD src0_sel:DWORD src1_sel:BYTE_1
	v_and_b32_sdwa v6, v2, s26 dst_sel:DWORD dst_unused:UNUSED_PAD src0_sel:WORD_1 src1_sel:DWORD
	v_lshlrev_b16_sdwa v2, v145, v2 dst_sel:DWORD dst_unused:UNUSED_PAD src0_sel:DWORD src1_sel:WORD_1
	v_add_u16_e32 v2, 0xe000, v2
	v_and_b32_e32 v4, 0x30303030, v4
	v_or_b32_sdwa v2, v6, v2 dst_sel:DWORD dst_unused:UNUSED_PAD src0_sel:DWORD src1_sel:BYTE_1
	v_add_u16_e32 v5, 0xe000, v5
	v_add_u16_sdwa v2, v2, s27 dst_sel:WORD_1 dst_unused:UNUSED_PAD src0_sel:DWORD src1_sel:DWORD
	v_and_or_b32 v4, v3, s6, v4
	v_or_b32_e32 v5, v5, v2
	v_lshlrev_b16_e32 v2, 8, v4
	v_add_u16_e32 v7, 0xe000, v2
	v_lshl_add_u64 v[2:3], v[108:109], 0, s[18:19]
	global_load_dword v8, v[2:3], off offset:-2
	v_lshl_add_u64 v[2:3], v[104:105], 0, s[18:19]
	global_load_dword v9, v[2:3], off
	v_and_b32_e32 v6, 0x3f00, v4
	v_and_b32_sdwa v3, v4, s26 dst_sel:DWORD dst_unused:UNUSED_PAD src0_sel:WORD_1 src1_sel:DWORD
	v_lshlrev_b16_sdwa v4, v145, v4 dst_sel:DWORD dst_unused:UNUSED_PAD src0_sel:DWORD src1_sel:WORD_1
	v_add_u16_e32 v4, 0xe000, v4
	v_or_b32_sdwa v2, v6, v7 dst_sel:DWORD dst_unused:UNUSED_PAD src0_sel:DWORD src1_sel:BYTE_1
	v_or_b32_sdwa v3, v3, v4 dst_sel:DWORD dst_unused:UNUSED_PAD src0_sel:DWORD src1_sel:BYTE_1
	v_add_u16_e32 v2, 0xe000, v2
	v_add_u16_sdwa v3, v3, s27 dst_sel:WORD_1 dst_unused:UNUSED_PAD src0_sel:DWORD src1_sel:DWORD
	s_waitcnt vmcnt(4)
	v_ashrrev_i32_e32 v4, v140, v12
	v_or_b32_e32 v2, v2, v3
	ds_write2_b32 v34, v5, v2 offset1:16
	v_and_b32_e32 v2, 0xf0f0f0f, v11
	v_lshlrev_b32_e32 v5, 4, v4
	v_and_or_b32 v2, v5, s25, v2
	v_lshlrev_b16_e32 v6, 8, v2
	v_and_b32_e32 v5, 0x3f00, v2
	v_add_u16_e32 v6, 0xe000, v6
	v_or_b32_sdwa v5, v5, v6 dst_sel:DWORD dst_unused:UNUSED_PAD src0_sel:DWORD src1_sel:BYTE_1
	v_and_b32_sdwa v6, v2, s26 dst_sel:DWORD dst_unused:UNUSED_PAD src0_sel:WORD_1 src1_sel:DWORD
	v_lshlrev_b16_sdwa v2, v145, v2 dst_sel:DWORD dst_unused:UNUSED_PAD src0_sel:DWORD src1_sel:WORD_1
	v_add_u16_e32 v2, 0xe000, v2
	v_lshrrev_b32_e32 v3, 4, v11
	v_and_b32_e32 v4, 0x30303030, v4
	v_or_b32_sdwa v2, v6, v2 dst_sel:DWORD dst_unused:UNUSED_PAD src0_sel:DWORD src1_sel:BYTE_1
	v_add_u16_e32 v5, 0xe000, v5
	v_add_u16_sdwa v2, v2, s27 dst_sel:WORD_1 dst_unused:UNUSED_PAD src0_sel:DWORD src1_sel:DWORD
	v_and_or_b32 v4, v3, s6, v4
	v_or_b32_e32 v5, v5, v2
	v_lshlrev_b16_e32 v2, 8, v4
	v_add_u16_e32 v7, 0xe000, v2
	v_lshl_add_u64 v[2:3], v[114:115], 0, s[18:19]
	global_load_dword v11, v[2:3], off offset:-2
	v_lshl_add_u64 v[2:3], v[110:111], 0, s[18:19]
	global_load_dword v12, v[2:3], off
	v_and_b32_e32 v6, 0x3f00, v4
	v_and_b32_sdwa v3, v4, s26 dst_sel:DWORD dst_unused:UNUSED_PAD src0_sel:WORD_1 src1_sel:DWORD
	v_lshlrev_b16_sdwa v4, v145, v4 dst_sel:DWORD dst_unused:UNUSED_PAD src0_sel:DWORD src1_sel:WORD_1
	v_add_u16_e32 v4, 0xe000, v4
	v_or_b32_sdwa v2, v6, v7 dst_sel:DWORD dst_unused:UNUSED_PAD src0_sel:DWORD src1_sel:BYTE_1
	v_or_b32_sdwa v3, v3, v4 dst_sel:DWORD dst_unused:UNUSED_PAD src0_sel:DWORD src1_sel:BYTE_1
	v_add_u16_e32 v2, 0xe000, v2
	v_add_u16_sdwa v3, v3, s27 dst_sel:WORD_1 dst_unused:UNUSED_PAD src0_sel:DWORD src1_sel:DWORD
	s_waitcnt vmcnt(4)
	v_ashrrev_i32_e32 v4, v140, v13
	v_or_b32_e32 v2, v2, v3
	ds_write2_b32 v36, v5, v2 offset1:16
	v_and_b32_e32 v2, 0xf0f0f0f, v10
	v_lshlrev_b32_e32 v5, 4, v4
	v_and_or_b32 v2, v5, s25, v2
	v_lshlrev_b16_e32 v6, 8, v2
	v_and_b32_e32 v5, 0x3f00, v2
	v_add_u16_e32 v6, 0xe000, v6
	v_or_b32_sdwa v5, v5, v6 dst_sel:DWORD dst_unused:UNUSED_PAD src0_sel:DWORD src1_sel:BYTE_1
	v_and_b32_sdwa v6, v2, s26 dst_sel:DWORD dst_unused:UNUSED_PAD src0_sel:WORD_1 src1_sel:DWORD
	v_lshlrev_b16_sdwa v2, v145, v2 dst_sel:DWORD dst_unused:UNUSED_PAD src0_sel:DWORD src1_sel:WORD_1
	v_add_u16_e32 v2, 0xe000, v2
	v_lshrrev_b32_e32 v3, 4, v10
	v_and_b32_e32 v4, 0x30303030, v4
	v_or_b32_sdwa v2, v6, v2 dst_sel:DWORD dst_unused:UNUSED_PAD src0_sel:DWORD src1_sel:BYTE_1
	v_add_u16_e32 v5, 0xe000, v5
	v_add_u16_sdwa v2, v2, s27 dst_sel:WORD_1 dst_unused:UNUSED_PAD src0_sel:DWORD src1_sel:DWORD
	v_and_or_b32 v4, v3, s6, v4
	v_or_b32_e32 v5, v5, v2
	v_lshlrev_b16_e32 v2, 8, v4
	v_add_u16_e32 v7, 0xe000, v2
	v_lshl_add_u64 v[2:3], v[120:121], 0, s[18:19]
	global_load_dword v10, v[2:3], off offset:-2
	v_lshl_add_u64 v[2:3], v[116:117], 0, s[18:19]
	v_and_b32_e32 v6, 0x3f00, v4
	global_load_dword v13, v[2:3], off
	v_and_b32_sdwa v3, v4, s26 dst_sel:DWORD dst_unused:UNUSED_PAD src0_sel:WORD_1 src1_sel:DWORD
	v_lshlrev_b16_sdwa v4, v145, v4 dst_sel:DWORD dst_unused:UNUSED_PAD src0_sel:DWORD src1_sel:WORD_1
	v_add_u16_e32 v4, 0xe000, v4
	v_or_b32_sdwa v2, v6, v7 dst_sel:DWORD dst_unused:UNUSED_PAD src0_sel:DWORD src1_sel:BYTE_1
	v_or_b32_sdwa v3, v3, v4 dst_sel:DWORD dst_unused:UNUSED_PAD src0_sel:DWORD src1_sel:BYTE_1
	v_add_u16_e32 v2, 0xe000, v2
	v_add_u16_sdwa v3, v3, s27 dst_sel:WORD_1 dst_unused:UNUSED_PAD src0_sel:DWORD src1_sel:DWORD
	s_waitcnt vmcnt(4)
	v_ashrrev_i32_e32 v4, v140, v9
	v_or_b32_e32 v2, v2, v3
	ds_write2_b32 v38, v5, v2 offset1:16
	v_and_b32_e32 v2, 0xf0f0f0f, v8
	v_lshlrev_b32_e32 v5, 4, v4
	v_and_or_b32 v2, v5, s25, v2
	v_lshlrev_b16_e32 v6, 8, v2
	v_and_b32_e32 v5, 0x3f00, v2
	v_add_u16_e32 v6, 0xe000, v6
	v_or_b32_sdwa v5, v5, v6 dst_sel:DWORD dst_unused:UNUSED_PAD src0_sel:DWORD src1_sel:BYTE_1
	v_and_b32_sdwa v6, v2, s26 dst_sel:DWORD dst_unused:UNUSED_PAD src0_sel:WORD_1 src1_sel:DWORD
	v_lshlrev_b16_sdwa v2, v145, v2 dst_sel:DWORD dst_unused:UNUSED_PAD src0_sel:DWORD src1_sel:WORD_1
	v_add_u16_e32 v2, 0xe000, v2
	v_lshrrev_b32_e32 v3, 4, v8
	v_and_b32_e32 v4, 0x30303030, v4
	v_or_b32_sdwa v2, v6, v2 dst_sel:DWORD dst_unused:UNUSED_PAD src0_sel:DWORD src1_sel:BYTE_1
	v_add_u16_e32 v5, 0xe000, v5
	v_add_u16_sdwa v2, v2, s27 dst_sel:WORD_1 dst_unused:UNUSED_PAD src0_sel:DWORD src1_sel:DWORD
	v_and_or_b32 v4, v3, s6, v4
	v_or_b32_e32 v5, v5, v2
	v_lshlrev_b16_e32 v2, 8, v4
	v_add_u16_e32 v7, 0xe000, v2
	v_lshl_add_u64 v[2:3], v[126:127], 0, s[18:19]
	global_load_dword v8, v[2:3], off offset:-2
	v_lshl_add_u64 v[2:3], v[122:123], 0, s[18:19]
	global_load_dword v9, v[2:3], off
	v_and_b32_e32 v6, 0x3f00, v4
	v_and_b32_sdwa v3, v4, s26 dst_sel:DWORD dst_unused:UNUSED_PAD src0_sel:WORD_1 src1_sel:DWORD
	v_lshlrev_b16_sdwa v4, v145, v4 dst_sel:DWORD dst_unused:UNUSED_PAD src0_sel:DWORD src1_sel:WORD_1
	v_add_u16_e32 v4, 0xe000, v4
	v_or_b32_sdwa v2, v6, v7 dst_sel:DWORD dst_unused:UNUSED_PAD src0_sel:DWORD src1_sel:BYTE_1
	v_or_b32_sdwa v3, v3, v4 dst_sel:DWORD dst_unused:UNUSED_PAD src0_sel:DWORD src1_sel:BYTE_1
	v_add_u16_e32 v2, 0xe000, v2
	v_add_u16_sdwa v3, v3, s27 dst_sel:WORD_1 dst_unused:UNUSED_PAD src0_sel:DWORD src1_sel:DWORD
	s_waitcnt vmcnt(4)
	v_ashrrev_i32_e32 v4, v140, v12
	v_or_b32_e32 v2, v2, v3
	ds_write2_b32 v40, v5, v2 offset1:16
	v_and_b32_e32 v2, 0xf0f0f0f, v11
	v_lshlrev_b32_e32 v5, 4, v4
	v_and_or_b32 v2, v5, s25, v2
	v_lshlrev_b16_e32 v6, 8, v2
	v_and_b32_e32 v5, 0x3f00, v2
	v_add_u16_e32 v6, 0xe000, v6
	v_or_b32_sdwa v5, v5, v6 dst_sel:DWORD dst_unused:UNUSED_PAD src0_sel:DWORD src1_sel:BYTE_1
	v_and_b32_sdwa v6, v2, s26 dst_sel:DWORD dst_unused:UNUSED_PAD src0_sel:WORD_1 src1_sel:DWORD
	v_lshlrev_b16_sdwa v2, v145, v2 dst_sel:DWORD dst_unused:UNUSED_PAD src0_sel:DWORD src1_sel:WORD_1
	v_add_u16_e32 v2, 0xe000, v2
	v_lshrrev_b32_e32 v3, 4, v11
	v_and_b32_e32 v4, 0x30303030, v4
	v_or_b32_sdwa v2, v6, v2 dst_sel:DWORD dst_unused:UNUSED_PAD src0_sel:DWORD src1_sel:BYTE_1
	v_add_u16_e32 v5, 0xe000, v5
	v_add_u16_sdwa v2, v2, s27 dst_sel:WORD_1 dst_unused:UNUSED_PAD src0_sel:DWORD src1_sel:DWORD
	v_and_or_b32 v4, v3, s6, v4
	v_or_b32_e32 v5, v5, v2
	v_lshlrev_b16_e32 v2, 8, v4
	v_add_u16_e32 v7, 0xe000, v2
	v_lshl_add_u64 v[2:3], v[130:131], 0, s[18:19]
	global_load_dword v11, v[2:3], off offset:-2
	v_lshl_add_u64 v[2:3], v[128:129], 0, s[18:19]
	global_load_dword v12, v[2:3], off
	v_and_b32_e32 v6, 0x3f00, v4
	v_and_b32_sdwa v3, v4, s26 dst_sel:DWORD dst_unused:UNUSED_PAD src0_sel:WORD_1 src1_sel:DWORD
	v_lshlrev_b16_sdwa v4, v145, v4 dst_sel:DWORD dst_unused:UNUSED_PAD src0_sel:DWORD src1_sel:WORD_1
	v_add_u16_e32 v4, 0xe000, v4
	v_or_b32_sdwa v2, v6, v7 dst_sel:DWORD dst_unused:UNUSED_PAD src0_sel:DWORD src1_sel:BYTE_1
	v_or_b32_sdwa v3, v3, v4 dst_sel:DWORD dst_unused:UNUSED_PAD src0_sel:DWORD src1_sel:BYTE_1
	v_add_u16_e32 v2, 0xe000, v2
	v_add_u16_sdwa v3, v3, s27 dst_sel:WORD_1 dst_unused:UNUSED_PAD src0_sel:DWORD src1_sel:DWORD
	s_waitcnt vmcnt(4)
	v_ashrrev_i32_e32 v4, v140, v13
	v_or_b32_e32 v2, v2, v3
	ds_write2_b32 v42, v5, v2 offset1:16
	v_and_b32_e32 v2, 0xf0f0f0f, v10
	v_lshlrev_b32_e32 v5, 4, v4
	v_and_or_b32 v2, v5, s25, v2
	v_lshlrev_b16_e32 v6, 8, v2
	v_and_b32_e32 v5, 0x3f00, v2
	v_add_u16_e32 v6, 0xe000, v6
	v_or_b32_sdwa v5, v5, v6 dst_sel:DWORD dst_unused:UNUSED_PAD src0_sel:DWORD src1_sel:BYTE_1
	v_and_b32_sdwa v6, v2, s26 dst_sel:DWORD dst_unused:UNUSED_PAD src0_sel:WORD_1 src1_sel:DWORD
	v_lshlrev_b16_sdwa v2, v145, v2 dst_sel:DWORD dst_unused:UNUSED_PAD src0_sel:DWORD src1_sel:WORD_1
	v_add_u16_e32 v2, 0xe000, v2
	v_lshrrev_b32_e32 v3, 4, v10
	v_and_b32_e32 v4, 0x30303030, v4
	v_or_b32_sdwa v2, v6, v2 dst_sel:DWORD dst_unused:UNUSED_PAD src0_sel:DWORD src1_sel:BYTE_1
	v_add_u16_e32 v5, 0xe000, v5
	v_add_u16_sdwa v2, v2, s27 dst_sel:WORD_1 dst_unused:UNUSED_PAD src0_sel:DWORD src1_sel:DWORD
	v_and_or_b32 v4, v3, s6, v4
	v_or_b32_e32 v5, v5, v2
	v_lshlrev_b16_e32 v2, 8, v4
	v_add_u16_e32 v7, 0xe000, v2
	v_lshl_add_u64 v[2:3], v[118:119], 0, s[18:19]
	global_load_dword v10, v[2:3], off
	v_lshl_add_u64 v[2:3], v[124:125], 0, s[18:19]
	v_and_b32_e32 v6, 0x3f00, v4
	global_load_dword v13, v[2:3], off
	v_and_b32_sdwa v3, v4, s26 dst_sel:DWORD dst_unused:UNUSED_PAD src0_sel:WORD_1 src1_sel:DWORD
	v_lshlrev_b16_sdwa v4, v145, v4 dst_sel:DWORD dst_unused:UNUSED_PAD src0_sel:DWORD src1_sel:WORD_1
	v_add_u16_e32 v4, 0xe000, v4
	v_or_b32_sdwa v2, v6, v7 dst_sel:DWORD dst_unused:UNUSED_PAD src0_sel:DWORD src1_sel:BYTE_1
	v_or_b32_sdwa v3, v3, v4 dst_sel:DWORD dst_unused:UNUSED_PAD src0_sel:DWORD src1_sel:BYTE_1
	v_add_u16_e32 v2, 0xe000, v2
	v_add_u16_sdwa v3, v3, s27 dst_sel:WORD_1 dst_unused:UNUSED_PAD src0_sel:DWORD src1_sel:DWORD
	s_waitcnt vmcnt(4)
	v_ashrrev_i32_e32 v4, v140, v9
	v_or_b32_e32 v2, v2, v3
	ds_write2_b32 v44, v5, v2 offset1:16
	v_and_b32_e32 v2, 0xf0f0f0f, v8
	v_lshlrev_b32_e32 v5, 4, v4
	v_and_or_b32 v2, v5, s25, v2
	v_lshlrev_b16_e32 v6, 8, v2
	v_and_b32_e32 v5, 0x3f00, v2
	v_add_u16_e32 v6, 0xe000, v6
	v_or_b32_sdwa v5, v5, v6 dst_sel:DWORD dst_unused:UNUSED_PAD src0_sel:DWORD src1_sel:BYTE_1
	v_and_b32_sdwa v6, v2, s26 dst_sel:DWORD dst_unused:UNUSED_PAD src0_sel:WORD_1 src1_sel:DWORD
	v_lshlrev_b16_sdwa v2, v145, v2 dst_sel:DWORD dst_unused:UNUSED_PAD src0_sel:DWORD src1_sel:WORD_1
	v_add_u16_e32 v2, 0xe000, v2
	v_lshrrev_b32_e32 v3, 4, v8
	v_and_b32_e32 v4, 0x30303030, v4
	v_or_b32_sdwa v2, v6, v2 dst_sel:DWORD dst_unused:UNUSED_PAD src0_sel:DWORD src1_sel:BYTE_1
	v_add_u16_e32 v5, 0xe000, v5
	v_add_u16_sdwa v2, v2, s27 dst_sel:WORD_1 dst_unused:UNUSED_PAD src0_sel:DWORD src1_sel:DWORD
	v_and_or_b32 v4, v3, s6, v4
	v_or_b32_e32 v5, v5, v2
	v_lshlrev_b16_e32 v2, 8, v4
	v_add_u16_e32 v7, 0xe000, v2
	v_lshl_add_u64 v[2:3], v[106:107], 0, s[18:19]
	global_load_dword v8, v[2:3], off
	v_lshl_add_u64 v[2:3], v[112:113], 0, s[18:19]
	global_load_dword v9, v[2:3], off
	v_and_b32_e32 v6, 0x3f00, v4
	v_and_b32_sdwa v3, v4, s26 dst_sel:DWORD dst_unused:UNUSED_PAD src0_sel:WORD_1 src1_sel:DWORD
	v_lshlrev_b16_sdwa v4, v145, v4 dst_sel:DWORD dst_unused:UNUSED_PAD src0_sel:DWORD src1_sel:WORD_1
	v_add_u16_e32 v4, 0xe000, v4
	v_or_b32_sdwa v2, v6, v7 dst_sel:DWORD dst_unused:UNUSED_PAD src0_sel:DWORD src1_sel:BYTE_1
	v_or_b32_sdwa v3, v3, v4 dst_sel:DWORD dst_unused:UNUSED_PAD src0_sel:DWORD src1_sel:BYTE_1
	v_add_u16_e32 v2, 0xe000, v2
	v_add_u16_sdwa v3, v3, s27 dst_sel:WORD_1 dst_unused:UNUSED_PAD src0_sel:DWORD src1_sel:DWORD
	s_waitcnt vmcnt(4)
	v_ashrrev_i32_e32 v4, v140, v12
	v_or_b32_e32 v2, v2, v3
	ds_write2_b32 v46, v5, v2 offset1:16
	v_and_b32_e32 v2, 0xf0f0f0f, v11
	v_lshlrev_b32_e32 v5, 4, v4
	v_and_or_b32 v2, v5, s25, v2
	v_lshlrev_b16_e32 v6, 8, v2
	v_and_b32_e32 v5, 0x3f00, v2
	v_add_u16_e32 v6, 0xe000, v6
	v_or_b32_sdwa v5, v5, v6 dst_sel:DWORD dst_unused:UNUSED_PAD src0_sel:DWORD src1_sel:BYTE_1
	v_and_b32_sdwa v6, v2, s26 dst_sel:DWORD dst_unused:UNUSED_PAD src0_sel:WORD_1 src1_sel:DWORD
	v_lshlrev_b16_sdwa v2, v145, v2 dst_sel:DWORD dst_unused:UNUSED_PAD src0_sel:DWORD src1_sel:WORD_1
	v_lshrrev_b32_e32 v3, 4, v11
	v_and_b32_e32 v4, 0x30303030, v4
	v_add_u16_e32 v2, 0xe000, v2
	v_or_b32_sdwa v2, v6, v2 dst_sel:DWORD dst_unused:UNUSED_PAD src0_sel:DWORD src1_sel:BYTE_1
	v_and_or_b32 v4, v3, s6, v4
	v_add_u16_e32 v5, 0xe000, v5
	v_add_u16_sdwa v2, v2, s27 dst_sel:WORD_1 dst_unused:UNUSED_PAD src0_sel:DWORD src1_sel:DWORD
	v_lshlrev_b16_e32 v3, 8, v4
	v_or_b32_e32 v5, v5, v2
	v_and_b32_e32 v2, 0x3f00, v4
	v_add_u16_e32 v3, 0xe000, v3
	v_or_b32_sdwa v2, v2, v3 dst_sel:DWORD dst_unused:UNUSED_PAD src0_sel:DWORD src1_sel:BYTE_1
	v_add_u16_e32 v6, 0xe000, v2
	v_lshl_add_u64 v[2:3], v[94:95], 0, s[18:19]
	global_load_dword v7, v[2:3], off
	v_lshl_add_u64 v[2:3], v[100:101], 0, s[18:19]
	global_load_dword v11, v[2:3], off
	v_lshlrev_b16_sdwa v3, v145, v4 dst_sel:DWORD dst_unused:UNUSED_PAD src0_sel:DWORD src1_sel:WORD_1
	v_and_b32_sdwa v2, v4, s26 dst_sel:DWORD dst_unused:UNUSED_PAD src0_sel:WORD_1 src1_sel:DWORD
	v_add_u16_e32 v3, 0xe000, v3
	v_or_b32_sdwa v2, v2, v3 dst_sel:DWORD dst_unused:UNUSED_PAD src0_sel:DWORD src1_sel:BYTE_1
	v_add_u16_sdwa v2, v2, s27 dst_sel:WORD_1 dst_unused:UNUSED_PAD src0_sel:DWORD src1_sel:DWORD
	s_waitcnt vmcnt(5)
	v_lshrrev_b32_e32 v3, 4, v10
	v_or_b32_e32 v2, v6, v2
	ds_write2_b32 v48, v5, v2 offset1:16
	s_waitcnt vmcnt(4)
	v_ashrrev_i32_e32 v4, v140, v13
	v_and_b32_e32 v2, 0xf0f0f0f, v10
	v_lshlrev_b32_e32 v5, 4, v4
	v_and_or_b32 v2, v5, s25, v2
	v_lshlrev_b16_e32 v6, 8, v2
	v_and_b32_e32 v5, 0x3f00, v2
	v_add_u16_e32 v6, 0xe000, v6
	v_or_b32_sdwa v5, v5, v6 dst_sel:DWORD dst_unused:UNUSED_PAD src0_sel:DWORD src1_sel:BYTE_1
	v_and_b32_sdwa v6, v2, s26 dst_sel:DWORD dst_unused:UNUSED_PAD src0_sel:WORD_1 src1_sel:DWORD
	v_lshlrev_b16_sdwa v2, v145, v2 dst_sel:DWORD dst_unused:UNUSED_PAD src0_sel:DWORD src1_sel:WORD_1
	v_add_u16_e32 v2, 0xe000, v2
	v_or_b32_sdwa v2, v6, v2 dst_sel:DWORD dst_unused:UNUSED_PAD src0_sel:DWORD src1_sel:BYTE_1
	v_and_b32_e32 v4, 0x30303030, v4
	v_add_u16_e32 v5, 0xe000, v5
	v_add_u16_sdwa v2, v2, s27 dst_sel:WORD_1 dst_unused:UNUSED_PAD src0_sel:DWORD src1_sel:DWORD
	v_and_or_b32 v4, v3, s6, v4
	v_or_b32_e32 v5, v5, v2
	v_lshl_add_u64 v[2:3], v[82:83], 0, s[18:19]
	global_load_dword v10, v[2:3], off
	v_lshl_add_u64 v[2:3], v[88:89], 0, s[18:19]
	global_load_dword v12, v[2:3], off
	v_and_b32_e32 v6, 0x3f00, v4
	v_lshlrev_b16_e32 v2, 8, v4
	v_and_b32_sdwa v3, v4, s26 dst_sel:DWORD dst_unused:UNUSED_PAD src0_sel:WORD_1 src1_sel:DWORD
	v_lshlrev_b16_sdwa v4, v145, v4 dst_sel:DWORD dst_unused:UNUSED_PAD src0_sel:DWORD src1_sel:WORD_1
	v_add_u16_e32 v2, 0xe000, v2
	v_add_u16_e32 v4, 0xe000, v4
	v_or_b32_sdwa v2, v6, v2 dst_sel:DWORD dst_unused:UNUSED_PAD src0_sel:DWORD src1_sel:BYTE_1
	v_or_b32_sdwa v3, v3, v4 dst_sel:DWORD dst_unused:UNUSED_PAD src0_sel:DWORD src1_sel:BYTE_1
	v_add_u16_e32 v2, 0xe000, v2
	v_add_u16_sdwa v3, v3, s27 dst_sel:WORD_1 dst_unused:UNUSED_PAD src0_sel:DWORD src1_sel:DWORD
	s_waitcnt vmcnt(5)
	v_lshrrev_b32_e32 v4, 4, v8
	v_or_b32_e32 v2, v2, v3
	s_waitcnt vmcnt(4)
	v_ashrrev_i32_e32 v3, v140, v9
	ds_write2_b32 v50, v5, v2 offset1:16
	v_and_b32_e32 v2, 0xf0f0f0f, v8
	v_lshlrev_b32_e32 v5, 4, v3
	v_and_or_b32 v5, v5, s25, v2
	v_and_b32_e32 v6, 0x30303030, v3
	v_lshlrev_b16_e32 v3, 8, v5
	v_and_b32_e32 v2, 0x3f00, v5
	v_add_u16_e32 v3, 0xe000, v3
	v_or_b32_sdwa v2, v2, v3 dst_sel:DWORD dst_unused:UNUSED_PAD src0_sel:DWORD src1_sel:BYTE_1
	v_add_u16_e32 v8, 0xe000, v2
	v_lshl_add_u64 v[2:3], v[76:77], 0, s[18:19]
	global_load_ushort v13, v[2:3], off
	v_lshlrev_b16_sdwa v2, v145, v5 dst_sel:DWORD dst_unused:UNUSED_PAD src0_sel:DWORD src1_sel:WORD_1
	v_and_b32_sdwa v9, v5, s26 dst_sel:DWORD dst_unused:UNUSED_PAD src0_sel:WORD_1 src1_sel:DWORD
	v_add_u16_e32 v2, 0xe000, v2
	v_or_b32_sdwa v5, v9, v2 dst_sel:DWORD dst_unused:UNUSED_PAD src0_sel:DWORD src1_sel:BYTE_1
	v_lshl_add_u64 v[2:3], v[70:71], 0, s[18:19]
	global_load_dword v9, v[2:3], off
	v_lshl_add_u64 v[2:3], v[64:65], 0, s[18:19]
	global_load_dword v2, v[2:3], off
	v_and_or_b32 v4, v4, s6, v6
	v_add_u16_sdwa v5, v5, s27 dst_sel:WORD_1 dst_unused:UNUSED_PAD src0_sel:DWORD src1_sel:DWORD
	v_lshlrev_b16_e32 v6, 8, v4
	v_or_b32_e32 v3, v8, v5
	v_and_b32_e32 v5, 0x3f00, v4
	v_add_u16_e32 v6, 0xe000, v6
	v_or_b32_sdwa v5, v5, v6 dst_sel:DWORD dst_unused:UNUSED_PAD src0_sel:DWORD src1_sel:BYTE_1
	v_and_b32_sdwa v6, v4, s26 dst_sel:DWORD dst_unused:UNUSED_PAD src0_sel:WORD_1 src1_sel:DWORD
	v_lshlrev_b16_sdwa v4, v145, v4 dst_sel:DWORD dst_unused:UNUSED_PAD src0_sel:DWORD src1_sel:WORD_1
	v_add_u16_e32 v4, 0xe000, v4
	v_or_b32_sdwa v4, v6, v4 dst_sel:DWORD dst_unused:UNUSED_PAD src0_sel:DWORD src1_sel:BYTE_1
	v_add_u16_e32 v5, 0xe000, v5
	v_add_u16_sdwa v4, v4, s27 dst_sel:WORD_1 dst_unused:UNUSED_PAD src0_sel:DWORD src1_sel:DWORD
	s_nop 0
	v_or_b32_e32 v4, v5, v4
	ds_write2_b32 v52, v3, v4 offset1:16
	s_waitcnt vmcnt(6)
	v_and_b32_e32 v3, 0xf0f0f0f, v7
	s_waitcnt vmcnt(5)
	v_ashrrev_i32_e32 v5, v140, v11
	v_lshlrev_b32_e32 v6, 4, v5
	v_and_or_b32 v3, v6, s25, v3
	v_lshrrev_b32_e32 v4, 4, v7
	v_lshlrev_b16_e32 v7, 8, v3
	v_and_b32_e32 v6, 0x3f00, v3
	v_add_u16_e32 v7, 0xe000, v7
	v_or_b32_sdwa v6, v6, v7 dst_sel:DWORD dst_unused:UNUSED_PAD src0_sel:DWORD src1_sel:BYTE_1
	v_and_b32_sdwa v7, v3, s26 dst_sel:DWORD dst_unused:UNUSED_PAD src0_sel:WORD_1 src1_sel:DWORD
	v_lshlrev_b16_sdwa v3, v145, v3 dst_sel:DWORD dst_unused:UNUSED_PAD src0_sel:DWORD src1_sel:WORD_1
	v_add_u16_e32 v3, 0xe000, v3
	v_and_b32_e32 v5, 0x30303030, v5
	v_or_b32_sdwa v3, v7, v3 dst_sel:DWORD dst_unused:UNUSED_PAD src0_sel:DWORD src1_sel:BYTE_1
	v_add_u16_e32 v6, 0xe000, v6
	v_add_u16_sdwa v3, v3, s27 dst_sel:WORD_1 dst_unused:UNUSED_PAD src0_sel:DWORD src1_sel:DWORD
	v_and_or_b32 v4, v4, s6, v5
	v_or_b32_e32 v3, v6, v3
	v_lshlrev_b16_e32 v6, 8, v4
	v_and_b32_e32 v5, 0x3f00, v4
	v_add_u16_e32 v6, 0xe000, v6
	v_or_b32_sdwa v5, v5, v6 dst_sel:DWORD dst_unused:UNUSED_PAD src0_sel:DWORD src1_sel:BYTE_1
	v_and_b32_sdwa v6, v4, s26 dst_sel:DWORD dst_unused:UNUSED_PAD src0_sel:WORD_1 src1_sel:DWORD
	v_lshlrev_b16_sdwa v4, v145, v4 dst_sel:DWORD dst_unused:UNUSED_PAD src0_sel:DWORD src1_sel:WORD_1
	v_add_u16_e32 v4, 0xe000, v4
	v_or_b32_sdwa v4, v6, v4 dst_sel:DWORD dst_unused:UNUSED_PAD src0_sel:DWORD src1_sel:BYTE_1
	v_add_u16_e32 v5, 0xe000, v5
	v_add_u16_sdwa v4, v4, s27 dst_sel:WORD_1 dst_unused:UNUSED_PAD src0_sel:DWORD src1_sel:DWORD
	s_nop 0
	v_or_b32_e32 v4, v5, v4
	s_waitcnt vmcnt(3)
	v_ashrrev_i32_e32 v5, v140, v12
	ds_write2_b32 v54, v3, v4 offset1:16
	v_and_b32_e32 v3, 0xf0f0f0f, v10
	v_lshlrev_b32_e32 v6, 4, v5
	v_and_or_b32 v3, v6, s25, v3
	v_lshlrev_b16_e32 v7, 8, v3
	v_and_b32_e32 v6, 0x3f00, v3
	v_add_u16_e32 v7, 0xe000, v7
	v_or_b32_sdwa v6, v6, v7 dst_sel:DWORD dst_unused:UNUSED_PAD src0_sel:DWORD src1_sel:BYTE_1
	v_and_b32_sdwa v7, v3, s26 dst_sel:DWORD dst_unused:UNUSED_PAD src0_sel:WORD_1 src1_sel:DWORD
	v_lshlrev_b16_sdwa v3, v145, v3 dst_sel:DWORD dst_unused:UNUSED_PAD src0_sel:DWORD src1_sel:WORD_1
	v_add_u16_e32 v3, 0xe000, v3
	v_lshrrev_b32_e32 v4, 4, v10
	v_and_b32_e32 v5, 0x30303030, v5
	v_or_b32_sdwa v3, v7, v3 dst_sel:DWORD dst_unused:UNUSED_PAD src0_sel:DWORD src1_sel:BYTE_1
	v_add_u16_e32 v6, 0xe000, v6
	v_add_u16_sdwa v3, v3, s27 dst_sel:WORD_1 dst_unused:UNUSED_PAD src0_sel:DWORD src1_sel:DWORD
	v_and_or_b32 v4, v4, s6, v5
	v_or_b32_e32 v3, v6, v3
	v_lshlrev_b16_e32 v6, 8, v4
	v_and_b32_e32 v5, 0x3f00, v4
	v_add_u16_e32 v6, 0xe000, v6
	v_or_b32_sdwa v5, v5, v6 dst_sel:DWORD dst_unused:UNUSED_PAD src0_sel:DWORD src1_sel:BYTE_1
	v_and_b32_sdwa v6, v4, s26 dst_sel:DWORD dst_unused:UNUSED_PAD src0_sel:WORD_1 src1_sel:DWORD
	v_lshlrev_b16_sdwa v4, v145, v4 dst_sel:DWORD dst_unused:UNUSED_PAD src0_sel:DWORD src1_sel:WORD_1
	v_add_u16_e32 v4, 0xe000, v4
	v_or_b32_sdwa v4, v6, v4 dst_sel:DWORD dst_unused:UNUSED_PAD src0_sel:DWORD src1_sel:BYTE_1
	s_waitcnt vmcnt(2)
	v_cvt_f32_f16_e32 v6, v13
	v_add_u16_e32 v5, 0xe000, v5
	v_add_u16_sdwa v4, v4, s27 dst_sel:WORD_1 dst_unused:UNUSED_PAD src0_sel:DWORD src1_sel:DWORD
	s_nop 0
	v_or_b32_e32 v4, v5, v4
	ds_write2_b32 v56, v3, v4 offset1:16
	ds_write_b32 v29, v6
	s_waitcnt vmcnt(1)
	ds_write_b32 v143, v9
	s_waitcnt vmcnt(0)
	ds_write_b32 v144, v2
	s_cbranch_scc0 .LBB196_5
; %bb.7:                                ;   in Loop: Header=BB196_6 Depth=1
	v_cmp_gt_i32_e64 s[2:3], s8, v35
	s_and_b64 s[22:23], s[0:1], s[2:3]
	s_and_saveexec_b64 s[2:3], s[22:23]
	s_cbranch_execz .LBB196_9
; %bb.8:                                ;   in Loop: Header=BB196_6 Depth=1
	v_add_u32_e32 v2, v60, v35
	v_mad_i64_i32 v[2:3], s[22:23], v2, 36, v[58:59]
	global_load_dword v2, v[2:3], off offset:4
	s_waitcnt vmcnt(0)
	ds_write_b32 v31, v2
.LBB196_9:                              ;   in Loop: Header=BB196_6 Depth=1
	s_or_b64 exec, exec, s[2:3]
	s_and_saveexec_b64 s[22:23], vcc
	s_cbranch_execz .LBB196_12
; %bb.10:                               ;   in Loop: Header=BB196_6 Depth=1
	v_cmp_gt_i32_e64 s[2:3], s8, v24
	s_and_b64 s[2:3], s[0:1], s[2:3]
	s_and_b64 exec, exec, s[2:3]
	s_cbranch_execz .LBB196_12
; %bb.11:                               ;   in Loop: Header=BB196_6 Depth=1
	v_add_u32_e32 v2, v60, v24
	v_mad_i64_i32 v[2:3], s[2:3], v2, 36, s[14:15]
	global_load_dword v2, v[2:3], off
	s_waitcnt vmcnt(0)
	v_cvt_f32_f16_e32 v2, v2
	ds_write_b32 v33, v2
.LBB196_12:                             ;   in Loop: Header=BB196_6 Depth=1
	s_or_b64 exec, exec, s[22:23]
	s_waitcnt lgkmcnt(0)
	s_barrier
	ds_read_b128 v[6:9], v37
	ds_read_b128 v[10:13], v37 offset:16
	ds_read_b128 v[14:17], v37 offset:32
	;; [unrolled: 1-line block ×3, first 2 shown]
	ds_read_b32 v25, v45
	ds_read2_b32 v[132:133], v43 offset0:6 offset1:7
	ds_read2_b32 v[136:137], v43 offset0:4 offset1:5
	;; [unrolled: 1-line block ×3, first 2 shown]
	ds_read2_b32 v[146:147], v43 offset1:1
	ds_read2_b32 v[148:149], v43 offset0:14 offset1:15
	ds_read2_b32 v[150:151], v43 offset0:12 offset1:13
	ds_read_b128 v[2:5], v39 offset:36944
	ds_read2_b32 v[134:135], v41 offset1:1
	v_mov_b32_e32 v156, 0
	ds_read2_b32 v[152:153], v43 offset0:10 offset1:11
	ds_read2_b32 v[154:155], v43 offset0:8 offset1:9
	s_waitcnt lgkmcnt(4)
	v_dot4c_i32_i8_e32 v156, v150, v18
	v_dot4c_i32_i8_e32 v156, v151, v19
	;; [unrolled: 1-line block ×4, first 2 shown]
	v_mov_b32_e32 v149, 0
	v_dot4c_i32_i8_e32 v149, v136, v10
	v_dot4c_i32_i8_e32 v149, v137, v11
	;; [unrolled: 1-line block ×4, first 2 shown]
	v_mov_b32_e32 v133, 0
	v_dot4c_i32_i8_e32 v133, v146, v6
	v_dot4c_i32_i8_e32 v133, v147, v7
	s_waitcnt lgkmcnt(2)
	v_bfe_i32 v132, v134, 8, 8
	v_dot4c_i32_i8_e32 v133, v138, v8
	v_mul_lo_u32 v132, v149, v132
	v_dot4c_i32_i8_e32 v133, v139, v9
	v_bfe_i32 v136, v134, 0, 8
	v_mov_b32_e32 v148, 0
	s_waitcnt lgkmcnt(0)
	v_dot4c_i32_i8_e32 v148, v154, v14
	v_mad_u64_u32 v[132:133], s[2:3], v133, v136, v[132:133]
	v_cvt_f32_i32_e32 v132, v132
	v_dot4c_i32_i8_e32 v148, v155, v15
	v_dot4c_i32_i8_e32 v148, v152, v16
	;; [unrolled: 1-line block ×3, first 2 shown]
	v_fma_f32 v160, v2, v132, 0
	v_ashrrev_i32_e32 v132, 24, v134
	v_bfe_i32 v133, v134, 16, 8
	v_mul_lo_u32 v132, v156, v132
	v_mad_u64_u32 v[132:133], s[2:3], v148, v133, v[132:133]
	v_add_u32_e32 v136, 0x2090, v43
	v_add_u32_e32 v146, 0x2088, v43
	;; [unrolled: 1-line block ×5, first 2 shown]
	v_cvt_f32_i32_e32 v161, v132
	ds_read2_b32 v[132:133], v53 offset1:1
	ds_read_b32 v164, v51 offset:128
	ds_read2_b32 v[138:139], v49 offset1:1
	ds_read2_b32 v[136:137], v136 offset1:1
	;; [unrolled: 1-line block ×6, first 2 shown]
	v_mov_b32_e32 v162, 0
	v_add_u32_e32 v134, 0x2098, v43
	v_add_u32_e32 v154, 0x20a8, v43
	;; [unrolled: 1-line block ×3, first 2 shown]
	s_waitcnt lgkmcnt(0)
	v_dot4c_i32_i8_e32 v162, v152, v18
	v_dot4c_i32_i8_e32 v162, v153, v19
	v_add_u32_e32 v158, 0x4118, v43
	v_dot4c_i32_i8_e32 v162, v150, v20
	ds_read2_b32 v[154:155], v154 offset1:1
	ds_read2_b32 v[156:157], v156 offset1:1
	;; [unrolled: 1-line block ×3, first 2 shown]
	v_dot4c_i32_i8_e32 v162, v151, v21
	ds_read2_b32 v[150:151], v134 offset1:1
	v_mov_b32_e32 v153, 0
	v_dot4c_i32_i8_e32 v153, v136, v10
	v_dot4c_i32_i8_e32 v153, v137, v11
	v_mov_b32_e32 v137, 0
	v_dot4c_i32_i8_e32 v137, v148, v6
	s_waitcnt lgkmcnt(0)
	v_dot4c_i32_i8_e32 v153, v150, v12
	v_dot4c_i32_i8_e32 v137, v149, v7
	v_mov_b32_e32 v152, 0
	v_dot4c_i32_i8_e32 v153, v151, v13
	v_bfe_i32 v136, v138, 8, 8
	v_dot4c_i32_i8_e32 v137, v146, v8
	v_dot4c_i32_i8_e32 v152, v156, v14
	v_mul_lo_u32 v136, v153, v136
	v_dot4c_i32_i8_e32 v137, v147, v9
	v_bfe_i32 v146, v138, 0, 8
	v_dot4c_i32_i8_e32 v152, v157, v15
	v_dot4c_i32_i8_e32 v152, v154, v16
	v_mad_u64_u32 v[136:137], s[2:3], v137, v146, v[136:137]
	v_cvt_f32_i32_e32 v146, v136
	v_ashrrev_i32_e32 v136, 24, v138
	v_dot4c_i32_i8_e32 v152, v155, v17
	v_bfe_i32 v137, v138, 16, 8
	v_mul_lo_u32 v136, v162, v136
	v_add_u32_e32 v148, 0x4100, v43
	v_mad_u64_u32 v[136:137], s[2:3], v152, v137, v[136:137]
	v_cvt_f32_i32_e32 v136, v136
	v_fma_f32 v137, v2, v146, 0
	v_add_u32_e32 v146, 0x4108, v43
	v_add_u32_e32 v150, 0x4138, v43
	v_fmac_f32_e32 v137, v3, v136
	v_add_u32_e32 v136, 0x4110, v43
	v_add_u32_e32 v152, 0x4130, v43
	ds_read_b32 v134, v141 offset:384
	ds_read_b32 v138, v55 offset:256
	v_fmac_f32_e32 v142, v164, v137
	ds_read2_b32 v[136:137], v136 offset1:1
	ds_read2_b32 v[146:147], v146 offset1:1
	;; [unrolled: 1-line block ×5, first 2 shown]
	v_mov_b32_e32 v162, 0
	v_fmac_f32_e32 v160, v3, v161
	v_fmac_f32_e32 v23, v25, v160
	v_add_u32_e32 v154, 0x4128, v43
	s_waitcnt lgkmcnt(0)
	v_dot4c_i32_i8_e32 v162, v152, v18
	v_dot4c_i32_i8_e32 v162, v153, v19
	;; [unrolled: 1-line block ×4, first 2 shown]
	v_mov_b32_e32 v151, 0
	v_dot4c_i32_i8_e32 v151, v136, v10
	v_dot4c_i32_i8_e32 v151, v137, v11
	v_mov_b32_e32 v137, 0
	v_dot4c_i32_i8_e32 v137, v148, v6
	v_dot4c_i32_i8_e32 v151, v158, v12
	;; [unrolled: 1-line block ×3, first 2 shown]
	v_add_u32_e32 v156, 0x4120, v43
	v_add_u32_e32 v160, 0x6198, v43
	v_dot4c_i32_i8_e32 v151, v159, v13
	v_bfe_i32 v136, v132, 8, 8
	v_dot4c_i32_i8_e32 v137, v146, v8
	ds_read2_b32 v[154:155], v154 offset1:1
	ds_read2_b32 v[156:157], v156 offset1:1
	;; [unrolled: 1-line block ×3, first 2 shown]
	v_mul_lo_u32 v136, v151, v136
	v_dot4c_i32_i8_e32 v137, v147, v9
	v_bfe_i32 v146, v132, 0, 8
	v_mov_b32_e32 v150, 0
	s_waitcnt lgkmcnt(1)
	v_dot4c_i32_i8_e32 v150, v156, v14
	v_mad_u64_u32 v[136:137], s[2:3], v137, v146, v[136:137]
	v_cvt_f32_i32_e32 v136, v136
	v_dot4c_i32_i8_e32 v150, v157, v15
	v_dot4c_i32_i8_e32 v150, v154, v16
	;; [unrolled: 1-line block ×3, first 2 shown]
	v_fma_f32 v165, v2, v136, 0
	v_bfe_i32 v136, v132, 16, 8
	v_ashrrev_i32_e32 v132, 24, v132
	v_mul_lo_u32 v132, v162, v132
	v_mad_u64_u32 v[136:137], s[2:3], v150, v136, v[132:133]
	v_add_u32_e32 v146, 0x6190, v43
	v_add_u32_e32 v148, 0x6188, v43
	;; [unrolled: 1-line block ×5, first 2 shown]
	v_cvt_f32_i32_e32 v132, v136
	ds_read2_b32 v[136:137], v57 offset1:1
	ds_read2_b32 v[146:147], v146 offset1:1
	ds_read2_b32 v[148:149], v148 offset1:1
	ds_read2_b32 v[150:151], v150 offset1:1
	ds_read2_b32 v[152:153], v152 offset1:1
	ds_read2_b32 v[154:155], v154 offset1:1
	v_add_u32_e32 v156, 0x61a8, v43
	v_add_u32_e32 v158, 0x61a0, v43
	v_add_u32_e32 v162, 0x20d8, v43
	ds_read2_b32 v[156:157], v156 offset1:1
	ds_read2_b32 v[158:159], v158 offset1:1
	;; [unrolled: 1-line block ×3, first 2 shown]
	v_mov_b32_e32 v166, 0
	s_waitcnt lgkmcnt(3)
	v_dot4c_i32_i8_e32 v166, v154, v18
	v_mov_b32_e32 v18, 0
	s_waitcnt lgkmcnt(1)
	v_dot4c_i32_i8_e32 v18, v158, v14
	v_mov_b32_e32 v14, 0
	v_dot4c_i32_i8_e32 v14, v146, v10
	v_dot4c_i32_i8_e32 v14, v147, v11
	v_mov_b32_e32 v11, 0
	v_dot4c_i32_i8_e32 v11, v150, v6
	v_dot4c_i32_i8_e32 v14, v160, v12
	;; [unrolled: 1-line block ×4, first 2 shown]
	v_bfe_i32 v10, v136, 8, 8
	v_dot4c_i32_i8_e32 v11, v148, v8
	v_dot4c_i32_i8_e32 v166, v155, v19
	v_mul_lo_u32 v10, v14, v10
	v_dot4c_i32_i8_e32 v11, v149, v9
	v_bfe_i32 v6, v136, 0, 8
	v_dot4c_i32_i8_e32 v166, v152, v20
	v_dot4c_i32_i8_e32 v18, v159, v15
	v_mad_u64_u32 v[6:7], s[2:3], v11, v6, v[10:11]
	v_dot4c_i32_i8_e32 v166, v153, v21
	v_dot4c_i32_i8_e32 v18, v156, v16
	v_cvt_f32_i32_e32 v8, v6
	v_ashrrev_i32_e32 v6, 24, v136
	v_dot4c_i32_i8_e32 v18, v157, v17
	v_bfe_i32 v7, v136, 16, 8
	v_mul_lo_u32 v6, v166, v6
	v_fma_f32 v2, v2, v8, 0
	v_mad_u64_u32 v[6:7], s[2:3], v18, v7, v[6:7]
	v_cvt_f32_i32_e32 v6, v6
	v_fmac_f32_e32 v165, v3, v132
	v_mov_b32_e32 v132, 0
	v_mov_b32_e32 v136, 0
	v_fmac_f32_e32 v2, v3, v6
	v_fmac_f32_e32 v27, v134, v2
	ds_read_b128 v[10:13], v37 offset:80
	ds_read_b128 v[6:9], v37 offset:64
	;; [unrolled: 1-line block ×4, first 2 shown]
	ds_read2_b32 v[2:3], v43 offset0:30 offset1:31
	ds_read2_b32 v[146:147], v43 offset0:28 offset1:29
	;; [unrolled: 1-line block ×6, first 2 shown]
	s_waitcnt lgkmcnt(4)
	v_dot4c_i32_i8_e32 v132, v146, v18
	v_dot4c_i32_i8_e32 v132, v147, v19
	;; [unrolled: 1-line block ×3, first 2 shown]
	v_mov_b32_e32 v2, 0
	s_waitcnt lgkmcnt(2)
	v_dot4c_i32_i8_e32 v2, v150, v10
	v_dot4c_i32_i8_e32 v2, v151, v11
	;; [unrolled: 1-line block ×5, first 2 shown]
	v_bfe_i32 v3, v135, 8, 8
	ds_read2_b32 v[156:157], v43 offset0:26 offset1:27
	ds_read2_b32 v[158:159], v43 offset0:24 offset1:25
	v_mul_lo_u32 v2, v2, v3
	v_mov_b32_e32 v3, 0
	s_waitcnt lgkmcnt(2)
	v_dot4c_i32_i8_e32 v3, v154, v6
	v_dot4c_i32_i8_e32 v3, v155, v7
	;; [unrolled: 1-line block ×4, first 2 shown]
	v_bfe_i32 v146, v135, 0, 8
	s_waitcnt lgkmcnt(0)
	v_dot4c_i32_i8_e32 v136, v158, v14
	v_dot4c_i32_i8_e32 v136, v159, v15
	v_mad_u64_u32 v[2:3], s[2:3], v3, v146, v[2:3]
	v_cvt_f32_i32_e32 v2, v2
	v_dot4c_i32_i8_e32 v136, v156, v16
	v_dot4c_i32_i8_e32 v136, v157, v17
	v_bfe_i32 v3, v135, 16, 8
	v_fma_f32 v160, v4, v2, 0
	v_ashrrev_i32_e32 v2, 24, v135
	v_mul_lo_u32 v2, v132, v2
	v_mad_u64_u32 v[2:3], s[2:3], v136, v3, v[2:3]
	v_cvt_f32_i32_e32 v132, v2
	v_add_u32_e32 v2, 0x20d0, v43
	v_add_u32_e32 v135, 0x20c8, v43
	;; [unrolled: 1-line block ×4, first 2 shown]
	ds_read2_b32 v[2:3], v2 offset1:1
	ds_read2_b32 v[146:147], v135 offset1:1
	;; [unrolled: 1-line block ×4, first 2 shown]
	v_add_u32_e32 v135, 0x20f0, v43
	ds_read2_b32 v[152:153], v135 offset1:1
	v_mov_b32_e32 v136, 0
	v_add_u32_e32 v154, 0x20e8, v43
	v_add_u32_e32 v156, 0x20e0, v43
	;; [unrolled: 1-line block ×3, first 2 shown]
	s_waitcnt lgkmcnt(0)
	v_dot4c_i32_i8_e32 v136, v152, v18
	v_dot4c_i32_i8_e32 v136, v153, v19
	;; [unrolled: 1-line block ×3, first 2 shown]
	v_mov_b32_e32 v150, 0
	v_dot4c_i32_i8_e32 v150, v2, v10
	ds_read2_b32 v[154:155], v154 offset1:1
	ds_read2_b32 v[156:157], v156 offset1:1
	;; [unrolled: 1-line block ×3, first 2 shown]
	v_dot4c_i32_i8_e32 v150, v3, v11
	v_mov_b32_e32 v3, 0
	v_dot4c_i32_i8_e32 v3, v148, v6
	v_dot4c_i32_i8_e32 v150, v162, v12
	;; [unrolled: 1-line block ×3, first 2 shown]
	v_mov_b32_e32 v135, 0
	v_dot4c_i32_i8_e32 v150, v163, v13
	v_bfe_i32 v2, v139, 8, 8
	v_dot4c_i32_i8_e32 v3, v146, v8
	s_waitcnt lgkmcnt(1)
	v_dot4c_i32_i8_e32 v135, v156, v14
	v_mul_lo_u32 v2, v150, v2
	v_dot4c_i32_i8_e32 v3, v147, v9
	v_bfe_i32 v146, v139, 0, 8
	v_dot4c_i32_i8_e32 v135, v157, v15
	v_dot4c_i32_i8_e32 v136, v151, v21
	v_mad_u64_u32 v[2:3], s[2:3], v3, v146, v[2:3]
	v_dot4c_i32_i8_e32 v135, v154, v16
	v_cvt_f32_i32_e32 v146, v2
	v_ashrrev_i32_e32 v2, 24, v139
	v_dot4c_i32_i8_e32 v135, v155, v17
	v_bfe_i32 v3, v139, 16, 8
	v_mul_lo_u32 v2, v136, v2
	v_fmac_f32_e32 v160, v5, v132
	v_mad_u64_u32 v[2:3], s[2:3], v135, v3, v[2:3]
	v_cvt_f32_i32_e32 v2, v2
	v_fma_f32 v3, v4, v146, 0
	v_fmac_f32_e32 v23, v25, v160
	v_add_u32_e32 v25, 0x4148, v43
	v_fmac_f32_e32 v3, v5, v2
	v_add_u32_e32 v2, 0x4150, v43
	v_add_u32_e32 v135, 0x4178, v43
	v_fmac_f32_e32 v142, v164, v3
	v_add_u32_e32 v132, 0x4140, v43
	ds_read2_b32 v[2:3], v2 offset1:1
	ds_read2_b32 v[146:147], v25 offset1:1
	;; [unrolled: 1-line block ×4, first 2 shown]
	v_add_u32_e32 v25, 0x4170, v43
	v_add_u32_e32 v135, 0x4168, v43
	;; [unrolled: 1-line block ×3, first 2 shown]
	ds_read2_b32 v[152:153], v25 offset1:1
	v_add_u32_e32 v25, 0x61d8, v43
	ds_read2_b32 v[154:155], v135 offset1:1
	ds_read2_b32 v[156:157], v136 offset1:1
	;; [unrolled: 1-line block ×3, first 2 shown]
	v_mov_b32_e32 v135, 0
	s_waitcnt lgkmcnt(7)
	v_dot4c_i32_i8_e32 v135, v2, v10
	v_dot4c_i32_i8_e32 v135, v3, v11
	v_mov_b32_e32 v3, 0
	s_waitcnt lgkmcnt(5)
	v_dot4c_i32_i8_e32 v3, v148, v6
	v_dot4c_i32_i8_e32 v135, v158, v12
	;; [unrolled: 1-line block ×4, first 2 shown]
	v_bfe_i32 v2, v133, 8, 8
	v_dot4c_i32_i8_e32 v3, v146, v8
	v_dot4c_i32_i8_e32 v3, v147, v9
	v_mul_lo_u32 v2, v135, v2
	v_bfe_i32 v135, v133, 0, 8
	v_mov_b32_e32 v132, 0
	v_mad_u64_u32 v[2:3], s[2:3], v3, v135, v[2:3]
	v_cvt_f32_i32_e32 v2, v2
	s_waitcnt lgkmcnt(3)
	v_dot4c_i32_i8_e32 v132, v152, v18
	v_mov_b32_e32 v25, 0
	v_dot4c_i32_i8_e32 v132, v153, v19
	s_waitcnt lgkmcnt(1)
	v_dot4c_i32_i8_e32 v25, v156, v14
	v_dot4c_i32_i8_e32 v132, v150, v20
	;; [unrolled: 1-line block ×5, first 2 shown]
	v_fma_f32 v135, v4, v2, 0
	v_ashrrev_i32_e32 v2, 24, v133
	v_dot4c_i32_i8_e32 v25, v155, v17
	v_bfe_i32 v3, v133, 16, 8
	v_mul_lo_u32 v2, v132, v2
	v_add_u32_e32 v132, 0x61c8, v43
	v_mad_u64_u32 v[2:3], s[2:3], v25, v3, v[2:3]
	v_cvt_f32_i32_e32 v25, v2
	v_add_u32_e32 v2, 0x61d0, v43
	v_add_u32_e32 v136, 0x61c0, v43
	;; [unrolled: 1-line block ×3, first 2 shown]
	ds_read2_b32 v[2:3], v2 offset1:1
	ds_read2_b32 v[132:133], v132 offset1:1
	;; [unrolled: 1-line block ×4, first 2 shown]
	v_add_u32_e32 v136, 0x61f0, v43
	ds_read2_b32 v[150:151], v136 offset1:1
	v_add_u32_e32 v136, 0x61e8, v43
	v_add_u32_e32 v154, 0x61e0, v43
	ds_read2_b32 v[152:153], v136 offset1:1
	ds_read2_b32 v[154:155], v154 offset1:1
	v_mov_b32_e32 v139, 0
	s_waitcnt lgkmcnt(2)
	v_dot4c_i32_i8_e32 v139, v150, v18
	v_mov_b32_e32 v18, 0
	v_dot4c_i32_i8_e32 v139, v151, v19
	s_waitcnt lgkmcnt(0)
	v_dot4c_i32_i8_e32 v18, v154, v14
	v_mov_b32_e32 v14, 0
	v_dot4c_i32_i8_e32 v14, v2, v10
	v_dot4c_i32_i8_e32 v14, v3, v11
	v_mov_b32_e32 v3, 0
	v_dot4c_i32_i8_e32 v3, v146, v6
	v_dot4c_i32_i8_e32 v14, v160, v12
	;; [unrolled: 1-line block ×4, first 2 shown]
	v_bfe_i32 v2, v137, 8, 8
	v_dot4c_i32_i8_e32 v3, v132, v8
	v_dot4c_i32_i8_e32 v3, v133, v9
	v_mul_lo_u32 v2, v14, v2
	v_bfe_i32 v6, v137, 0, 8
	v_dot4c_i32_i8_e32 v139, v148, v20
	v_dot4c_i32_i8_e32 v18, v155, v15
	v_mad_u64_u32 v[2:3], s[2:3], v3, v6, v[2:3]
	v_dot4c_i32_i8_e32 v139, v149, v21
	v_dot4c_i32_i8_e32 v18, v152, v16
	v_cvt_f32_i32_e32 v6, v2
	v_ashrrev_i32_e32 v2, 24, v137
	v_dot4c_i32_i8_e32 v18, v153, v17
	v_bfe_i32 v3, v137, 16, 8
	v_mul_lo_u32 v2, v139, v2
	v_fmac_f32_e32 v22, v138, v165
	v_mad_u64_u32 v[2:3], s[2:3], v18, v3, v[2:3]
	v_cvt_f32_i32_e32 v2, v2
	v_fma_f32 v3, v4, v6, 0
	v_fmac_f32_e32 v135, v5, v25
	v_fmac_f32_e32 v22, v138, v135
	;; [unrolled: 1-line block ×4, first 2 shown]
	s_cmp_ge_i32 s4, s5
	s_barrier
	s_cbranch_scc1 .LBB196_5
; %bb.13:                               ;   in Loop: Header=BB196_6 Depth=1
	v_cmp_gt_i32_e64 s[2:3], s8, v47
	s_and_b64 s[22:23], s[0:1], s[2:3]
	s_and_saveexec_b64 s[2:3], s[22:23]
	s_cbranch_execz .LBB196_15
; %bb.14:                               ;   in Loop: Header=BB196_6 Depth=1
	v_add_u32_e32 v2, v60, v47
	v_mad_i64_i32 v[2:3], s[22:23], v2, 36, v[58:59]
	global_load_dword v2, v[2:3], off offset:4
	s_waitcnt vmcnt(0)
	ds_write_b32 v31, v2
.LBB196_15:                             ;   in Loop: Header=BB196_6 Depth=1
	s_or_b64 exec, exec, s[2:3]
	s_and_saveexec_b64 s[22:23], vcc
	s_cbranch_execz .LBB196_4
; %bb.16:                               ;   in Loop: Header=BB196_6 Depth=1
	v_add_u32_e32 v2, 4, v24
	v_cmp_gt_i32_e64 s[2:3], s8, v2
	s_and_b64 s[2:3], s[0:1], s[2:3]
	s_and_b64 exec, exec, s[2:3]
	s_cbranch_execz .LBB196_4
; %bb.17:                               ;   in Loop: Header=BB196_6 Depth=1
	v_ashrrev_i32_e32 v25, 31, v24
	v_lshl_add_u64 v[2:3], v[60:61], 0, v[24:25]
	v_mad_u64_u32 v[4:5], s[2:3], v2, 36, s[20:21]
	v_mad_i32_i24 v5, v3, 36, v5
	global_load_dword v2, v[4:5], off
	s_waitcnt vmcnt(0)
	v_cvt_f32_f16_e32 v2, v2
	ds_write_b32 v33, v2
	s_branch .LBB196_4
.LBB196_18:
	v_mov_b32_e32 v22, 0
	v_mov_b32_e32 v142, 0
	;; [unrolled: 1-line block ×3, first 2 shown]
.LBB196_19:
	s_mul_i32 s0, s10, s7
	s_waitcnt vmcnt(0)
	v_cmp_gt_i32_e32 vcc, s0, v1
	s_and_saveexec_b64 s[0:1], vcc
	s_cbranch_execz .LBB196_28
; %bb.20:
	v_and_b32_e32 v0, 0x3ff, v0
	v_add_u32_e32 v2, s11, v0
	v_mul_lo_u32 v0, v1, s9
	v_cmp_gt_u32_e32 vcc, s9, v2
	s_and_saveexec_b64 s[0:1], vcc
	s_cbranch_execz .LBB196_22
; %bb.21:
	v_add_u32_e32 v4, v0, v2
	v_mov_b32_e32 v5, 0
	v_lshl_add_u64 v[4:5], v[4:5], 2, s[16:17]
	global_store_dword v[4:5], v23, off
.LBB196_22:
	s_or_b64 exec, exec, s[0:1]
	v_add_u32_e32 v1, 32, v2
	v_cmp_gt_u32_e32 vcc, s9, v1
	s_and_saveexec_b64 s[0:1], vcc
	s_cbranch_execz .LBB196_24
; %bb.23:
	v_add_u32_e32 v4, v0, v1
	v_mov_b32_e32 v5, 0
	v_lshl_add_u64 v[4:5], v[4:5], 2, s[16:17]
	global_store_dword v[4:5], v142, off
.LBB196_24:
	s_or_b64 exec, exec, s[0:1]
	v_add_u32_e32 v1, 64, v2
	;; [unrolled: 11-line block ×3, first 2 shown]
	v_cmp_gt_u32_e32 vcc, s9, v1
	s_and_b64 exec, exec, vcc
	s_cbranch_execz .LBB196_28
; %bb.27:
	v_add_u32_e32 v0, v0, v1
	v_mov_b32_e32 v1, 0
	v_lshl_add_u64 v[0:1], v[0:1], 2, s[16:17]
	global_store_dword v[0:1], v27, off
.LBB196_28:
	s_endpgm
	.section	.rodata,"a",@progbits
	.p2align	6, 0x0
	.amdhsa_kernel _ZL8moe_q6_KIfLb1EEvPKvS1_PT_PKiS5_S5_iiiiiii
		.amdhsa_group_segment_fixed_size 37072
		.amdhsa_private_segment_fixed_size 0
		.amdhsa_kernarg_size 76
		.amdhsa_user_sgpr_count 2
		.amdhsa_user_sgpr_dispatch_ptr 0
		.amdhsa_user_sgpr_queue_ptr 0
		.amdhsa_user_sgpr_kernarg_segment_ptr 1
		.amdhsa_user_sgpr_dispatch_id 0
		.amdhsa_user_sgpr_kernarg_preload_length 0
		.amdhsa_user_sgpr_kernarg_preload_offset 0
		.amdhsa_user_sgpr_private_segment_size 0
		.amdhsa_uses_dynamic_stack 0
		.amdhsa_enable_private_segment 0
		.amdhsa_system_sgpr_workgroup_id_x 1
		.amdhsa_system_sgpr_workgroup_id_y 1
		.amdhsa_system_sgpr_workgroup_id_z 0
		.amdhsa_system_sgpr_workgroup_info 0
		.amdhsa_system_vgpr_workitem_id 1
		.amdhsa_next_free_vgpr 167
		.amdhsa_next_free_sgpr 30
		.amdhsa_accum_offset 168
		.amdhsa_reserve_vcc 1
		.amdhsa_float_round_mode_32 0
		.amdhsa_float_round_mode_16_64 0
		.amdhsa_float_denorm_mode_32 3
		.amdhsa_float_denorm_mode_16_64 3
		.amdhsa_dx10_clamp 1
		.amdhsa_ieee_mode 1
		.amdhsa_fp16_overflow 0
		.amdhsa_tg_split 0
		.amdhsa_exception_fp_ieee_invalid_op 0
		.amdhsa_exception_fp_denorm_src 0
		.amdhsa_exception_fp_ieee_div_zero 0
		.amdhsa_exception_fp_ieee_overflow 0
		.amdhsa_exception_fp_ieee_underflow 0
		.amdhsa_exception_fp_ieee_inexact 0
		.amdhsa_exception_int_div_zero 0
	.end_amdhsa_kernel
	.section	.text._ZL8moe_q6_KIfLb1EEvPKvS1_PT_PKiS5_S5_iiiiiii,"axG",@progbits,_ZL8moe_q6_KIfLb1EEvPKvS1_PT_PKiS5_S5_iiiiiii,comdat
.Lfunc_end196:
	.size	_ZL8moe_q6_KIfLb1EEvPKvS1_PT_PKiS5_S5_iiiiiii, .Lfunc_end196-_ZL8moe_q6_KIfLb1EEvPKvS1_PT_PKiS5_S5_iiiiiii
                                        ; -- End function
	.section	.AMDGPU.csdata,"",@progbits
; Kernel info:
; codeLenInByte = 12264
; NumSgprs: 36
; NumVgprs: 167
; NumAgprs: 0
; TotalNumVgprs: 167
; ScratchSize: 0
; MemoryBound: 0
; FloatMode: 240
; IeeeMode: 1
; LDSByteSize: 37072 bytes/workgroup (compile time only)
; SGPRBlocks: 4
; VGPRBlocks: 20
; NumSGPRsForWavesPerEU: 36
; NumVGPRsForWavesPerEU: 167
; AccumOffset: 168
; Occupancy: 1
; WaveLimiterHint : 1
; COMPUTE_PGM_RSRC2:SCRATCH_EN: 0
; COMPUTE_PGM_RSRC2:USER_SGPR: 2
; COMPUTE_PGM_RSRC2:TRAP_HANDLER: 0
; COMPUTE_PGM_RSRC2:TGID_X_EN: 1
; COMPUTE_PGM_RSRC2:TGID_Y_EN: 1
; COMPUTE_PGM_RSRC2:TGID_Z_EN: 0
; COMPUTE_PGM_RSRC2:TIDIG_COMP_CNT: 1
; COMPUTE_PGM_RSRC3_GFX90A:ACCUM_OFFSET: 41
; COMPUTE_PGM_RSRC3_GFX90A:TG_SPLIT: 0
	.section	.text._ZL8moe_q4_0IN3c104HalfELb0EEvPKvS3_PT_PKiS7_S7_iiiiiii,"axG",@progbits,_ZL8moe_q4_0IN3c104HalfELb0EEvPKvS3_PT_PKiS7_S7_iiiiiii,comdat
	.globl	_ZL8moe_q4_0IN3c104HalfELb0EEvPKvS3_PT_PKiS7_S7_iiiiiii ; -- Begin function _ZL8moe_q4_0IN3c104HalfELb0EEvPKvS3_PT_PKiS7_S7_iiiiiii
	.p2align	8
	.type	_ZL8moe_q4_0IN3c104HalfELb0EEvPKvS3_PT_PKiS7_S7_iiiiiii,@function
_ZL8moe_q4_0IN3c104HalfELb0EEvPKvS3_PT_PKiS7_S7_iiiiiii: ; @_ZL8moe_q4_0IN3c104HalfELb0EEvPKvS3_PT_PKiS7_S7_iiiiiii
; %bb.0:
	s_load_dwordx4 s[4:7], s[0:1], 0x18
	s_mov_b32 s8, s3
	s_mov_b32 s9, 0
	s_lshl_b64 s[10:11], s[8:9], 2
	s_waitcnt lgkmcnt(0)
	s_add_u32 s6, s6, s10
	s_addc_u32 s7, s7, s11
	s_load_dword s3, s[6:7], 0x0
	s_waitcnt lgkmcnt(0)
	s_cmpk_gt_u32 s3, 0xff
	s_cbranch_scc1 .LBB197_19
; %bb.1:
	s_load_dwordx2 s[6:7], s[0:1], 0x28
	s_waitcnt lgkmcnt(0)
	s_load_dword s7, s[6:7], 0x0
	s_lshl_b32 s6, s8, 3
	s_waitcnt lgkmcnt(0)
	s_cmp_gt_u32 s6, s7
	s_cbranch_scc1 .LBB197_19
; %bb.2:
	v_bfe_u32 v4, v0, 10, 10
	v_mov_b32_e32 v6, s4
	v_mov_b32_e32 v7, s5
	v_add_u32_e32 v2, s6, v4
	v_mov_b32_e32 v3, 0
	v_lshl_add_u64 v[6:7], v[2:3], 2, v[6:7]
	global_load_dword v1, v[6:7], off
	s_load_dwordx2 s[14:15], s[0:1], 0x30
	s_load_dwordx2 s[12:13], s[0:1], 0x10
	s_load_dwordx4 s[4:7], s[0:1], 0x3c
	s_lshl_b32 s24, s2, 7
	s_waitcnt lgkmcnt(0)
	s_cmp_lt_i32 s15, 32
	s_cbranch_scc1 .LBB197_18
; %bb.3:
	s_load_dwordx4 s[8:11], s[0:1], 0x0
	s_ashr_i32 s0, s15, 31
	s_ashr_i32 s1, s5, 31
	s_lshr_b32 s0, s0, 27
	s_lshr_b32 s1, s1, 27
	s_add_i32 s0, s15, s0
	s_add_i32 s1, s5, s1
	v_and_b32_e32 v22, 0x3ff, v0
	s_ashr_i32 s25, s0, 5
	s_ashr_i32 s5, s1, 5
	v_lshlrev_b32_e32 v5, 2, v22
	s_movk_i32 s1, 0x84
	v_mul_lo_u32 v11, s25, v4
	v_mad_u32_u24 v82, v4, s1, v5
	s_lshl_b32 s1, s25, 3
	v_add_u32_e32 v12, s1, v11
	v_add_u32_e32 v13, s1, v12
	;; [unrolled: 1-line block ×13, first 2 shown]
	v_lshlrev_b32_e32 v8, 2, v4
	v_lshrrev_b32_e32 v98, 3, v22
	v_add_u32_e32 v56, s1, v54
	v_and_b32_e32 v66, 7, v22
	v_add_u32_e32 v6, v98, v8
	v_add_u32_e32 v58, s1, v56
	v_and_b32_e32 v7, 0x1ffc, v6
	v_lshlrev_b32_e32 v9, 2, v66
	s_movk_i32 s1, 0x4200
	v_add3_u32 v70, v7, v9, s1
	v_add_u32_e32 v7, 32, v6
	v_mul_lo_u32 v60, s25, v6
	v_lshlrev_b32_e32 v71, 5, v6
	v_and_b32_e32 v23, 0x3ffc, v7
	v_lshlrev_b32_e32 v73, 5, v7
	v_add_u32_e32 v7, 64, v6
	v_add_u32_e32 v6, 0x60, v6
	v_mov_b32_e32 v3, 0
	v_add3_u32 v72, v23, v9, s1
	v_and_b32_e32 v23, 0x3ffc, v7
	v_lshlrev_b32_e32 v75, 5, v7
	v_and_b32_e32 v7, 0x3ffc, v6
	v_add3_u32 v76, v7, v9, s1
	v_lshlrev_b32_e32 v77, 5, v6
	v_and_b32_e32 v6, 28, v5
	v_mov_b32_e32 v7, v3
	v_and_b32_e32 v2, 12, v5
	v_add3_u32 v74, v23, v9, s1
	v_and_b32_e32 v9, 31, v22
	s_waitcnt lgkmcnt(0)
	v_lshl_add_u64 v[24:25], s[10:11], 0, v[6:7]
	v_lshlrev_b32_e32 v5, 7, v4
	v_mov_b32_e32 v7, 0x5680
	v_lshl_or_b32 v6, v9, 2, v5
	v_add_u32_e32 v101, 0x5280, v5
	v_lshl_add_u32 v102, v4, 4, v7
	v_and_b32_e32 v4, 0xfc, v22
	v_lshlrev_b32_e32 v5, 5, v22
	v_add_u32_e32 v99, 0x5280, v6
	v_or_b32_e32 v6, v8, v22
	v_add3_u32 v104, v5, v4, s1
	v_add_u32_e32 v4, 32, v22
	v_lshl_add_u32 v100, v6, 2, v7
	v_and_b32_e32 v5, 0x1fc, v4
	v_lshlrev_b32_e32 v6, 5, v4
	v_add3_u32 v105, v6, v5, s1
	v_add_u32_e32 v5, 64, v22
	s_mul_i32 s16, s3, s14
	v_and_b32_e32 v6, 0x1fc, v5
	v_lshlrev_b32_e32 v5, 5, v5
	s_abs_i32 s3, s7
	v_add3_u32 v106, v5, v6, s1
	v_cvt_f32_u32_e32 v6, s3
	v_add_u32_e32 v5, 0x60, v22
	v_and_b32_e32 v7, 0x1fc, v5
	v_lshlrev_b32_e32 v5, 5, v5
	v_add3_u32 v107, v5, v7, s1
	v_rcp_iflag_f32_e32 v5, v6
	s_andn2_b32 s0, s0, 31
	v_add_u32_e32 v62, s0, v60
	v_add_u32_e32 v64, s0, v62
	v_mul_f32_e32 v5, 0x4f7ffffe, v5
	v_cvt_u32_f32_e32 v5, v5
	v_add_u32_e32 v67, s0, v64
	s_sub_i32 s0, 0, s3
	s_waitcnt vmcnt(0)
	v_sub_u32_e32 v6, 0, v1
	v_mul_lo_u32 v7, s0, v5
	v_mul_hi_u32 v7, v5, v7
	v_max_i32_e32 v6, v1, v6
	v_add_u32_e32 v5, v5, v7
	v_mul_hi_u32 v5, v6, v5
	v_mul_lo_u32 v7, v5, s3
	v_sub_u32_e32 v6, v6, v7
	v_add_u32_e32 v7, 1, v5
	v_cmp_le_u32_e64 s[0:1], s3, v6
	v_lshrrev_b32_e32 v108, 3, v4
	v_xor_b32_e32 v4, s7, v1
	v_cndmask_b32_e64 v5, v5, v7, s[0:1]
	v_subrev_u32_e32 v7, s3, v6
	v_cndmask_b32_e64 v6, v6, v7, s[0:1]
	v_add_u32_e32 v7, 1, v5
	v_cmp_le_u32_e64 s[0:1], s3, v6
	v_ashrrev_i32_e32 v4, 31, v4
	s_mul_i32 s2, s25, s24
	v_cndmask_b32_e64 v5, v5, v7, s[0:1]
	v_xor_b32_e32 v5, v5, v4
	v_sub_u32_e32 v4, v5, v4
	v_cmp_gt_i32_e64 s[0:1], s4, v4
	v_mul_lo_u32 v4, v4, s5
	v_ashrrev_i32_e32 v5, 31, v4
	v_mov_b32_e32 v23, v3
	s_mul_hi_i32 s3, s2, 18
	s_mul_i32 s14, s2, 18
	v_lshrrev_b32_e32 v10, 2, v22
	v_lshl_add_u64 v[6:7], v[4:5], 0, v[22:23]
	v_add_u32_e32 v23, v22, v4
	v_add_u32_e32 v109, v108, v4
	;; [unrolled: 1-line block ×3, first 2 shown]
	v_mov_b32_e32 v4, s14
	v_mov_b32_e32 v5, s3
	v_mad_u64_u32 v[8:9], s[20:21], v6, 36, s[10:11]
	v_mad_u64_u32 v[4:5], s[22:23], v10, 18, v[4:5]
	v_mad_i32_i24 v9, v7, 36, v9
	v_mad_u64_u32 v[6:7], s[22:23], v11, 18, v[4:5]
	v_lshl_add_u64 v[6:7], v[6:7], 0, v[2:3]
	v_lshl_add_u64 v[6:7], v[6:7], 0, s[8:9]
	v_lshl_add_u64 v[28:29], v[6:7], 0, 2
	v_mad_u64_u32 v[6:7], s[22:23], v12, 18, v[4:5]
	v_lshl_add_u64 v[6:7], v[6:7], 0, v[2:3]
	v_lshl_add_u64 v[6:7], v[6:7], 0, s[8:9]
	v_lshl_add_u64 v[30:31], v[6:7], 0, 2
	;; [unrolled: 4-line block ×14, first 2 shown]
	v_mad_u64_u32 v[6:7], s[22:23], v56, 18, v[4:5]
	v_mad_u64_u32 v[4:5], s[22:23], v58, 18, v[4:5]
	v_lshl_add_u64 v[6:7], v[6:7], 0, v[2:3]
	v_lshl_add_u64 v[2:3], v[4:5], 0, v[2:3]
	;; [unrolled: 1-line block ×4, first 2 shown]
	v_mad_u64_u32 v[2:3], s[22:23], v60, 18, 0
	v_mad_i64_i32 v[2:3], s[22:23], s2, 18, v[2:3]
	v_mad_u64_u32 v[2:3], s[22:23], v66, 18, v[2:3]
	v_lshl_add_u64 v[60:61], s[8:9], 0, v[2:3]
	v_mad_u64_u32 v[2:3], s[22:23], v62, 18, 0
	v_mad_i64_i32 v[2:3], s[22:23], s2, 18, v[2:3]
	v_mad_u64_u32 v[2:3], s[22:23], v66, 18, v[2:3]
	v_lshl_add_u64 v[62:63], s[8:9], 0, v[2:3]
	;; [unrolled: 4-line block ×3, first 2 shown]
	v_mad_u64_u32 v[2:3], s[22:23], v67, 18, 0
	s_mov_b32 s18, 0
	v_mad_i64_i32 v[2:3], s[2:3], s2, 18, v[2:3]
	v_mul_u32_u24_e32 v103, 0x84, v22
	s_mov_b64 s[20:21], 0x90
	v_lshl_add_u64 v[6:7], v[6:7], 0, s[8:9]
	v_mad_u64_u32 v[2:3], s[2:3], v66, 18, v[2:3]
	s_mov_b32 s19, s18
	s_ashr_i32 s17, s16, 31
	v_add_u32_e32 v83, 0x420, v82
	v_add_u32_e32 v84, 0x840, v82
	;; [unrolled: 1-line block ×15, first 2 shown]
	v_cmp_gt_u32_e32 vcc, 4, v22
	v_lshl_add_u64 v[26:27], v[8:9], 0, s[20:21]
	v_lshl_add_u64 v[56:57], v[6:7], 0, 2
	;; [unrolled: 1-line block ×3, first 2 shown]
	s_movk_i32 s14, 0x80
	v_mov_b64_e32 v[68:69], s[18:19]
	v_add_u32_e32 v111, v70, v71
	v_add_u32_e32 v112, v72, v73
	v_add_u32_e32 v113, v74, v75
	v_add_u32_e32 v114, v76, v77
	v_add_u32_e32 v115, 0x1080, v103
	v_add_u32_e32 v116, 0x1088, v103
	v_add_u32_e32 v117, 0x2100, v103
	v_add_u32_e32 v118, 0x2108, v103
	v_add_u32_e32 v119, 0x3180, v103
	v_add_u32_e32 v120, 0x3188, v103
	v_add_u32_e32 v121, 0x1090, v103
	v_add_u32_e32 v122, 0x1098, v103
	v_add_u32_e32 v123, 0x2110, v103
	v_add_u32_e32 v124, 0x2118, v103
	v_add_u32_e32 v125, 0x3190, v103
	v_add_u32_e32 v126, 0x3198, v103
	v_add_u32_e32 v127, 0x10a0, v103
	v_add_u32_e32 v128, 0x10a8, v103
	v_add_u32_e32 v129, 0x2120, v103
	v_add_u32_e32 v130, 0x2128, v103
	v_add_u32_e32 v131, 0x31a0, v103
	v_add_u32_e32 v132, 0x31a8, v103
	v_add_u32_e32 v133, 0x10b0, v103
	v_add_u32_e32 v134, 0x10b8, v103
	v_add_u32_e32 v135, 0x2130, v103
	v_add_u32_e32 v136, 0x2138, v103
	v_add_u32_e32 v137, 0x31b0, v103
	v_add_u32_e32 v138, 0x31b8, v103
	s_mov_b64 s[8:9], 0x120
	v_mov_b64_e32 v[70:71], s[18:19]
	s_branch .LBB197_6
.LBB197_4:                              ;   in Loop: Header=BB197_6 Depth=1
	s_or_b64 exec, exec, s[22:23]
	s_waitcnt lgkmcnt(0)
	s_barrier
	ds_read_b128 v[2:5], v102
	ds_read_b128 v[14:17], v101
	ds_read_b128 v[18:21], v101 offset:16
	ds_read2_b32 v[74:75], v103 offset0:16 offset1:17
	ds_read_b128 v[6:9], v101 offset:32
	ds_read_b128 v[10:13], v101 offset:48
	v_mov_b32_e32 v161, 0
	v_add_u32_e32 v142, 0x2140, v103
	v_add_u32_e32 v144, 0x2148, v103
	s_waitcnt lgkmcnt(2)
	v_lshrrev_b32_e32 v73, 4, v74
	v_and_b32_e32 v76, 0xf0f0f0f, v74
	v_and_b32_e32 v74, 0xf0f0f0f, v73
	v_mov_b32_e32 v73, 0
	v_dot4c_i32_i8_e32 v73, v76, v14
	v_dot4c_i32_i8_e32 v73, v74, v18
	v_and_b32_e32 v74, 0xf0f0f0f, v75
	v_lshrrev_b32_e32 v75, 4, v75
	v_and_b32_e32 v76, 0xf0f0f0f, v75
	v_dot4c_i32_i8_e32 v73, v74, v15
	ds_read2_b32 v[74:75], v103 offset0:18 offset1:19
	v_dot4c_i32_i8_e32 v73, v76, v19
	ds_read2_b32 v[76:77], v103 offset0:20 offset1:21
	ds_read2_b32 v[78:79], v103 offset0:22 offset1:23
	;; [unrolled: 1-line block ×3, first 2 shown]
	v_mov_b32_e32 v162, 0
	v_mov_b32_e32 v163, 0
	s_waitcnt lgkmcnt(3)
	v_and_b32_e32 v139, 0xf0f0f0f, v74
	v_dot4c_i32_i8_e32 v73, v139, v16
	v_add_u32_e32 v139, 0x10c0, v103
	ds_read2_b32 v[140:141], v139 offset1:1
	v_lshrrev_b32_e32 v74, 4, v74
	v_and_b32_e32 v74, 0xf0f0f0f, v74
	v_dot4c_i32_i8_e32 v73, v74, v20
	v_and_b32_e32 v74, 0xf0f0f0f, v75
	v_lshrrev_b32_e32 v75, 4, v75
	v_and_b32_e32 v75, 0xf0f0f0f, v75
	v_dot4c_i32_i8_e32 v73, v74, v17
	v_dot4c_i32_i8_e32 v73, v75, v21
	ds_read2_b32 v[74:75], v107 offset0:6 offset1:7
	s_waitcnt lgkmcnt(1)
	v_and_b32_e32 v139, 0xf0f0f0f, v140
	v_lshrrev_b32_e32 v140, 4, v140
	v_and_b32_e32 v140, 0xf0f0f0f, v140
	v_dot4c_i32_i8_e32 v161, v139, v14
	v_dot4c_i32_i8_e32 v161, v140, v18
	v_and_b32_e32 v139, 0xf0f0f0f, v141
	v_lshrrev_b32_e32 v140, 4, v141
	v_and_b32_e32 v140, 0xf0f0f0f, v140
	v_dot4c_i32_i8_e32 v161, v139, v15
	v_add_u32_e32 v139, 0x10c8, v103
	v_dot4c_i32_i8_e32 v161, v140, v19
	ds_read2_b32 v[140:141], v139 offset1:1
	v_add_u32_e32 v139, 0x31c0, v103
	ds_read2_b32 v[142:143], v142 offset1:1
	ds_read2_b32 v[144:145], v144 offset1:1
	ds_read2_b32 v[146:147], v139 offset1:1
	v_mov_b32_e32 v164, 0
	v_mov_b32_e32 v165, 0
	s_waitcnt lgkmcnt(3)
	v_and_b32_e32 v139, 0xf0f0f0f, v140
	v_lshrrev_b32_e32 v140, 4, v140
	v_and_b32_e32 v140, 0xf0f0f0f, v140
	v_dot4c_i32_i8_e32 v161, v139, v16
	v_dot4c_i32_i8_e32 v161, v140, v20
	v_and_b32_e32 v139, 0xf0f0f0f, v141
	v_lshrrev_b32_e32 v140, 4, v141
	v_and_b32_e32 v140, 0xf0f0f0f, v140
	v_dot4c_i32_i8_e32 v161, v139, v17
	s_waitcnt lgkmcnt(2)
	v_lshrrev_b32_e32 v139, 4, v142
	v_dot4c_i32_i8_e32 v161, v140, v21
	v_and_b32_e32 v140, 0xf0f0f0f, v142
	v_and_b32_e32 v141, 0xf0f0f0f, v139
	v_mov_b32_e32 v139, 0
	v_dot4c_i32_i8_e32 v139, v140, v14
	v_dot4c_i32_i8_e32 v139, v141, v18
	v_and_b32_e32 v140, 0xf0f0f0f, v143
	v_lshrrev_b32_e32 v141, 4, v143
	v_and_b32_e32 v141, 0xf0f0f0f, v141
	v_dot4c_i32_i8_e32 v139, v140, v15
	v_dot4c_i32_i8_e32 v139, v141, v19
	s_waitcnt lgkmcnt(1)
	v_and_b32_e32 v140, 0xf0f0f0f, v144
	v_lshrrev_b32_e32 v141, 4, v144
	v_and_b32_e32 v141, 0xf0f0f0f, v141
	v_dot4c_i32_i8_e32 v139, v140, v16
	v_dot4c_i32_i8_e32 v139, v141, v20
	v_and_b32_e32 v140, 0xf0f0f0f, v145
	v_lshrrev_b32_e32 v141, 4, v145
	v_and_b32_e32 v141, 0xf0f0f0f, v141
	v_dot4c_i32_i8_e32 v139, v140, v17
	s_waitcnt lgkmcnt(0)
	v_lshrrev_b32_e32 v140, 4, v146
	v_dot4c_i32_i8_e32 v139, v141, v21
	v_and_b32_e32 v141, 0xf0f0f0f, v146
	v_and_b32_e32 v142, 0xf0f0f0f, v140
	v_mov_b32_e32 v140, 0
	v_dot4c_i32_i8_e32 v140, v141, v14
	v_dot4c_i32_i8_e32 v140, v142, v18
	v_and_b32_e32 v14, 0xf0f0f0f, v147
	v_dot4c_i32_i8_e32 v140, v14, v15
	v_add_u32_e32 v14, 0x31c8, v103
	ds_read2_b32 v[14:15], v14 offset1:1
	v_lshrrev_b32_e32 v18, 4, v147
	v_and_b32_e32 v18, 0xf0f0f0f, v18
	v_dot4c_i32_i8_e32 v140, v18, v19
	v_add_u32_e32 v18, 0x10d0, v103
	v_add_u32_e32 v141, 0x10d8, v103
	;; [unrolled: 1-line block ×3, first 2 shown]
	ds_read2_b32 v[18:19], v18 offset1:1
	ds_read2_b32 v[142:143], v141 offset1:1
	;; [unrolled: 1-line block ×3, first 2 shown]
	s_waitcnt lgkmcnt(3)
	v_and_b32_e32 v141, 0xf0f0f0f, v14
	v_lshrrev_b32_e32 v14, 4, v14
	v_and_b32_e32 v14, 0xf0f0f0f, v14
	v_dot4c_i32_i8_e32 v140, v141, v16
	v_dot4c_i32_i8_e32 v140, v14, v20
	v_and_b32_e32 v14, 0xf0f0f0f, v15
	v_lshrrev_b32_e32 v15, 4, v15
	v_and_b32_e32 v15, 0xf0f0f0f, v15
	v_dot4c_i32_i8_e32 v140, v14, v17
	v_cvt_f32_f16_sdwa v16, v3 dst_sel:DWORD dst_unused:UNUSED_PAD src0_sel:WORD_1
	v_dot4c_i32_i8_e32 v140, v15, v21
	v_cvt_f32_f16_e32 v14, v3
	v_and_b32_e32 v3, 0xf0f0f0f, v76
	v_lshrrev_b32_e32 v15, 4, v76
	v_mov_b32_e32 v17, 0
	v_and_b32_e32 v15, 0xf0f0f0f, v15
	v_dot4c_i32_i8_e32 v17, v3, v6
	v_dot4c_i32_i8_e32 v17, v15, v10
	v_and_b32_e32 v3, 0xf0f0f0f, v77
	v_lshrrev_b32_e32 v15, 4, v77
	v_and_b32_e32 v15, 0xf0f0f0f, v15
	v_dot4c_i32_i8_e32 v17, v3, v7
	v_dot4c_i32_i8_e32 v17, v15, v11
	v_and_b32_e32 v3, 0xf0f0f0f, v78
	v_lshrrev_b32_e32 v15, 4, v78
	;; [unrolled: 5-line block ×3, first 2 shown]
	v_and_b32_e32 v15, 0xf0f0f0f, v15
	v_dot4c_i32_i8_e32 v17, v3, v9
	v_dot4c_i32_i8_e32 v17, v15, v13
	s_waitcnt lgkmcnt(2)
	v_and_b32_e32 v3, 0xf0f0f0f, v18
	v_lshrrev_b32_e32 v15, 4, v18
	v_mov_b32_e32 v141, 0
	v_and_b32_e32 v15, 0xf0f0f0f, v15
	v_dot4c_i32_i8_e32 v141, v3, v6
	v_dot4c_i32_i8_e32 v141, v15, v10
	v_and_b32_e32 v3, 0xf0f0f0f, v19
	v_lshrrev_b32_e32 v15, 4, v19
	v_and_b32_e32 v15, 0xf0f0f0f, v15
	v_dot4c_i32_i8_e32 v141, v3, v7
	v_dot4c_i32_i8_e32 v141, v15, v11
	s_waitcnt lgkmcnt(1)
	v_and_b32_e32 v3, 0xf0f0f0f, v142
	v_lshrrev_b32_e32 v15, 4, v142
	v_and_b32_e32 v15, 0xf0f0f0f, v15
	v_dot4c_i32_i8_e32 v141, v3, v8
	v_dot4c_i32_i8_e32 v141, v15, v12
	v_and_b32_e32 v3, 0xf0f0f0f, v143
	v_lshrrev_b32_e32 v15, 4, v143
	v_and_b32_e32 v15, 0xf0f0f0f, v15
	v_dot4c_i32_i8_e32 v141, v3, v9
	v_dot4c_i32_i8_e32 v141, v15, v13
	s_waitcnt lgkmcnt(0)
	v_and_b32_e32 v3, 0xf0f0f0f, v144
	v_lshrrev_b32_e32 v15, 4, v144
	v_and_b32_e32 v15, 0xf0f0f0f, v15
	v_dot4c_i32_i8_e32 v162, v3, v6
	v_dot4c_i32_i8_e32 v162, v15, v10
	v_and_b32_e32 v3, 0xf0f0f0f, v145
	v_dot4c_i32_i8_e32 v162, v3, v7
	v_add_u32_e32 v3, 0x2158, v103
	ds_read2_b32 v[18:19], v3 offset1:1
	v_lshrrev_b32_e32 v15, 4, v145
	v_and_b32_e32 v15, 0xf0f0f0f, v15
	v_dot4c_i32_i8_e32 v162, v15, v11
	v_add_u32_e32 v15, 0x31d0, v103
	v_add_u32_e32 v76, 0x31d8, v103
	;; [unrolled: 1-line block ×3, first 2 shown]
	ds_read2_b32 v[20:21], v15 offset1:1
	ds_read2_b32 v[76:77], v76 offset1:1
	;; [unrolled: 1-line block ×3, first 2 shown]
	s_waitcnt lgkmcnt(3)
	v_and_b32_e32 v3, 0xf0f0f0f, v18
	v_lshrrev_b32_e32 v15, 4, v18
	v_and_b32_e32 v15, 0xf0f0f0f, v15
	v_dot4c_i32_i8_e32 v162, v3, v8
	v_dot4c_i32_i8_e32 v162, v15, v12
	v_and_b32_e32 v3, 0xf0f0f0f, v19
	v_lshrrev_b32_e32 v15, 4, v19
	v_and_b32_e32 v15, 0xf0f0f0f, v15
	v_dot4c_i32_i8_e32 v162, v3, v9
	v_dot4c_i32_i8_e32 v162, v15, v13
	s_waitcnt lgkmcnt(2)
	v_and_b32_e32 v3, 0xf0f0f0f, v20
	v_lshrrev_b32_e32 v15, 4, v20
	v_and_b32_e32 v15, 0xf0f0f0f, v15
	v_dot4c_i32_i8_e32 v163, v3, v6
	v_dot4c_i32_i8_e32 v163, v15, v10
	v_and_b32_e32 v3, 0xf0f0f0f, v21
	v_lshrrev_b32_e32 v6, 4, v21
	v_and_b32_e32 v6, 0xf0f0f0f, v6
	v_dot4c_i32_i8_e32 v163, v3, v7
	v_dot4c_i32_i8_e32 v163, v6, v11
	s_waitcnt lgkmcnt(1)
	v_and_b32_e32 v3, 0xf0f0f0f, v76
	v_lshrrev_b32_e32 v6, 4, v76
	v_and_b32_e32 v6, 0xf0f0f0f, v6
	v_dot4c_i32_i8_e32 v163, v3, v8
	v_dot4c_i32_i8_e32 v163, v6, v12
	v_and_b32_e32 v3, 0xf0f0f0f, v77
	v_dot4c_i32_i8_e32 v163, v3, v9
	v_cvt_f32_f16_sdwa v3, v4 dst_sel:DWORD dst_unused:UNUSED_PAD src0_sel:WORD_1
	ds_read_b128 v[142:145], v101 offset:64
	ds_read_b128 v[146:149], v101 offset:80
	v_lshrrev_b32_e32 v6, 4, v77
	v_and_b32_e32 v6, 0xf0f0f0f, v6
	ds_read2_b32 v[8:9], v106 offset0:4 offset1:5
	ds_read2_b32 v[18:19], v105 offset0:6 offset1:7
	;; [unrolled: 1-line block ×5, first 2 shown]
	v_dot4c_i32_i8_e32 v163, v6, v13
	v_mul_f32_e32 v6, 0x41000000, v3
	v_and_b32_e32 v3, 0xf0f0f0f, v80
	v_lshrrev_b32_e32 v7, 4, v80
	v_mov_b32_e32 v15, 0
	v_and_b32_e32 v7, 0xf0f0f0f, v7
	s_waitcnt lgkmcnt(6)
	v_dot4c_i32_i8_e32 v15, v3, v142
	s_waitcnt lgkmcnt(5)
	v_dot4c_i32_i8_e32 v15, v7, v146
	v_and_b32_e32 v3, 0xf0f0f0f, v81
	v_lshrrev_b32_e32 v7, 4, v81
	v_and_b32_e32 v7, 0xf0f0f0f, v7
	v_dot4c_i32_i8_e32 v15, v3, v143
	v_dot4c_i32_i8_e32 v15, v7, v147
	s_waitcnt lgkmcnt(0)
	v_and_b32_e32 v3, 0xf0f0f0f, v10
	v_lshrrev_b32_e32 v7, 4, v10
	v_and_b32_e32 v7, 0xf0f0f0f, v7
	v_dot4c_i32_i8_e32 v15, v3, v144
	v_dot4c_i32_i8_e32 v15, v7, v148
	v_and_b32_e32 v3, 0xf0f0f0f, v11
	v_lshrrev_b32_e32 v7, 4, v11
	v_and_b32_e32 v7, 0xf0f0f0f, v7
	v_dot4c_i32_i8_e32 v15, v3, v145
	v_dot4c_i32_i8_e32 v15, v7, v149
	;; [unrolled: 5-line block ×3, first 2 shown]
	v_and_b32_e32 v3, 0xf0f0f0f, v79
	v_dot4c_i32_i8_e32 v164, v3, v143
	v_add_u32_e32 v3, 0x10e8, v103
	ds_read2_b32 v[150:151], v103 offset0:28 offset1:29
	ds_read2_b32 v[152:153], v104 offset0:4 offset1:5
	;; [unrolled: 1-line block ×3, first 2 shown]
	ds_read2_b32 v[10:11], v3 offset1:1
	v_lshrrev_b32_e32 v7, 4, v79
	v_and_b32_e32 v7, 0xf0f0f0f, v7
	v_dot4c_i32_i8_e32 v164, v7, v147
	v_add_u32_e32 v7, 0x2160, v103
	v_add_u32_e32 v3, 0x31e0, v103
	;; [unrolled: 1-line block ×3, first 2 shown]
	ds_read2_b32 v[78:79], v7 offset1:1
	ds_read2_b32 v[80:81], v12 offset1:1
	;; [unrolled: 1-line block ×3, first 2 shown]
	s_waitcnt lgkmcnt(3)
	v_and_b32_e32 v3, 0xf0f0f0f, v10
	v_lshrrev_b32_e32 v7, 4, v10
	v_and_b32_e32 v7, 0xf0f0f0f, v7
	v_dot4c_i32_i8_e32 v164, v3, v144
	v_dot4c_i32_i8_e32 v164, v7, v148
	v_and_b32_e32 v3, 0xf0f0f0f, v11
	v_lshrrev_b32_e32 v7, 4, v11
	v_and_b32_e32 v7, 0xf0f0f0f, v7
	v_dot4c_i32_i8_e32 v164, v3, v145
	v_dot4c_i32_i8_e32 v164, v7, v149
	s_waitcnt lgkmcnt(2)
	v_and_b32_e32 v3, 0xf0f0f0f, v78
	v_lshrrev_b32_e32 v7, 4, v78
	v_and_b32_e32 v7, 0xf0f0f0f, v7
	v_dot4c_i32_i8_e32 v165, v3, v142
	v_dot4c_i32_i8_e32 v165, v7, v146
	v_and_b32_e32 v3, 0xf0f0f0f, v79
	v_lshrrev_b32_e32 v7, 4, v79
	v_and_b32_e32 v7, 0xf0f0f0f, v7
	v_dot4c_i32_i8_e32 v165, v3, v143
	v_dot4c_i32_i8_e32 v165, v7, v147
	;; [unrolled: 11-line block ×3, first 2 shown]
	s_waitcnt lgkmcnt(0)
	v_and_b32_e32 v3, 0xf0f0f0f, v156
	v_lshrrev_b32_e32 v7, 4, v156
	v_mov_b32_e32 v166, 0
	v_and_b32_e32 v7, 0xf0f0f0f, v7
	v_dot4c_i32_i8_e32 v166, v3, v142
	v_dot4c_i32_i8_e32 v166, v7, v146
	v_and_b32_e32 v3, 0xf0f0f0f, v157
	v_dot4c_i32_i8_e32 v166, v3, v143
	v_add_u32_e32 v3, 0x31e8, v103
	ds_read2_b32 v[12:13], v107 offset0:4 offset1:5
	ds_read2_b32 v[10:11], v106 offset0:6 offset1:7
	ds_read2_b32 v[78:79], v3 offset1:1
	v_lshrrev_b32_e32 v7, 4, v157
	v_and_b32_e32 v7, 0xf0f0f0f, v7
	v_dot4c_i32_i8_e32 v166, v7, v147
	v_add_u32_e32 v7, 0x10f0, v103
	v_add_u32_e32 v3, 0x2170, v103
	v_add_u32_e32 v80, 0x10f8, v103
	ds_read2_b32 v[146:147], v7 offset1:1
	ds_read2_b32 v[156:157], v80 offset1:1
	;; [unrolled: 1-line block ×3, first 2 shown]
	s_waitcnt lgkmcnt(3)
	v_and_b32_e32 v3, 0xf0f0f0f, v78
	v_lshrrev_b32_e32 v7, 4, v78
	v_and_b32_e32 v7, 0xf0f0f0f, v7
	v_dot4c_i32_i8_e32 v166, v3, v144
	v_dot4c_i32_i8_e32 v166, v7, v148
	v_and_b32_e32 v3, 0xf0f0f0f, v79
	v_dot4c_i32_i8_e32 v166, v3, v145
	v_cvt_f32_f16_sdwa v3, v5 dst_sel:DWORD dst_unused:UNUSED_PAD src0_sel:WORD_1
	v_lshrrev_b32_e32 v7, 4, v79
	ds_read_b128 v[78:81], v101 offset:96
	ds_read_b128 v[142:145], v101 offset:112
	v_and_b32_e32 v7, 0xf0f0f0f, v7
	v_dot4c_i32_i8_e32 v166, v7, v149
	v_cvt_f32_f16_e32 v148, v5
	v_mul_f32_e32 v160, 0x41000000, v3
	v_and_b32_e32 v3, 0xf0f0f0f, v150
	v_lshrrev_b32_e32 v5, 4, v150
	v_mov_b32_e32 v7, 0
	v_and_b32_e32 v5, 0xf0f0f0f, v5
	s_waitcnt lgkmcnt(1)
	v_dot4c_i32_i8_e32 v7, v3, v78
	s_waitcnt lgkmcnt(0)
	v_dot4c_i32_i8_e32 v7, v5, v142
	v_and_b32_e32 v3, 0xf0f0f0f, v151
	v_lshrrev_b32_e32 v5, 4, v151
	v_and_b32_e32 v5, 0xf0f0f0f, v5
	v_dot4c_i32_i8_e32 v7, v3, v79
	v_dot4c_i32_i8_e32 v7, v5, v143
	v_and_b32_e32 v3, 0xf0f0f0f, v154
	v_lshrrev_b32_e32 v5, 4, v154
	v_and_b32_e32 v5, 0xf0f0f0f, v5
	v_dot4c_i32_i8_e32 v7, v3, v80
	;; [unrolled: 5-line block ×3, first 2 shown]
	v_dot4c_i32_i8_e32 v7, v5, v145
	v_and_b32_e32 v3, 0xf0f0f0f, v146
	v_lshrrev_b32_e32 v5, 4, v146
	v_mov_b32_e32 v149, 0
	v_cvt_f32_f16_sdwa v72, v2 dst_sel:DWORD dst_unused:UNUSED_PAD src0_sel:WORD_1
	v_and_b32_e32 v5, 0xf0f0f0f, v5
	v_dot4c_i32_i8_e32 v149, v3, v78
	v_cvt_f32_f16_e32 v2, v2
	v_dot4c_i32_i8_e32 v149, v5, v142
	v_and_b32_e32 v3, 0xf0f0f0f, v147
	v_lshrrev_b32_e32 v5, 4, v147
	v_cvt_f32_i32_e32 v147, v161
	v_cvt_f32_i32_e32 v146, v73
	v_and_b32_e32 v5, 0xf0f0f0f, v5
	v_dot4c_i32_i8_e32 v149, v3, v79
	v_dot4c_i32_i8_e32 v149, v5, v143
	v_and_b32_e32 v3, 0xf0f0f0f, v156
	v_mul_f32_e32 v72, 0x41000000, v72
	v_dot4c_i32_i8_e32 v149, v3, v80
	v_and_b32_e32 v3, 0xf0f0f0f, v157
	v_lshrrev_b32_e32 v5, 4, v156
	v_pk_fma_f32 v[146:147], v[2:3], v[146:147], v[72:73] op_sel_hi:[0,1,0] neg_lo:[0,0,1] neg_hi:[0,0,1]
	v_mov_b32_e32 v150, v152
	v_mov_b32_e32 v151, v76
	v_cvt_f32_i32_e32 v155, v141
	v_cvt_f32_i32_e32 v154, v17
	v_cvt_f32_f16_e32 v4, v4
	v_and_b32_e32 v5, 0xf0f0f0f, v5
	v_pk_fma_f32 v[68:69], v[150:151], v[146:147], v[68:69]
	v_cvt_f32_i32_e32 v147, v164
	v_cvt_f32_i32_e32 v146, v15
	v_dot4c_i32_i8_e32 v149, v5, v144
	v_lshrrev_b32_e32 v5, 4, v157
	v_mul_f32_e32 v16, 0x41000000, v16
	v_and_b32_e32 v5, 0xf0f0f0f, v5
	v_dot4c_i32_i8_e32 v149, v3, v81
	v_dot4c_i32_i8_e32 v149, v5, v145
	v_pk_fma_f32 v[150:151], v[14:15], v[154:155], v[16:17] op_sel_hi:[0,1,0] neg_lo:[0,0,1] neg_hi:[0,0,1]
	v_mov_b32_e32 v76, v153
	v_pk_fma_f32 v[68:69], v[76:77], v[150:151], v[68:69]
	v_pk_fma_f32 v[76:77], v[4:5], v[146:147], v[6:7] op_sel_hi:[0,1,0] neg_lo:[0,0,1] neg_hi:[0,0,1]
	v_cvt_f32_i32_e32 v147, v149
	v_cvt_f32_i32_e32 v146, v7
	v_and_b32_e32 v3, 0xf0f0f0f, v158
	v_lshrrev_b32_e32 v5, 4, v158
	v_mov_b32_e32 v17, 0
	v_and_b32_e32 v5, 0xf0f0f0f, v5
	v_dot4c_i32_i8_e32 v17, v3, v78
	v_mov_b32_e32 v150, v20
	v_mov_b32_e32 v151, v18
	v_dot4c_i32_i8_e32 v17, v5, v142
	v_and_b32_e32 v3, 0xf0f0f0f, v159
	v_pk_fma_f32 v[68:69], v[150:151], v[76:77], v[68:69]
	v_pk_fma_f32 v[76:77], v[148:149], v[146:147], v[160:161] op_sel_hi:[0,1,0] neg_lo:[0,0,1] neg_hi:[0,0,1]
	v_mov_b32_e32 v18, v21
	v_dot4c_i32_i8_e32 v17, v3, v79
	v_add_u32_e32 v3, 0x2178, v103
	v_pk_fma_f32 v[68:69], v[18:19], v[76:77], v[68:69]
	ds_read2_b32 v[18:19], v3 offset1:1
	v_lshrrev_b32_e32 v5, 4, v159
	v_and_b32_e32 v5, 0xf0f0f0f, v5
	v_dot4c_i32_i8_e32 v17, v5, v143
	v_add_u32_e32 v3, 0x31f0, v103
	v_add_u32_e32 v5, 0x31f8, v103
	ds_read2_b32 v[20:21], v3 offset1:1
	ds_read2_b32 v[76:77], v5 offset1:1
	s_waitcnt lgkmcnt(2)
	v_and_b32_e32 v3, 0xf0f0f0f, v18
	v_lshrrev_b32_e32 v5, 4, v18
	v_and_b32_e32 v5, 0xf0f0f0f, v5
	v_dot4c_i32_i8_e32 v17, v3, v80
	v_dot4c_i32_i8_e32 v17, v5, v144
	v_and_b32_e32 v3, 0xf0f0f0f, v19
	v_lshrrev_b32_e32 v5, 4, v19
	v_and_b32_e32 v5, 0xf0f0f0f, v5
	v_dot4c_i32_i8_e32 v17, v3, v81
	v_dot4c_i32_i8_e32 v17, v5, v145
	s_waitcnt lgkmcnt(1)
	v_and_b32_e32 v3, 0xf0f0f0f, v20
	v_lshrrev_b32_e32 v5, 4, v20
	v_mov_b32_e32 v7, 0
	v_and_b32_e32 v5, 0xf0f0f0f, v5
	v_dot4c_i32_i8_e32 v7, v3, v78
	v_dot4c_i32_i8_e32 v7, v5, v142
	v_and_b32_e32 v3, 0xf0f0f0f, v21
	v_lshrrev_b32_e32 v5, 4, v21
	v_and_b32_e32 v5, 0xf0f0f0f, v5
	v_dot4c_i32_i8_e32 v7, v3, v79
	v_cvt_f32_i32_e32 v19, v140
	v_cvt_f32_i32_e32 v18, v139
	v_dot4c_i32_i8_e32 v7, v5, v143
	s_waitcnt lgkmcnt(0)
	v_and_b32_e32 v3, 0xf0f0f0f, v76
	v_lshrrev_b32_e32 v5, 4, v76
	v_and_b32_e32 v5, 0xf0f0f0f, v5
	v_dot4c_i32_i8_e32 v7, v3, v80
	v_dot4c_i32_i8_e32 v7, v5, v144
	v_and_b32_e32 v3, 0xf0f0f0f, v77
	v_dot4c_i32_i8_e32 v7, v3, v81
	v_pk_fma_f32 v[2:3], v[2:3], v[18:19], v[72:73] op_sel_hi:[0,1,0] neg_lo:[0,0,1] neg_hi:[0,0,1]
	v_mov_b32_e32 v18, v8
	v_mov_b32_e32 v19, v12
	v_pk_fma_f32 v[2:3], v[18:19], v[2:3], v[70:71]
	v_cvt_f32_i32_e32 v19, v166
	v_cvt_f32_i32_e32 v18, v165
	v_lshrrev_b32_e32 v5, 4, v77
	v_and_b32_e32 v5, 0xf0f0f0f, v5
	v_cvt_f32_i32_e32 v21, v163
	v_cvt_f32_i32_e32 v20, v162
	v_dot4c_i32_i8_e32 v7, v5, v145
	v_mov_b32_e32 v12, v9
	v_mov_b32_e32 v8, v10
	v_pk_fma_f32 v[14:15], v[14:15], v[20:21], v[16:17] op_sel_hi:[0,1,0] neg_lo:[0,0,1] neg_hi:[0,0,1]
	v_pk_fma_f32 v[4:5], v[4:5], v[18:19], v[6:7] op_sel_hi:[0,1,0] neg_lo:[0,0,1] neg_hi:[0,0,1]
	v_cvt_f32_i32_e32 v7, v7
	v_cvt_f32_i32_e32 v6, v17
	v_pk_fma_f32 v[2:3], v[12:13], v[14:15], v[2:3]
	v_mov_b32_e32 v9, v74
	v_pk_fma_f32 v[2:3], v[8:9], v[4:5], v[2:3]
	v_pk_fma_f32 v[4:5], v[148:149], v[6:7], v[160:161] op_sel_hi:[0,1,0] neg_lo:[0,0,1] neg_hi:[0,0,1]
	v_mov_b32_e32 v74, v11
	v_pk_fma_f32 v[70:71], v[74:75], v[4:5], v[2:3]
	s_barrier
.LBB197_5:                              ;   in Loop: Header=BB197_6 Depth=1
	s_add_i32 s18, s18, 8
	s_addk_i32 s14, 0x100
	v_lshl_add_u64 v[26:27], v[26:27], 0, s[8:9]
	v_lshl_add_u64 v[28:29], v[28:29], 0, s[20:21]
	;; [unrolled: 1-line block ×20, first 2 shown]
	s_cmp_ge_i32 s18, s25
	v_lshl_add_u64 v[66:67], v[66:67], 0, s[20:21]
	s_cbranch_scc1 .LBB197_20
.LBB197_6:                              ; =>This Inner Loop Header: Depth=1
	v_lshl_add_u64 v[2:3], v[28:29], 0, s[16:17]
	global_load_dword v4, v[2:3], off
	v_lshl_add_u64 v[2:3], v[30:31], 0, s[16:17]
	global_load_dword v5, v[2:3], off
	v_lshl_add_u64 v[2:3], v[32:33], 0, s[16:17]
	global_load_dword v6, v[2:3], off
	v_lshl_add_u64 v[2:3], v[34:35], 0, s[16:17]
	global_load_dword v7, v[2:3], off
	v_lshl_add_u64 v[2:3], v[36:37], 0, s[16:17]
	global_load_dword v8, v[2:3], off
	v_lshl_add_u64 v[2:3], v[38:39], 0, s[16:17]
	global_load_dword v9, v[2:3], off
	v_lshl_add_u64 v[2:3], v[40:41], 0, s[16:17]
	global_load_dword v10, v[2:3], off
	v_lshl_add_u64 v[2:3], v[42:43], 0, s[16:17]
	global_load_dword v11, v[2:3], off
	v_lshl_add_u64 v[2:3], v[44:45], 0, s[16:17]
	global_load_dword v12, v[2:3], off
	v_lshl_add_u64 v[2:3], v[46:47], 0, s[16:17]
	global_load_dword v13, v[2:3], off
	v_lshl_add_u64 v[2:3], v[48:49], 0, s[16:17]
	global_load_dword v14, v[2:3], off
	v_lshl_add_u64 v[2:3], v[50:51], 0, s[16:17]
	global_load_dword v15, v[2:3], off
	v_lshl_add_u64 v[2:3], v[52:53], 0, s[16:17]
	global_load_dword v16, v[2:3], off
	v_lshl_add_u64 v[2:3], v[54:55], 0, s[16:17]
	global_load_dword v17, v[2:3], off
	v_lshl_add_u64 v[2:3], v[56:57], 0, s[16:17]
	global_load_dword v18, v[2:3], off
	v_lshl_add_u64 v[2:3], v[58:59], 0, s[16:17]
	global_load_dword v19, v[2:3], off
	v_lshl_add_u64 v[2:3], v[60:61], 0, s[16:17]
	global_load_ushort v20, v[2:3], off
	v_lshl_add_u64 v[2:3], v[62:63], 0, s[16:17]
	global_load_ushort v21, v[2:3], off
	;; [unrolled: 2-line block ×4, first 2 shown]
	s_add_i32 s2, s14, 0xffffff80
	s_cmp_lt_i32 s2, s15
	s_waitcnt vmcnt(19)
	ds_write_b32 v82, v4
	s_waitcnt vmcnt(18)
	ds_write_b32 v83, v5
	;; [unrolled: 2-line block ×16, first 2 shown]
	s_waitcnt vmcnt(3)
	v_cvt_f32_f16_e32 v3, v20
	s_waitcnt vmcnt(2)
	v_cvt_f32_f16_e32 v4, v21
	;; [unrolled: 2-line block ×4, first 2 shown]
	ds_write_b32 v111, v3
	ds_write_b32 v112, v4
	;; [unrolled: 1-line block ×4, first 2 shown]
	s_cbranch_scc0 .LBB197_5
; %bb.7:                                ;   in Loop: Header=BB197_6 Depth=1
	v_add_u32_e32 v2, s18, v98
	v_cmp_gt_i32_e64 s[2:3], s5, v2
	s_and_b64 s[22:23], s[0:1], s[2:3]
	s_and_saveexec_b64 s[2:3], s[22:23]
	s_cbranch_execz .LBB197_9
; %bb.8:                                ;   in Loop: Header=BB197_6 Depth=1
	v_add_u32_e32 v2, s18, v110
	v_mad_i64_i32 v[2:3], s[22:23], v2, 36, v[24:25]
	global_load_dword v2, v[2:3], off offset:4
	s_waitcnt vmcnt(0)
	ds_write_b32 v99, v2
.LBB197_9:                              ;   in Loop: Header=BB197_6 Depth=1
	s_or_b64 exec, exec, s[2:3]
	s_and_saveexec_b64 s[22:23], vcc
	s_cbranch_execz .LBB197_12
; %bb.10:                               ;   in Loop: Header=BB197_6 Depth=1
	v_add_u32_e32 v2, s18, v22
	v_cmp_gt_i32_e64 s[2:3], s5, v2
	s_and_b64 s[2:3], s[0:1], s[2:3]
	s_and_b64 exec, exec, s[2:3]
	s_cbranch_execz .LBB197_12
; %bb.11:                               ;   in Loop: Header=BB197_6 Depth=1
	v_add_u32_e32 v2, s18, v23
	v_mad_i64_i32 v[2:3], s[2:3], v2, 36, s[10:11]
	global_load_dword v2, v[2:3], off
	s_waitcnt vmcnt(0)
	ds_write_b32 v100, v2
.LBB197_12:                             ;   in Loop: Header=BB197_6 Depth=1
	s_or_b64 exec, exec, s[22:23]
	s_waitcnt lgkmcnt(0)
	s_barrier
	ds_read_b128 v[2:5], v102
	ds_read_b128 v[14:17], v101
	ds_read_b128 v[18:21], v101 offset:16
	ds_read2_b32 v[72:73], v103 offset1:1
	ds_read_b128 v[6:9], v101 offset:32
	ds_read_b128 v[10:13], v101 offset:48
	v_mov_b32_e32 v139, 0
	v_mov_b32_e32 v148, 0
	s_waitcnt lgkmcnt(2)
	v_and_b32_e32 v75, 0xf0f0f0f, v72
	v_lshrrev_b32_e32 v72, 4, v72
	v_and_b32_e32 v72, 0xf0f0f0f, v72
	v_dot4c_i32_i8_e32 v139, v75, v14
	v_dot4c_i32_i8_e32 v139, v72, v18
	v_and_b32_e32 v72, 0xf0f0f0f, v73
	v_lshrrev_b32_e32 v73, 4, v73
	v_and_b32_e32 v75, 0xf0f0f0f, v73
	v_dot4c_i32_i8_e32 v139, v72, v15
	ds_read2_b32 v[72:73], v103 offset0:2 offset1:3
	ds_read2_b32 v[76:77], v103 offset0:4 offset1:5
	;; [unrolled: 1-line block ×4, first 2 shown]
	ds_read2_b32 v[140:141], v115 offset1:1
	v_dot4c_i32_i8_e32 v139, v75, v19
	v_mov_b32_e32 v149, 0
	s_waitcnt lgkmcnt(4)
	v_and_b32_e32 v75, 0xf0f0f0f, v72
	v_lshrrev_b32_e32 v72, 4, v72
	v_and_b32_e32 v72, 0xf0f0f0f, v72
	v_dot4c_i32_i8_e32 v139, v75, v16
	v_dot4c_i32_i8_e32 v139, v72, v20
	v_and_b32_e32 v72, 0xf0f0f0f, v73
	v_lshrrev_b32_e32 v73, 4, v73
	v_and_b32_e32 v73, 0xf0f0f0f, v73
	v_dot4c_i32_i8_e32 v139, v72, v17
	v_dot4c_i32_i8_e32 v139, v73, v21
	ds_read2_b32 v[72:73], v107 offset0:2 offset1:3
	s_waitcnt lgkmcnt(1)
	v_and_b32_e32 v75, 0xf0f0f0f, v140
	v_lshrrev_b32_e32 v140, 4, v140
	v_and_b32_e32 v140, 0xf0f0f0f, v140
	v_dot4c_i32_i8_e32 v148, v75, v14
	v_dot4c_i32_i8_e32 v148, v140, v18
	v_lshrrev_b32_e32 v140, 4, v141
	v_and_b32_e32 v75, 0xf0f0f0f, v141
	v_and_b32_e32 v142, 0xf0f0f0f, v140
	ds_read2_b32 v[140:141], v116 offset1:1
	v_dot4c_i32_i8_e32 v148, v75, v15
	v_dot4c_i32_i8_e32 v148, v142, v19
	ds_read2_b32 v[142:143], v117 offset1:1
	ds_read2_b32 v[144:145], v118 offset1:1
	;; [unrolled: 1-line block ×3, first 2 shown]
	v_cvt_f32_f16_e32 v74, v2
	s_waitcnt lgkmcnt(3)
	v_and_b32_e32 v75, 0xf0f0f0f, v140
	v_lshrrev_b32_e32 v140, 4, v140
	v_and_b32_e32 v140, 0xf0f0f0f, v140
	v_dot4c_i32_i8_e32 v148, v75, v16
	v_dot4c_i32_i8_e32 v148, v140, v20
	v_and_b32_e32 v75, 0xf0f0f0f, v141
	v_lshrrev_b32_e32 v140, 4, v141
	v_and_b32_e32 v140, 0xf0f0f0f, v140
	v_dot4c_i32_i8_e32 v148, v75, v17
	v_dot4c_i32_i8_e32 v148, v140, v21
	v_cvt_f32_i32_e32 v140, v139
	s_waitcnt lgkmcnt(2)
	v_and_b32_e32 v75, 0xf0f0f0f, v142
	v_lshrrev_b32_e32 v139, 4, v142
	v_cvt_f32_i32_e32 v141, v148
	v_mov_b32_e32 v148, 0
	v_and_b32_e32 v139, 0xf0f0f0f, v139
	v_dot4c_i32_i8_e32 v148, v75, v14
	v_dot4c_i32_i8_e32 v148, v139, v18
	v_and_b32_e32 v75, 0xf0f0f0f, v143
	v_lshrrev_b32_e32 v139, 4, v143
	v_and_b32_e32 v139, 0xf0f0f0f, v139
	v_dot4c_i32_i8_e32 v148, v75, v15
	v_dot4c_i32_i8_e32 v148, v139, v19
	s_waitcnt lgkmcnt(1)
	v_and_b32_e32 v75, 0xf0f0f0f, v144
	v_lshrrev_b32_e32 v139, 4, v144
	v_and_b32_e32 v139, 0xf0f0f0f, v139
	v_dot4c_i32_i8_e32 v148, v75, v16
	v_dot4c_i32_i8_e32 v148, v139, v20
	v_and_b32_e32 v75, 0xf0f0f0f, v145
	v_lshrrev_b32_e32 v139, 4, v145
	v_and_b32_e32 v139, 0xf0f0f0f, v139
	v_dot4c_i32_i8_e32 v148, v75, v17
	v_dot4c_i32_i8_e32 v148, v139, v21
	s_waitcnt lgkmcnt(0)
	v_and_b32_e32 v75, 0xf0f0f0f, v146
	v_lshrrev_b32_e32 v139, 4, v146
	v_and_b32_e32 v139, 0xf0f0f0f, v139
	v_dot4c_i32_i8_e32 v149, v75, v14
	v_dot4c_i32_i8_e32 v149, v139, v18
	v_and_b32_e32 v14, 0xf0f0f0f, v147
	v_dot4c_i32_i8_e32 v149, v14, v15
	ds_read2_b32 v[14:15], v120 offset1:1
	v_lshrrev_b32_e32 v18, 4, v147
	v_and_b32_e32 v18, 0xf0f0f0f, v18
	v_dot4c_i32_i8_e32 v149, v18, v19
	v_cvt_f32_f16_sdwa v2, v2 dst_sel:DWORD dst_unused:UNUSED_PAD src0_sel:WORD_1
	s_waitcnt lgkmcnt(0)
	v_and_b32_e32 v18, 0xf0f0f0f, v14
	v_lshrrev_b32_e32 v14, 4, v14
	v_and_b32_e32 v14, 0xf0f0f0f, v14
	v_dot4c_i32_i8_e32 v149, v18, v16
	v_dot4c_i32_i8_e32 v149, v14, v20
	v_and_b32_e32 v14, 0xf0f0f0f, v15
	v_lshrrev_b32_e32 v15, 4, v15
	v_and_b32_e32 v15, 0xf0f0f0f, v15
	v_dot4c_i32_i8_e32 v149, v14, v17
	v_dot4c_i32_i8_e32 v149, v15, v21
	v_cvt_f32_i32_e32 v14, v148
	v_mul_f32_e32 v2, 0x41000000, v2
	v_cvt_f32_f16_sdwa v16, v3 dst_sel:DWORD dst_unused:UNUSED_PAD src0_sel:WORD_1
	v_cvt_f32_i32_e32 v15, v149
	v_pk_fma_f32 v[18:19], v[74:75], v[140:141], v[2:3] op_sel_hi:[0,1,0] neg_lo:[0,0,1] neg_hi:[0,0,1]
	v_lshrrev_b32_e32 v17, 4, v76
	v_mov_b32_e32 v20, 0
	v_pk_fma_f32 v[14:15], v[74:75], v[14:15], v[2:3] op_sel_hi:[0,1,0] neg_lo:[0,0,1] neg_hi:[0,0,1]
	v_cvt_f32_f16_e32 v2, v3
	v_and_b32_e32 v3, 0xf0f0f0f, v76
	v_and_b32_e32 v17, 0xf0f0f0f, v17
	v_dot4c_i32_i8_e32 v20, v3, v6
	v_dot4c_i32_i8_e32 v20, v17, v10
	v_and_b32_e32 v3, 0xf0f0f0f, v77
	v_lshrrev_b32_e32 v17, 4, v77
	v_and_b32_e32 v17, 0xf0f0f0f, v17
	v_dot4c_i32_i8_e32 v20, v3, v7
	v_dot4c_i32_i8_e32 v20, v17, v11
	v_and_b32_e32 v3, 0xf0f0f0f, v78
	v_lshrrev_b32_e32 v17, 4, v78
	ds_read2_b32 v[142:143], v121 offset1:1
	ds_read2_b32 v[144:145], v122 offset1:1
	;; [unrolled: 1-line block ×3, first 2 shown]
	v_and_b32_e32 v17, 0xf0f0f0f, v17
	v_dot4c_i32_i8_e32 v20, v3, v8
	v_dot4c_i32_i8_e32 v20, v17, v12
	v_and_b32_e32 v3, 0xf0f0f0f, v79
	v_lshrrev_b32_e32 v17, 4, v79
	v_and_b32_e32 v17, 0xf0f0f0f, v17
	v_dot4c_i32_i8_e32 v20, v3, v9
	v_dot4c_i32_i8_e32 v20, v17, v13
	s_waitcnt lgkmcnt(2)
	v_and_b32_e32 v3, 0xf0f0f0f, v142
	v_lshrrev_b32_e32 v17, 4, v142
	v_mov_b32_e32 v21, 0
	v_and_b32_e32 v17, 0xf0f0f0f, v17
	v_dot4c_i32_i8_e32 v21, v3, v6
	v_dot4c_i32_i8_e32 v21, v17, v10
	v_and_b32_e32 v3, 0xf0f0f0f, v143
	v_lshrrev_b32_e32 v17, 4, v143
	v_and_b32_e32 v17, 0xf0f0f0f, v17
	v_dot4c_i32_i8_e32 v21, v3, v7
	v_dot4c_i32_i8_e32 v21, v17, v11
	s_waitcnt lgkmcnt(1)
	v_and_b32_e32 v3, 0xf0f0f0f, v144
	v_lshrrev_b32_e32 v17, 4, v144
	v_and_b32_e32 v17, 0xf0f0f0f, v17
	v_dot4c_i32_i8_e32 v21, v3, v8
	v_dot4c_i32_i8_e32 v21, v17, v12
	v_and_b32_e32 v3, 0xf0f0f0f, v145
	v_lshrrev_b32_e32 v17, 4, v145
	v_and_b32_e32 v17, 0xf0f0f0f, v17
	v_dot4c_i32_i8_e32 v21, v3, v9
	ds_read2_b32 v[74:75], v124 offset1:1
	v_dot4c_i32_i8_e32 v21, v17, v13
	s_waitcnt lgkmcnt(1)
	v_and_b32_e32 v3, 0xf0f0f0f, v146
	v_lshrrev_b32_e32 v17, 4, v146
	v_mov_b32_e32 v139, 0
	v_and_b32_e32 v17, 0xf0f0f0f, v17
	v_dot4c_i32_i8_e32 v139, v3, v6
	v_dot4c_i32_i8_e32 v139, v17, v10
	v_and_b32_e32 v3, 0xf0f0f0f, v147
	v_lshrrev_b32_e32 v17, 4, v147
	v_and_b32_e32 v17, 0xf0f0f0f, v17
	v_dot4c_i32_i8_e32 v139, v3, v7
	v_dot4c_i32_i8_e32 v139, v17, v11
	s_waitcnt lgkmcnt(0)
	v_and_b32_e32 v3, 0xf0f0f0f, v74
	v_lshrrev_b32_e32 v17, 4, v74
	ds_read2_b32 v[76:77], v125 offset1:1
	ds_read2_b32 v[78:79], v126 offset1:1
	;; [unrolled: 1-line block ×3, first 2 shown]
	v_and_b32_e32 v17, 0xf0f0f0f, v17
	v_dot4c_i32_i8_e32 v139, v3, v8
	v_dot4c_i32_i8_e32 v139, v17, v12
	v_and_b32_e32 v3, 0xf0f0f0f, v75
	v_lshrrev_b32_e32 v17, 4, v75
	v_and_b32_e32 v17, 0xf0f0f0f, v17
	v_dot4c_i32_i8_e32 v139, v3, v9
	v_dot4c_i32_i8_e32 v139, v17, v13
	s_waitcnt lgkmcnt(2)
	v_and_b32_e32 v3, 0xf0f0f0f, v76
	v_lshrrev_b32_e32 v17, 4, v76
	v_mov_b32_e32 v74, 0
	v_and_b32_e32 v17, 0xf0f0f0f, v17
	v_dot4c_i32_i8_e32 v74, v3, v6
	v_dot4c_i32_i8_e32 v74, v17, v10
	v_and_b32_e32 v3, 0xf0f0f0f, v77
	v_lshrrev_b32_e32 v6, 4, v77
	v_and_b32_e32 v6, 0xf0f0f0f, v6
	v_dot4c_i32_i8_e32 v74, v3, v7
	v_dot4c_i32_i8_e32 v74, v6, v11
	s_waitcnt lgkmcnt(1)
	v_and_b32_e32 v3, 0xf0f0f0f, v78
	v_lshrrev_b32_e32 v6, 4, v78
	v_and_b32_e32 v6, 0xf0f0f0f, v6
	v_dot4c_i32_i8_e32 v74, v3, v8
	v_dot4c_i32_i8_e32 v74, v6, v12
	v_and_b32_e32 v3, 0xf0f0f0f, v79
	v_lshrrev_b32_e32 v6, 4, v79
	v_dot4c_i32_i8_e32 v74, v3, v9
	v_cvt_f32_f16_sdwa v3, v4 dst_sel:DWORD dst_unused:UNUSED_PAD src0_sel:WORD_1
	v_and_b32_e32 v6, 0xf0f0f0f, v6
	ds_read_b128 v[140:143], v101 offset:64
	ds_read_b128 v[144:147], v101 offset:80
	v_dot4c_i32_i8_e32 v74, v6, v13
	v_mul_f32_e32 v8, 0x41000000, v3
	v_and_b32_e32 v3, 0xf0f0f0f, v80
	v_lshrrev_b32_e32 v9, 4, v80
	v_cvt_f32_i32_e32 v7, v74
	ds_read2_b32 v[10:11], v106 offset1:1
	ds_read2_b32 v[12:13], v105 offset0:2 offset1:3
	ds_read2_b32 v[78:79], v105 offset1:1
	ds_read2_b32 v[74:75], v104 offset0:2 offset1:3
	ds_read2_b32 v[76:77], v103 offset0:10 offset1:11
	v_mov_b32_e32 v17, 0
	v_and_b32_e32 v9, 0xf0f0f0f, v9
	s_waitcnt lgkmcnt(6)
	v_dot4c_i32_i8_e32 v17, v3, v140
	s_waitcnt lgkmcnt(5)
	v_dot4c_i32_i8_e32 v17, v9, v144
	v_and_b32_e32 v3, 0xf0f0f0f, v81
	v_lshrrev_b32_e32 v9, 4, v81
	v_and_b32_e32 v9, 0xf0f0f0f, v9
	v_dot4c_i32_i8_e32 v17, v3, v141
	v_dot4c_i32_i8_e32 v17, v9, v145
	s_waitcnt lgkmcnt(0)
	v_and_b32_e32 v3, 0xf0f0f0f, v76
	v_lshrrev_b32_e32 v9, 4, v76
	v_and_b32_e32 v9, 0xf0f0f0f, v9
	v_dot4c_i32_i8_e32 v17, v3, v142
	v_dot4c_i32_i8_e32 v17, v9, v146
	v_and_b32_e32 v3, 0xf0f0f0f, v77
	v_lshrrev_b32_e32 v9, 4, v77
	ds_read2_b32 v[150:151], v103 offset0:12 offset1:13
	ds_read2_b32 v[152:153], v104 offset1:1
	ds_read2_b32 v[154:155], v103 offset0:14 offset1:15
	v_and_b32_e32 v9, 0xf0f0f0f, v9
	v_dot4c_i32_i8_e32 v17, v3, v143
	ds_read2_b32 v[76:77], v128 offset1:1
	v_dot4c_i32_i8_e32 v17, v9, v147
	v_and_b32_e32 v3, 0xf0f0f0f, v148
	v_lshrrev_b32_e32 v9, 4, v148
	v_mov_b32_e32 v80, 0
	v_and_b32_e32 v9, 0xf0f0f0f, v9
	v_dot4c_i32_i8_e32 v80, v3, v140
	v_dot4c_i32_i8_e32 v80, v9, v144
	v_and_b32_e32 v3, 0xf0f0f0f, v149
	v_lshrrev_b32_e32 v9, 4, v149
	v_and_b32_e32 v9, 0xf0f0f0f, v9
	v_dot4c_i32_i8_e32 v80, v3, v141
	v_dot4c_i32_i8_e32 v80, v9, v145
	s_waitcnt lgkmcnt(0)
	v_and_b32_e32 v3, 0xf0f0f0f, v76
	v_lshrrev_b32_e32 v9, 4, v76
	ds_read2_b32 v[148:149], v129 offset1:1
	ds_read2_b32 v[156:157], v130 offset1:1
	;; [unrolled: 1-line block ×3, first 2 shown]
	v_and_b32_e32 v9, 0xf0f0f0f, v9
	v_dot4c_i32_i8_e32 v80, v3, v142
	v_dot4c_i32_i8_e32 v80, v9, v146
	v_and_b32_e32 v3, 0xf0f0f0f, v77
	v_lshrrev_b32_e32 v9, 4, v77
	v_and_b32_e32 v9, 0xf0f0f0f, v9
	v_dot4c_i32_i8_e32 v80, v3, v143
	v_dot4c_i32_i8_e32 v80, v9, v147
	v_cvt_f32_i32_e32 v160, v17
	s_waitcnt lgkmcnt(2)
	v_and_b32_e32 v3, 0xf0f0f0f, v148
	v_lshrrev_b32_e32 v9, 4, v148
	v_mov_b32_e32 v17, 0
	v_and_b32_e32 v9, 0xf0f0f0f, v9
	v_dot4c_i32_i8_e32 v17, v3, v140
	v_dot4c_i32_i8_e32 v17, v9, v144
	v_and_b32_e32 v3, 0xf0f0f0f, v149
	v_lshrrev_b32_e32 v9, 4, v149
	v_and_b32_e32 v9, 0xf0f0f0f, v9
	v_dot4c_i32_i8_e32 v17, v3, v141
	v_dot4c_i32_i8_e32 v17, v9, v145
	s_waitcnt lgkmcnt(1)
	v_and_b32_e32 v3, 0xf0f0f0f, v156
	v_lshrrev_b32_e32 v9, 4, v156
	v_and_b32_e32 v9, 0xf0f0f0f, v9
	v_dot4c_i32_i8_e32 v17, v3, v142
	v_dot4c_i32_i8_e32 v17, v9, v146
	v_and_b32_e32 v3, 0xf0f0f0f, v157
	v_lshrrev_b32_e32 v9, 4, v157
	v_and_b32_e32 v9, 0xf0f0f0f, v9
	v_dot4c_i32_i8_e32 v17, v3, v143
	v_cvt_f32_i32_e32 v6, v139
	v_dot4c_i32_i8_e32 v17, v9, v147
	s_waitcnt lgkmcnt(0)
	v_and_b32_e32 v3, 0xf0f0f0f, v158
	v_lshrrev_b32_e32 v9, 4, v158
	v_mov_b32_e32 v139, 0
	v_and_b32_e32 v9, 0xf0f0f0f, v9
	v_dot4c_i32_i8_e32 v139, v3, v140
	v_dot4c_i32_i8_e32 v139, v9, v144
	v_and_b32_e32 v3, 0xf0f0f0f, v159
	v_cvt_f32_i32_e32 v161, v80
	ds_read2_b32 v[80:81], v107 offset1:1
	ds_read2_b32 v[76:77], v106 offset0:2 offset1:3
	v_dot4c_i32_i8_e32 v139, v3, v141
	ds_read2_b32 v[140:141], v132 offset1:1
	v_lshrrev_b32_e32 v9, 4, v159
	v_and_b32_e32 v9, 0xf0f0f0f, v9
	v_dot4c_i32_i8_e32 v139, v9, v145
	ds_read2_b32 v[148:149], v133 offset1:1
	ds_read2_b32 v[156:157], v134 offset1:1
	;; [unrolled: 1-line block ×3, first 2 shown]
	s_waitcnt lgkmcnt(3)
	v_and_b32_e32 v3, 0xf0f0f0f, v140
	v_lshrrev_b32_e32 v9, 4, v140
	v_and_b32_e32 v9, 0xf0f0f0f, v9
	v_dot4c_i32_i8_e32 v139, v3, v142
	v_dot4c_i32_i8_e32 v139, v9, v146
	v_and_b32_e32 v3, 0xf0f0f0f, v141
	v_lshrrev_b32_e32 v9, 4, v141
	v_and_b32_e32 v9, 0xf0f0f0f, v9
	v_dot4c_i32_i8_e32 v139, v3, v143
	v_cvt_f32_f16_sdwa v3, v5 dst_sel:DWORD dst_unused:UNUSED_PAD src0_sel:WORD_1
	v_dot4c_i32_i8_e32 v139, v9, v147
	ds_read_b128 v[140:143], v101 offset:96
	ds_read_b128 v[144:147], v101 offset:112
	v_cvt_f32_f16_e32 v164, v5
	v_mul_f32_e32 v166, 0x41000000, v3
	v_and_b32_e32 v3, 0xf0f0f0f, v150
	v_lshrrev_b32_e32 v5, 4, v150
	v_mov_b32_e32 v9, 0
	v_and_b32_e32 v5, 0xf0f0f0f, v5
	s_waitcnt lgkmcnt(1)
	v_dot4c_i32_i8_e32 v9, v3, v140
	s_waitcnt lgkmcnt(0)
	v_dot4c_i32_i8_e32 v9, v5, v144
	v_and_b32_e32 v3, 0xf0f0f0f, v151
	v_lshrrev_b32_e32 v5, 4, v151
	v_and_b32_e32 v5, 0xf0f0f0f, v5
	v_dot4c_i32_i8_e32 v9, v3, v141
	v_dot4c_i32_i8_e32 v9, v5, v145
	v_and_b32_e32 v3, 0xf0f0f0f, v154
	v_lshrrev_b32_e32 v5, 4, v154
	v_and_b32_e32 v5, 0xf0f0f0f, v5
	v_dot4c_i32_i8_e32 v9, v3, v142
	;; [unrolled: 5-line block ×3, first 2 shown]
	v_cvt_f32_i32_e32 v162, v17
	v_dot4c_i32_i8_e32 v9, v5, v147
	v_and_b32_e32 v3, 0xf0f0f0f, v148
	v_lshrrev_b32_e32 v5, 4, v148
	v_mov_b32_e32 v17, 0
	v_and_b32_e32 v5, 0xf0f0f0f, v5
	v_dot4c_i32_i8_e32 v17, v3, v140
	v_dot4c_i32_i8_e32 v17, v5, v144
	v_and_b32_e32 v3, 0xf0f0f0f, v149
	v_lshrrev_b32_e32 v5, 4, v149
	v_and_b32_e32 v5, 0xf0f0f0f, v5
	v_dot4c_i32_i8_e32 v17, v3, v141
	v_dot4c_i32_i8_e32 v17, v5, v145
	v_and_b32_e32 v3, 0xf0f0f0f, v156
	v_lshrrev_b32_e32 v5, 4, v156
	;; [unrolled: 5-line block ×3, first 2 shown]
	v_cvt_f32_i32_e32 v21, v21
	v_cvt_f32_i32_e32 v20, v20
	v_and_b32_e32 v5, 0xf0f0f0f, v5
	v_dot4c_i32_i8_e32 v17, v3, v143
	v_cvt_f32_f16_e32 v4, v4
	v_dot4c_i32_i8_e32 v17, v5, v147
	v_mov_b32_e32 v148, v152
	v_mov_b32_e32 v149, v78
	v_pk_fma_f32 v[18:19], v[148:149], v[18:19], v[68:69]
	v_cvt_f32_i32_e32 v69, v17
	v_cvt_f32_i32_e32 v68, v9
	v_mul_f32_e32 v16, 0x41000000, v16
	v_pk_fma_f32 v[20:21], v[2:3], v[20:21], v[16:17] op_sel_hi:[0,1,0] neg_lo:[0,0,1] neg_hi:[0,0,1]
	v_mov_b32_e32 v78, v153
	v_pk_fma_f32 v[18:19], v[78:79], v[20:21], v[18:19]
	v_pk_fma_f32 v[20:21], v[4:5], v[160:161], v[8:9] op_sel_hi:[0,1,0] neg_lo:[0,0,1] neg_hi:[0,0,1]
	v_mov_b32_e32 v78, v74
	v_mov_b32_e32 v79, v12
	v_pk_fma_f32 v[18:19], v[78:79], v[20:21], v[18:19]
	v_pk_fma_f32 v[20:21], v[164:165], v[68:69], v[166:167] op_sel_hi:[0,1,0] neg_lo:[0,0,1] neg_hi:[0,0,1]
	v_mov_b32_e32 v12, v75
	v_pk_fma_f32 v[68:69], v[12:13], v[20:21], v[18:19]
	ds_read2_b32 v[12:13], v136 offset1:1
	v_and_b32_e32 v3, 0xf0f0f0f, v158
	v_lshrrev_b32_e32 v5, 4, v158
	v_mov_b32_e32 v9, 0
	v_and_b32_e32 v5, 0xf0f0f0f, v5
	v_dot4c_i32_i8_e32 v9, v3, v140
	v_dot4c_i32_i8_e32 v9, v5, v144
	v_and_b32_e32 v3, 0xf0f0f0f, v159
	v_lshrrev_b32_e32 v5, 4, v159
	v_and_b32_e32 v5, 0xf0f0f0f, v5
	v_dot4c_i32_i8_e32 v9, v3, v141
	v_dot4c_i32_i8_e32 v9, v5, v145
	ds_read2_b32 v[18:19], v137 offset1:1
	ds_read2_b32 v[20:21], v138 offset1:1
	s_waitcnt lgkmcnt(2)
	v_and_b32_e32 v3, 0xf0f0f0f, v12
	v_lshrrev_b32_e32 v5, 4, v12
	v_and_b32_e32 v5, 0xf0f0f0f, v5
	v_dot4c_i32_i8_e32 v9, v3, v142
	v_dot4c_i32_i8_e32 v9, v5, v146
	v_and_b32_e32 v3, 0xf0f0f0f, v13
	v_lshrrev_b32_e32 v5, 4, v13
	v_and_b32_e32 v5, 0xf0f0f0f, v5
	v_dot4c_i32_i8_e32 v9, v3, v143
	v_dot4c_i32_i8_e32 v9, v5, v147
	s_waitcnt lgkmcnt(1)
	v_and_b32_e32 v3, 0xf0f0f0f, v18
	v_lshrrev_b32_e32 v5, 4, v18
	v_mov_b32_e32 v17, 0
	v_and_b32_e32 v5, 0xf0f0f0f, v5
	v_dot4c_i32_i8_e32 v17, v3, v140
	v_dot4c_i32_i8_e32 v17, v5, v144
	v_and_b32_e32 v3, 0xf0f0f0f, v19
	v_lshrrev_b32_e32 v5, 4, v19
	v_and_b32_e32 v5, 0xf0f0f0f, v5
	v_dot4c_i32_i8_e32 v17, v3, v141
	v_dot4c_i32_i8_e32 v17, v5, v145
	s_waitcnt lgkmcnt(0)
	v_and_b32_e32 v3, 0xf0f0f0f, v20
	v_lshrrev_b32_e32 v5, 4, v20
	v_and_b32_e32 v5, 0xf0f0f0f, v5
	v_dot4c_i32_i8_e32 v17, v3, v142
	v_dot4c_i32_i8_e32 v17, v5, v146
	v_and_b32_e32 v3, 0xf0f0f0f, v21
	v_lshrrev_b32_e32 v5, 4, v21
	v_and_b32_e32 v5, 0xf0f0f0f, v5
	v_dot4c_i32_i8_e32 v17, v3, v143
	v_cvt_f32_i32_e32 v163, v139
	v_dot4c_i32_i8_e32 v17, v5, v147
	v_mov_b32_e32 v12, v10
	v_mov_b32_e32 v13, v80
	v_pk_fma_f32 v[12:13], v[12:13], v[14:15], v[70:71]
	v_pk_fma_f32 v[2:3], v[2:3], v[6:7], v[16:17] op_sel_hi:[0,1,0] neg_lo:[0,0,1] neg_hi:[0,0,1]
	v_cvt_f32_i32_e32 v7, v17
	v_cvt_f32_i32_e32 v6, v9
	v_mov_b32_e32 v80, v11
	v_pk_fma_f32 v[2:3], v[80:81], v[2:3], v[12:13]
	v_pk_fma_f32 v[4:5], v[4:5], v[162:163], v[8:9] op_sel_hi:[0,1,0] neg_lo:[0,0,1] neg_hi:[0,0,1]
	v_mov_b32_e32 v8, v76
	v_mov_b32_e32 v9, v72
	v_pk_fma_f32 v[2:3], v[8:9], v[4:5], v[2:3]
	v_pk_fma_f32 v[4:5], v[164:165], v[6:7], v[166:167] op_sel_hi:[0,1,0] neg_lo:[0,0,1] neg_hi:[0,0,1]
	v_mov_b32_e32 v72, v77
	v_pk_fma_f32 v[70:71], v[72:73], v[4:5], v[2:3]
	s_cmp_ge_i32 s14, s15
	s_barrier
	s_cbranch_scc1 .LBB197_5
; %bb.13:                               ;   in Loop: Header=BB197_6 Depth=1
	v_add_u32_e32 v2, s18, v108
	v_cmp_gt_i32_e64 s[2:3], s5, v2
	s_and_b64 s[22:23], s[0:1], s[2:3]
	s_and_saveexec_b64 s[2:3], s[22:23]
	s_cbranch_execz .LBB197_15
; %bb.14:                               ;   in Loop: Header=BB197_6 Depth=1
	v_add_u32_e32 v2, s18, v109
	v_mad_i64_i32 v[2:3], s[22:23], v2, 36, v[24:25]
	global_load_dword v2, v[2:3], off offset:4
	s_waitcnt vmcnt(0)
	ds_write_b32 v99, v2
.LBB197_15:                             ;   in Loop: Header=BB197_6 Depth=1
	s_or_b64 exec, exec, s[2:3]
	s_and_saveexec_b64 s[22:23], vcc
	s_cbranch_execz .LBB197_4
; %bb.16:                               ;   in Loop: Header=BB197_6 Depth=1
	v_add3_u32 v2, v22, s18, 4
	v_cmp_gt_i32_e64 s[2:3], s5, v2
	s_and_b64 s[2:3], s[0:1], s[2:3]
	s_and_b64 exec, exec, s[2:3]
	s_cbranch_execz .LBB197_4
; %bb.17:                               ;   in Loop: Header=BB197_6 Depth=1
	global_load_dword v2, v[26:27], off
	s_waitcnt vmcnt(0)
	ds_write_b32 v100, v2
	s_branch .LBB197_4
.LBB197_18:
	v_mov_b32_e32 v2, 0
	s_mul_i32 s0, s7, s4
	s_waitcnt vmcnt(0)
	v_cmp_gt_i32_e32 vcc, s0, v1
	s_and_saveexec_b64 s[0:1], vcc
	s_cbranch_execnz .LBB197_21
.LBB197_19:
	s_endpgm
.LBB197_20:
	v_cvt_f16_f32_e32 v2, v69
	v_cvt_f16_f32_e32 v3, v68
	;; [unrolled: 1-line block ×4, first 2 shown]
	v_pack_b32_f16 v2, v3, v2
	v_pack_b32_f16 v3, v5, v4
	s_mul_i32 s0, s7, s4
	v_cmp_gt_i32_e32 vcc, s0, v1
	s_and_saveexec_b64 s[0:1], vcc
	s_cbranch_execz .LBB197_19
.LBB197_21:
	v_and_b32_e32 v0, 0x3ff, v0
	v_add_u32_e32 v4, s24, v0
	v_mul_lo_u32 v0, v1, s6
	v_cmp_gt_u32_e32 vcc, s6, v4
	s_and_saveexec_b64 s[0:1], vcc
	s_cbranch_execz .LBB197_23
; %bb.22:
	v_add_u32_e32 v6, v0, v4
	v_mov_b32_e32 v7, 0
	v_lshl_add_u64 v[6:7], v[6:7], 1, s[12:13]
	global_store_short v[6:7], v2, off
.LBB197_23:
	s_or_b64 exec, exec, s[0:1]
	v_add_u32_e32 v1, 32, v4
	v_cmp_gt_u32_e32 vcc, s6, v1
	s_and_saveexec_b64 s[0:1], vcc
	s_cbranch_execz .LBB197_25
; %bb.24:
	v_add_u32_e32 v6, v0, v1
	v_mov_b32_e32 v7, 0
	v_lshl_add_u64 v[6:7], v[6:7], 1, s[12:13]
	global_store_short_d16_hi v[6:7], v2, off
.LBB197_25:
	s_or_b64 exec, exec, s[0:1]
	v_add_u32_e32 v1, 64, v4
	v_cmp_gt_u32_e32 vcc, s6, v1
	s_and_saveexec_b64 s[0:1], vcc
	s_cbranch_execz .LBB197_27
; %bb.26:
	v_add_u32_e32 v6, v0, v1
	v_mov_b32_e32 v7, 0
	v_lshl_add_u64 v[6:7], v[6:7], 1, s[12:13]
	global_store_short v[6:7], v3, off
.LBB197_27:
	s_or_b64 exec, exec, s[0:1]
	v_add_u32_e32 v1, 0x60, v4
	v_cmp_gt_u32_e32 vcc, s6, v1
	s_and_b64 exec, exec, vcc
	s_cbranch_execz .LBB197_19
; %bb.28:
	v_add_u32_e32 v0, v0, v1
	v_mov_b32_e32 v1, 0
	v_lshl_add_u64 v[0:1], v[0:1], 1, s[12:13]
	global_store_short_d16_hi v[0:1], v3, off
	s_endpgm
	.section	.rodata,"a",@progbits
	.p2align	6, 0x0
	.amdhsa_kernel _ZL8moe_q4_0IN3c104HalfELb0EEvPKvS3_PT_PKiS7_S7_iiiiiii
		.amdhsa_group_segment_fixed_size 22272
		.amdhsa_private_segment_fixed_size 0
		.amdhsa_kernarg_size 76
		.amdhsa_user_sgpr_count 2
		.amdhsa_user_sgpr_dispatch_ptr 0
		.amdhsa_user_sgpr_queue_ptr 0
		.amdhsa_user_sgpr_kernarg_segment_ptr 1
		.amdhsa_user_sgpr_dispatch_id 0
		.amdhsa_user_sgpr_kernarg_preload_length 0
		.amdhsa_user_sgpr_kernarg_preload_offset 0
		.amdhsa_user_sgpr_private_segment_size 0
		.amdhsa_uses_dynamic_stack 0
		.amdhsa_enable_private_segment 0
		.amdhsa_system_sgpr_workgroup_id_x 1
		.amdhsa_system_sgpr_workgroup_id_y 1
		.amdhsa_system_sgpr_workgroup_id_z 0
		.amdhsa_system_sgpr_workgroup_info 0
		.amdhsa_system_vgpr_workitem_id 1
		.amdhsa_next_free_vgpr 168
		.amdhsa_next_free_sgpr 26
		.amdhsa_accum_offset 168
		.amdhsa_reserve_vcc 1
		.amdhsa_float_round_mode_32 0
		.amdhsa_float_round_mode_16_64 0
		.amdhsa_float_denorm_mode_32 3
		.amdhsa_float_denorm_mode_16_64 3
		.amdhsa_dx10_clamp 1
		.amdhsa_ieee_mode 1
		.amdhsa_fp16_overflow 0
		.amdhsa_tg_split 0
		.amdhsa_exception_fp_ieee_invalid_op 0
		.amdhsa_exception_fp_denorm_src 0
		.amdhsa_exception_fp_ieee_div_zero 0
		.amdhsa_exception_fp_ieee_overflow 0
		.amdhsa_exception_fp_ieee_underflow 0
		.amdhsa_exception_fp_ieee_inexact 0
		.amdhsa_exception_int_div_zero 0
	.end_amdhsa_kernel
	.section	.text._ZL8moe_q4_0IN3c104HalfELb0EEvPKvS3_PT_PKiS7_S7_iiiiiii,"axG",@progbits,_ZL8moe_q4_0IN3c104HalfELb0EEvPKvS3_PT_PKiS7_S7_iiiiiii,comdat
.Lfunc_end197:
	.size	_ZL8moe_q4_0IN3c104HalfELb0EEvPKvS3_PT_PKiS7_S7_iiiiiii, .Lfunc_end197-_ZL8moe_q4_0IN3c104HalfELb0EEvPKvS3_PT_PKiS7_S7_iiiiiii
                                        ; -- End function
	.section	.AMDGPU.csdata,"",@progbits
; Kernel info:
; codeLenInByte = 8788
; NumSgprs: 32
; NumVgprs: 168
; NumAgprs: 0
; TotalNumVgprs: 168
; ScratchSize: 0
; MemoryBound: 0
; FloatMode: 240
; IeeeMode: 1
; LDSByteSize: 22272 bytes/workgroup (compile time only)
; SGPRBlocks: 3
; VGPRBlocks: 20
; NumSGPRsForWavesPerEU: 32
; NumVGPRsForWavesPerEU: 168
; AccumOffset: 168
; Occupancy: 2
; WaveLimiterHint : 1
; COMPUTE_PGM_RSRC2:SCRATCH_EN: 0
; COMPUTE_PGM_RSRC2:USER_SGPR: 2
; COMPUTE_PGM_RSRC2:TRAP_HANDLER: 0
; COMPUTE_PGM_RSRC2:TGID_X_EN: 1
; COMPUTE_PGM_RSRC2:TGID_Y_EN: 1
; COMPUTE_PGM_RSRC2:TGID_Z_EN: 0
; COMPUTE_PGM_RSRC2:TIDIG_COMP_CNT: 1
; COMPUTE_PGM_RSRC3_GFX90A:ACCUM_OFFSET: 41
; COMPUTE_PGM_RSRC3_GFX90A:TG_SPLIT: 0
	.section	.text._ZL8moe_q4_0IN3c104HalfELb1EEvPKvS3_PT_PKiS7_S7_iiiiiii,"axG",@progbits,_ZL8moe_q4_0IN3c104HalfELb1EEvPKvS3_PT_PKiS7_S7_iiiiiii,comdat
	.globl	_ZL8moe_q4_0IN3c104HalfELb1EEvPKvS3_PT_PKiS7_S7_iiiiiii ; -- Begin function _ZL8moe_q4_0IN3c104HalfELb1EEvPKvS3_PT_PKiS7_S7_iiiiiii
	.p2align	8
	.type	_ZL8moe_q4_0IN3c104HalfELb1EEvPKvS3_PT_PKiS7_S7_iiiiiii,@function
_ZL8moe_q4_0IN3c104HalfELb1EEvPKvS3_PT_PKiS7_S7_iiiiiii: ; @_ZL8moe_q4_0IN3c104HalfELb1EEvPKvS3_PT_PKiS7_S7_iiiiiii
; %bb.0:
	s_load_dwordx4 s[4:7], s[0:1], 0x18
	s_mov_b32 s8, s3
	s_mov_b32 s9, 0
	s_lshl_b64 s[10:11], s[8:9], 2
	s_waitcnt lgkmcnt(0)
	s_add_u32 s6, s6, s10
	s_addc_u32 s7, s7, s11
	s_load_dword s3, s[6:7], 0x0
	s_waitcnt lgkmcnt(0)
	s_cmpk_gt_u32 s3, 0xff
	s_cbranch_scc1 .LBB198_19
; %bb.1:
	s_load_dwordx2 s[6:7], s[0:1], 0x28
	s_waitcnt lgkmcnt(0)
	s_load_dword s7, s[6:7], 0x0
	s_lshl_b32 s6, s8, 3
	s_waitcnt lgkmcnt(0)
	s_cmp_gt_u32 s6, s7
	s_cbranch_scc1 .LBB198_19
; %bb.2:
	v_bfe_u32 v4, v0, 10, 10
	v_mov_b32_e32 v6, s4
	v_mov_b32_e32 v7, s5
	v_add_u32_e32 v2, s6, v4
	v_mov_b32_e32 v3, 0
	v_lshl_add_u64 v[6:7], v[2:3], 2, v[6:7]
	global_load_dword v1, v[6:7], off
	s_load_dwordx8 s[4:11], s[0:1], 0x30
	s_load_dwordx2 s[16:17], s[0:1], 0x10
	s_waitcnt lgkmcnt(0)
	s_lshl_b32 s11, s2, 7
	s_cmp_lt_i32 s5, 32
	s_cbranch_scc1 .LBB198_18
; %bb.3:
	s_load_dwordx4 s[12:15], s[0:1], 0x0
	s_ashr_i32 s0, s5, 31
	s_lshr_b32 s0, s0, 27
	s_add_i32 s0, s5, s0
	s_ashr_i32 s26, s0, 5
	s_ashr_i32 s0, s8, 31
	s_lshr_b32 s0, s0, 27
	s_add_i32 s0, s8, s0
	s_ashr_i32 s8, s0, 5
	s_not_b32 s0, s11
	s_mul_i32 s18, s3, s4
	s_add_i32 s3, s0, s6
	v_and_b32_e32 v22, 0x3ff, v0
	v_lshlrev_b32_e32 v6, 2, v22
	v_min_i32_e32 v5, s3, v4
	s_movk_i32 s4, 0x84
	v_mul_lo_u32 v11, v5, s26
	v_mad_u64_u32 v[24:25], s[0:1], v5, s4, v[6:7]
	v_add_u32_e32 v5, 8, v4
	v_min_i32_e32 v5, s3, v5
	v_mul_lo_u32 v12, v5, s26
	v_mad_u64_u32 v[26:27], s[0:1], v5, s4, v[6:7]
	v_add_u32_e32 v5, 16, v4
	v_min_i32_e32 v5, s3, v5
	;; [unrolled: 4-line block ×15, first 2 shown]
	v_mul_lo_u32 v53, v5, s26
	v_mad_u64_u32 v[54:55], s[0:1], v5, s4, v[6:7]
	v_lshlrev_b32_e32 v5, 2, v4
	v_lshrrev_b32_e32 v25, 3, v22
	v_add_u32_e32 v7, v25, v5
	v_min_i32_e32 v8, s3, v7
	v_ashrrev_i32_e32 v9, 31, v8
	v_lshrrev_b32_e32 v9, 30, v9
	v_and_b32_e32 v55, 7, v22
	v_mul_lo_u32 v92, v8, s26
	v_add_u32_e32 v9, v8, v9
	v_lshlrev_b32_e32 v103, 5, v8
	v_add_u32_e32 v8, 32, v7
	v_and_b32_e32 v9, -4, v9
	v_lshlrev_b32_e32 v23, 2, v55
	s_movk_i32 s0, 0x4200
	v_min_i32_e32 v8, s3, v8
	v_add3_u32 v102, v9, v23, s0
	v_ashrrev_i32_e32 v9, 31, v8
	v_lshrrev_b32_e32 v9, 30, v9
	v_mul_lo_u32 v94, v8, s26
	v_add_u32_e32 v9, v8, v9
	v_lshlrev_b32_e32 v105, 5, v8
	v_add_u32_e32 v8, 64, v7
	v_and_b32_e32 v9, -4, v9
	v_min_i32_e32 v8, s3, v8
	v_add3_u32 v104, v9, v23, s0
	v_ashrrev_i32_e32 v9, 31, v8
	v_add_u32_e32 v7, 0x60, v7
	v_lshrrev_b32_e32 v9, 30, v9
	v_min_i32_e32 v7, s3, v7
	v_mul_lo_u32 v96, v8, s26
	v_add_u32_e32 v9, v8, v9
	v_lshlrev_b32_e32 v107, 5, v8
	v_ashrrev_i32_e32 v8, 31, v7
	v_lshrrev_b32_e32 v8, 30, v8
	v_mov_b32_e32 v3, 0
	v_add_u32_e32 v8, v7, v8
	v_and_b32_e32 v2, 12, v6
	v_mul_lo_u32 v98, v7, s26
	v_and_b32_e32 v8, -4, v8
	v_lshlrev_b32_e32 v109, 5, v7
	v_and_b32_e32 v6, 28, v6
	v_mov_b32_e32 v7, v3
	v_add3_u32 v108, v8, v23, s0
	v_and_b32_e32 v8, 31, v22
	s_waitcnt lgkmcnt(0)
	v_lshl_add_u64 v[56:57], s[14:15], 0, v[6:7]
	v_lshlrev_b32_e32 v6, 7, v4
	v_lshl_or_b32 v7, v8, 2, v6
	v_add_u32_e32 v27, 0x5280, v7
	v_or_b32_e32 v5, v5, v22
	v_mov_b32_e32 v7, 0x5680
	v_lshl_add_u32 v29, v5, 2, v7
	v_lshl_add_u32 v33, v4, 4, v7
	v_and_b32_e32 v4, 0xfc, v22
	v_lshlrev_b32_e32 v5, 5, v22
	v_add3_u32 v37, v5, v4, s0
	v_add_u32_e32 v4, 32, v22
	v_add_u32_e32 v31, 0x5280, v6
	v_and_b32_e32 v5, 0x1fc, v4
	v_lshlrev_b32_e32 v6, 5, v4
	v_add3_u32 v39, v6, v5, s0
	v_add_u32_e32 v5, 64, v22
	v_and_b32_e32 v6, 0x1fc, v5
	v_lshlrev_b32_e32 v5, 5, v5
	s_abs_i32 s3, s10
	v_add3_u32 v41, v5, v6, s0
	v_cvt_f32_u32_e32 v6, s3
	v_add_u32_e32 v5, 0x60, v22
	v_and_b32_e32 v7, 0x1fc, v5
	v_lshlrev_b32_e32 v5, 5, v5
	v_add3_u32 v43, v5, v7, s0
	v_rcp_iflag_f32_e32 v5, v6
	v_and_b32_e32 v9, -4, v9
	v_add3_u32 v106, v9, v23, s0
	s_sub_i32 s0, 0, s3
	v_mul_f32_e32 v5, 0x4f7ffffe, v5
	v_cvt_u32_f32_e32 v5, v5
	s_waitcnt vmcnt(0)
	v_sub_u32_e32 v6, 0, v1
	v_max_i32_e32 v6, v1, v6
	v_lshrrev_b32_e32 v45, 3, v4
	v_mul_lo_u32 v7, s0, v5
	v_mul_hi_u32 v7, v5, v7
	v_add_u32_e32 v5, v5, v7
	v_mul_hi_u32 v5, v6, v5
	v_mul_lo_u32 v7, v5, s3
	v_sub_u32_e32 v6, v6, v7
	v_add_u32_e32 v7, 1, v5
	v_cmp_le_u32_e64 s[0:1], s3, v6
	v_xor_b32_e32 v4, s10, v1
	v_ashrrev_i32_e32 v4, 31, v4
	v_cndmask_b32_e64 v5, v5, v7, s[0:1]
	v_subrev_u32_e32 v7, s3, v6
	v_cndmask_b32_e64 v6, v6, v7, s[0:1]
	v_add_u32_e32 v7, 1, v5
	v_cmp_le_u32_e64 s[0:1], s3, v6
	s_mul_i32 s2, s26, s11
	v_mov_b32_e32 v23, v3
	v_cndmask_b32_e64 v5, v5, v7, s[0:1]
	v_xor_b32_e32 v5, v5, v4
	v_sub_u32_e32 v4, v5, v4
	v_cmp_gt_i32_e64 s[0:1], s7, v4
	v_mul_lo_u32 v4, v4, s8
	v_ashrrev_i32_e32 v5, 31, v4
	s_mul_hi_i32 s3, s2, 18
	s_mul_i32 s4, s2, 18
	v_lshrrev_b32_e32 v10, 2, v22
	v_lshl_add_u64 v[6:7], v[4:5], 0, v[22:23]
	v_add_u32_e32 v23, v22, v4
	v_add_u32_e32 v47, v45, v4
	;; [unrolled: 1-line block ×3, first 2 shown]
	v_mov_b32_e32 v4, s4
	v_mov_b32_e32 v5, s3
	v_mad_u64_u32 v[8:9], s[22:23], v6, 36, s[14:15]
	v_mad_u64_u32 v[4:5], s[24:25], v10, 18, v[4:5]
	v_mad_i32_i24 v9, v7, 36, v9
	v_mad_i64_i32 v[6:7], s[24:25], v11, 18, v[4:5]
	v_lshl_add_u64 v[6:7], v[6:7], 0, v[2:3]
	v_lshl_add_u64 v[6:7], v[6:7], 0, s[12:13]
	v_lshl_add_u64 v[60:61], v[6:7], 0, 2
	v_mad_i64_i32 v[6:7], s[24:25], v12, 18, v[4:5]
	v_lshl_add_u64 v[6:7], v[6:7], 0, v[2:3]
	v_lshl_add_u64 v[6:7], v[6:7], 0, s[12:13]
	v_lshl_add_u64 v[62:63], v[6:7], 0, 2
	;; [unrolled: 4-line block ×14, first 2 shown]
	v_mad_i64_i32 v[6:7], s[24:25], v51, 18, v[4:5]
	v_mad_i64_i32 v[4:5], s[24:25], v53, 18, v[4:5]
	v_lshl_add_u64 v[6:7], v[6:7], 0, v[2:3]
	v_lshl_add_u64 v[2:3], v[4:5], 0, v[2:3]
	;; [unrolled: 1-line block ×4, first 2 shown]
	v_mad_i64_i32 v[2:3], s[24:25], v92, 18, 0
	v_mad_i64_i32 v[2:3], s[24:25], s2, 18, v[2:3]
	v_mad_u64_u32 v[2:3], s[24:25], v55, 18, v[2:3]
	v_lshl_add_u64 v[92:93], s[12:13], 0, v[2:3]
	v_mad_i64_i32 v[2:3], s[24:25], v94, 18, 0
	v_mad_i64_i32 v[2:3], s[24:25], s2, 18, v[2:3]
	v_mad_u64_u32 v[2:3], s[24:25], v55, 18, v[2:3]
	v_lshl_add_u64 v[94:95], s[12:13], 0, v[2:3]
	v_mad_i64_i32 v[2:3], s[24:25], v96, 18, 0
	v_mad_i64_i32 v[2:3], s[24:25], s2, 18, v[2:3]
	v_mad_u64_u32 v[2:3], s[24:25], v55, 18, v[2:3]
	v_lshl_add_u64 v[96:97], s[12:13], 0, v[2:3]
	v_mad_i64_i32 v[2:3], s[24:25], v98, 18, 0
	s_mov_b32 s20, 0
	v_mad_i64_i32 v[2:3], s[2:3], s2, 18, v[2:3]
	v_mul_u32_u24_e32 v35, 0x84, v22
	s_mov_b64 s[22:23], 0x90
	v_lshl_add_u64 v[6:7], v[6:7], 0, s[12:13]
	v_mad_u64_u32 v[2:3], s[2:3], v55, 18, v[2:3]
	s_mov_b32 s21, s20
	s_ashr_i32 s19, s18, 31
	v_cmp_gt_u32_e32 vcc, 4, v22
	v_lshl_add_u64 v[58:59], v[8:9], 0, s[22:23]
	v_lshl_add_u64 v[88:89], v[6:7], 0, 2
	;; [unrolled: 1-line block ×3, first 2 shown]
	s_movk_i32 s4, 0x80
	v_mov_b64_e32 v[100:101], s[20:21]
	v_add_u32_e32 v51, v102, v103
	v_add_u32_e32 v53, v104, v105
	;; [unrolled: 1-line block ×28, first 2 shown]
	s_mov_b64 s[12:13], 0x120
	v_mov_b64_e32 v[102:103], s[20:21]
	s_branch .LBB198_6
.LBB198_4:                              ;   in Loop: Header=BB198_6 Depth=1
	s_or_b64 exec, exec, s[24:25]
	s_waitcnt lgkmcnt(0)
	s_barrier
	ds_read_b128 v[2:5], v33
	ds_read_b128 v[14:17], v31
	ds_read_b128 v[18:21], v31 offset:16
	ds_read2_b32 v[106:107], v35 offset0:16 offset1:17
	ds_read_b128 v[6:9], v31 offset:32
	ds_read_b128 v[10:13], v31 offset:48
	v_mov_b32_e32 v161, 0
	v_add_u32_e32 v142, 0x2140, v35
	v_add_u32_e32 v144, 0x2148, v35
	s_waitcnt lgkmcnt(2)
	v_lshrrev_b32_e32 v105, 4, v106
	v_and_b32_e32 v108, 0xf0f0f0f, v106
	v_and_b32_e32 v106, 0xf0f0f0f, v105
	v_mov_b32_e32 v105, 0
	v_dot4c_i32_i8_e32 v105, v108, v14
	v_dot4c_i32_i8_e32 v105, v106, v18
	v_and_b32_e32 v106, 0xf0f0f0f, v107
	v_lshrrev_b32_e32 v107, 4, v107
	v_and_b32_e32 v108, 0xf0f0f0f, v107
	v_dot4c_i32_i8_e32 v105, v106, v15
	ds_read2_b32 v[106:107], v35 offset0:18 offset1:19
	v_dot4c_i32_i8_e32 v105, v108, v19
	ds_read2_b32 v[108:109], v35 offset0:20 offset1:21
	ds_read2_b32 v[110:111], v35 offset0:22 offset1:23
	;; [unrolled: 1-line block ×3, first 2 shown]
	v_mov_b32_e32 v162, 0
	v_mov_b32_e32 v163, 0
	s_waitcnt lgkmcnt(3)
	v_and_b32_e32 v139, 0xf0f0f0f, v106
	v_dot4c_i32_i8_e32 v105, v139, v16
	v_add_u32_e32 v139, 0x10c0, v35
	ds_read2_b32 v[140:141], v139 offset1:1
	v_lshrrev_b32_e32 v106, 4, v106
	v_and_b32_e32 v106, 0xf0f0f0f, v106
	v_dot4c_i32_i8_e32 v105, v106, v20
	v_and_b32_e32 v106, 0xf0f0f0f, v107
	v_lshrrev_b32_e32 v107, 4, v107
	v_and_b32_e32 v107, 0xf0f0f0f, v107
	v_dot4c_i32_i8_e32 v105, v106, v17
	v_dot4c_i32_i8_e32 v105, v107, v21
	ds_read2_b32 v[106:107], v43 offset0:6 offset1:7
	s_waitcnt lgkmcnt(1)
	v_and_b32_e32 v139, 0xf0f0f0f, v140
	v_lshrrev_b32_e32 v140, 4, v140
	v_and_b32_e32 v140, 0xf0f0f0f, v140
	v_dot4c_i32_i8_e32 v161, v139, v14
	v_dot4c_i32_i8_e32 v161, v140, v18
	v_and_b32_e32 v139, 0xf0f0f0f, v141
	v_lshrrev_b32_e32 v140, 4, v141
	v_and_b32_e32 v140, 0xf0f0f0f, v140
	v_dot4c_i32_i8_e32 v161, v139, v15
	v_add_u32_e32 v139, 0x10c8, v35
	v_dot4c_i32_i8_e32 v161, v140, v19
	ds_read2_b32 v[140:141], v139 offset1:1
	v_add_u32_e32 v139, 0x31c0, v35
	ds_read2_b32 v[142:143], v142 offset1:1
	ds_read2_b32 v[144:145], v144 offset1:1
	;; [unrolled: 1-line block ×3, first 2 shown]
	v_mov_b32_e32 v164, 0
	v_mov_b32_e32 v165, 0
	s_waitcnt lgkmcnt(3)
	v_and_b32_e32 v139, 0xf0f0f0f, v140
	v_lshrrev_b32_e32 v140, 4, v140
	v_and_b32_e32 v140, 0xf0f0f0f, v140
	v_dot4c_i32_i8_e32 v161, v139, v16
	v_dot4c_i32_i8_e32 v161, v140, v20
	v_and_b32_e32 v139, 0xf0f0f0f, v141
	v_lshrrev_b32_e32 v140, 4, v141
	v_and_b32_e32 v140, 0xf0f0f0f, v140
	v_dot4c_i32_i8_e32 v161, v139, v17
	s_waitcnt lgkmcnt(2)
	v_lshrrev_b32_e32 v139, 4, v142
	v_dot4c_i32_i8_e32 v161, v140, v21
	v_and_b32_e32 v140, 0xf0f0f0f, v142
	v_and_b32_e32 v141, 0xf0f0f0f, v139
	v_mov_b32_e32 v139, 0
	v_dot4c_i32_i8_e32 v139, v140, v14
	v_dot4c_i32_i8_e32 v139, v141, v18
	v_and_b32_e32 v140, 0xf0f0f0f, v143
	v_lshrrev_b32_e32 v141, 4, v143
	v_and_b32_e32 v141, 0xf0f0f0f, v141
	v_dot4c_i32_i8_e32 v139, v140, v15
	v_dot4c_i32_i8_e32 v139, v141, v19
	s_waitcnt lgkmcnt(1)
	v_and_b32_e32 v140, 0xf0f0f0f, v144
	v_lshrrev_b32_e32 v141, 4, v144
	v_and_b32_e32 v141, 0xf0f0f0f, v141
	v_dot4c_i32_i8_e32 v139, v140, v16
	v_dot4c_i32_i8_e32 v139, v141, v20
	v_and_b32_e32 v140, 0xf0f0f0f, v145
	v_lshrrev_b32_e32 v141, 4, v145
	v_and_b32_e32 v141, 0xf0f0f0f, v141
	v_dot4c_i32_i8_e32 v139, v140, v17
	s_waitcnt lgkmcnt(0)
	v_lshrrev_b32_e32 v140, 4, v146
	v_dot4c_i32_i8_e32 v139, v141, v21
	v_and_b32_e32 v141, 0xf0f0f0f, v146
	v_and_b32_e32 v142, 0xf0f0f0f, v140
	v_mov_b32_e32 v140, 0
	v_dot4c_i32_i8_e32 v140, v141, v14
	v_dot4c_i32_i8_e32 v140, v142, v18
	v_and_b32_e32 v14, 0xf0f0f0f, v147
	v_dot4c_i32_i8_e32 v140, v14, v15
	v_add_u32_e32 v14, 0x31c8, v35
	ds_read2_b32 v[14:15], v14 offset1:1
	v_lshrrev_b32_e32 v18, 4, v147
	v_and_b32_e32 v18, 0xf0f0f0f, v18
	v_dot4c_i32_i8_e32 v140, v18, v19
	v_add_u32_e32 v18, 0x10d0, v35
	v_add_u32_e32 v141, 0x10d8, v35
	;; [unrolled: 1-line block ×3, first 2 shown]
	ds_read2_b32 v[18:19], v18 offset1:1
	ds_read2_b32 v[142:143], v141 offset1:1
	;; [unrolled: 1-line block ×3, first 2 shown]
	s_waitcnt lgkmcnt(3)
	v_and_b32_e32 v141, 0xf0f0f0f, v14
	v_lshrrev_b32_e32 v14, 4, v14
	v_and_b32_e32 v14, 0xf0f0f0f, v14
	v_dot4c_i32_i8_e32 v140, v141, v16
	v_dot4c_i32_i8_e32 v140, v14, v20
	v_and_b32_e32 v14, 0xf0f0f0f, v15
	v_lshrrev_b32_e32 v15, 4, v15
	v_and_b32_e32 v15, 0xf0f0f0f, v15
	v_dot4c_i32_i8_e32 v140, v14, v17
	v_cvt_f32_f16_sdwa v16, v3 dst_sel:DWORD dst_unused:UNUSED_PAD src0_sel:WORD_1
	v_dot4c_i32_i8_e32 v140, v15, v21
	v_cvt_f32_f16_e32 v14, v3
	v_and_b32_e32 v3, 0xf0f0f0f, v108
	v_lshrrev_b32_e32 v15, 4, v108
	v_mov_b32_e32 v17, 0
	v_and_b32_e32 v15, 0xf0f0f0f, v15
	v_dot4c_i32_i8_e32 v17, v3, v6
	v_dot4c_i32_i8_e32 v17, v15, v10
	v_and_b32_e32 v3, 0xf0f0f0f, v109
	v_lshrrev_b32_e32 v15, 4, v109
	v_and_b32_e32 v15, 0xf0f0f0f, v15
	v_dot4c_i32_i8_e32 v17, v3, v7
	v_dot4c_i32_i8_e32 v17, v15, v11
	v_and_b32_e32 v3, 0xf0f0f0f, v110
	v_lshrrev_b32_e32 v15, 4, v110
	;; [unrolled: 5-line block ×3, first 2 shown]
	v_and_b32_e32 v15, 0xf0f0f0f, v15
	v_dot4c_i32_i8_e32 v17, v3, v9
	v_dot4c_i32_i8_e32 v17, v15, v13
	s_waitcnt lgkmcnt(2)
	v_and_b32_e32 v3, 0xf0f0f0f, v18
	v_lshrrev_b32_e32 v15, 4, v18
	v_mov_b32_e32 v141, 0
	v_and_b32_e32 v15, 0xf0f0f0f, v15
	v_dot4c_i32_i8_e32 v141, v3, v6
	v_dot4c_i32_i8_e32 v141, v15, v10
	v_and_b32_e32 v3, 0xf0f0f0f, v19
	v_lshrrev_b32_e32 v15, 4, v19
	v_and_b32_e32 v15, 0xf0f0f0f, v15
	v_dot4c_i32_i8_e32 v141, v3, v7
	v_dot4c_i32_i8_e32 v141, v15, v11
	s_waitcnt lgkmcnt(1)
	v_and_b32_e32 v3, 0xf0f0f0f, v142
	v_lshrrev_b32_e32 v15, 4, v142
	v_and_b32_e32 v15, 0xf0f0f0f, v15
	v_dot4c_i32_i8_e32 v141, v3, v8
	v_dot4c_i32_i8_e32 v141, v15, v12
	v_and_b32_e32 v3, 0xf0f0f0f, v143
	v_lshrrev_b32_e32 v15, 4, v143
	v_and_b32_e32 v15, 0xf0f0f0f, v15
	v_dot4c_i32_i8_e32 v141, v3, v9
	v_dot4c_i32_i8_e32 v141, v15, v13
	s_waitcnt lgkmcnt(0)
	v_and_b32_e32 v3, 0xf0f0f0f, v144
	v_lshrrev_b32_e32 v15, 4, v144
	v_and_b32_e32 v15, 0xf0f0f0f, v15
	v_dot4c_i32_i8_e32 v162, v3, v6
	v_dot4c_i32_i8_e32 v162, v15, v10
	v_and_b32_e32 v3, 0xf0f0f0f, v145
	v_dot4c_i32_i8_e32 v162, v3, v7
	v_add_u32_e32 v3, 0x2158, v35
	ds_read2_b32 v[18:19], v3 offset1:1
	v_lshrrev_b32_e32 v15, 4, v145
	v_and_b32_e32 v15, 0xf0f0f0f, v15
	v_dot4c_i32_i8_e32 v162, v15, v11
	v_add_u32_e32 v15, 0x31d0, v35
	v_add_u32_e32 v108, 0x31d8, v35
	;; [unrolled: 1-line block ×3, first 2 shown]
	ds_read2_b32 v[20:21], v15 offset1:1
	ds_read2_b32 v[108:109], v108 offset1:1
	;; [unrolled: 1-line block ×3, first 2 shown]
	s_waitcnt lgkmcnt(3)
	v_and_b32_e32 v3, 0xf0f0f0f, v18
	v_lshrrev_b32_e32 v15, 4, v18
	v_and_b32_e32 v15, 0xf0f0f0f, v15
	v_dot4c_i32_i8_e32 v162, v3, v8
	v_dot4c_i32_i8_e32 v162, v15, v12
	v_and_b32_e32 v3, 0xf0f0f0f, v19
	v_lshrrev_b32_e32 v15, 4, v19
	v_and_b32_e32 v15, 0xf0f0f0f, v15
	v_dot4c_i32_i8_e32 v162, v3, v9
	v_dot4c_i32_i8_e32 v162, v15, v13
	s_waitcnt lgkmcnt(2)
	v_and_b32_e32 v3, 0xf0f0f0f, v20
	v_lshrrev_b32_e32 v15, 4, v20
	v_and_b32_e32 v15, 0xf0f0f0f, v15
	v_dot4c_i32_i8_e32 v163, v3, v6
	v_dot4c_i32_i8_e32 v163, v15, v10
	v_and_b32_e32 v3, 0xf0f0f0f, v21
	v_lshrrev_b32_e32 v6, 4, v21
	v_and_b32_e32 v6, 0xf0f0f0f, v6
	v_dot4c_i32_i8_e32 v163, v3, v7
	v_dot4c_i32_i8_e32 v163, v6, v11
	s_waitcnt lgkmcnt(1)
	v_and_b32_e32 v3, 0xf0f0f0f, v108
	v_lshrrev_b32_e32 v6, 4, v108
	v_and_b32_e32 v6, 0xf0f0f0f, v6
	v_dot4c_i32_i8_e32 v163, v3, v8
	v_dot4c_i32_i8_e32 v163, v6, v12
	v_and_b32_e32 v3, 0xf0f0f0f, v109
	v_dot4c_i32_i8_e32 v163, v3, v9
	v_cvt_f32_f16_sdwa v3, v4 dst_sel:DWORD dst_unused:UNUSED_PAD src0_sel:WORD_1
	ds_read_b128 v[142:145], v31 offset:64
	ds_read_b128 v[146:149], v31 offset:80
	v_lshrrev_b32_e32 v6, 4, v109
	v_and_b32_e32 v6, 0xf0f0f0f, v6
	ds_read2_b32 v[8:9], v41 offset0:4 offset1:5
	ds_read2_b32 v[18:19], v39 offset0:6 offset1:7
	;; [unrolled: 1-line block ×5, first 2 shown]
	v_dot4c_i32_i8_e32 v163, v6, v13
	v_mul_f32_e32 v6, 0x41000000, v3
	v_and_b32_e32 v3, 0xf0f0f0f, v112
	v_lshrrev_b32_e32 v7, 4, v112
	v_mov_b32_e32 v15, 0
	v_and_b32_e32 v7, 0xf0f0f0f, v7
	s_waitcnt lgkmcnt(6)
	v_dot4c_i32_i8_e32 v15, v3, v142
	s_waitcnt lgkmcnt(5)
	v_dot4c_i32_i8_e32 v15, v7, v146
	v_and_b32_e32 v3, 0xf0f0f0f, v113
	v_lshrrev_b32_e32 v7, 4, v113
	v_and_b32_e32 v7, 0xf0f0f0f, v7
	v_dot4c_i32_i8_e32 v15, v3, v143
	v_dot4c_i32_i8_e32 v15, v7, v147
	s_waitcnt lgkmcnt(0)
	v_and_b32_e32 v3, 0xf0f0f0f, v10
	v_lshrrev_b32_e32 v7, 4, v10
	v_and_b32_e32 v7, 0xf0f0f0f, v7
	v_dot4c_i32_i8_e32 v15, v3, v144
	v_dot4c_i32_i8_e32 v15, v7, v148
	v_and_b32_e32 v3, 0xf0f0f0f, v11
	v_lshrrev_b32_e32 v7, 4, v11
	v_and_b32_e32 v7, 0xf0f0f0f, v7
	v_dot4c_i32_i8_e32 v15, v3, v145
	v_dot4c_i32_i8_e32 v15, v7, v149
	;; [unrolled: 5-line block ×3, first 2 shown]
	v_and_b32_e32 v3, 0xf0f0f0f, v111
	v_dot4c_i32_i8_e32 v164, v3, v143
	v_add_u32_e32 v3, 0x10e8, v35
	ds_read2_b32 v[150:151], v35 offset0:28 offset1:29
	ds_read2_b32 v[152:153], v37 offset0:4 offset1:5
	;; [unrolled: 1-line block ×3, first 2 shown]
	ds_read2_b32 v[10:11], v3 offset1:1
	v_lshrrev_b32_e32 v7, 4, v111
	v_and_b32_e32 v7, 0xf0f0f0f, v7
	v_dot4c_i32_i8_e32 v164, v7, v147
	v_add_u32_e32 v7, 0x2160, v35
	v_add_u32_e32 v3, 0x31e0, v35
	v_add_u32_e32 v12, 0x2168, v35
	ds_read2_b32 v[110:111], v7 offset1:1
	ds_read2_b32 v[112:113], v12 offset1:1
	ds_read2_b32 v[156:157], v3 offset1:1
	s_waitcnt lgkmcnt(3)
	v_and_b32_e32 v3, 0xf0f0f0f, v10
	v_lshrrev_b32_e32 v7, 4, v10
	v_and_b32_e32 v7, 0xf0f0f0f, v7
	v_dot4c_i32_i8_e32 v164, v3, v144
	v_dot4c_i32_i8_e32 v164, v7, v148
	v_and_b32_e32 v3, 0xf0f0f0f, v11
	v_lshrrev_b32_e32 v7, 4, v11
	v_and_b32_e32 v7, 0xf0f0f0f, v7
	v_dot4c_i32_i8_e32 v164, v3, v145
	v_dot4c_i32_i8_e32 v164, v7, v149
	s_waitcnt lgkmcnt(2)
	v_and_b32_e32 v3, 0xf0f0f0f, v110
	v_lshrrev_b32_e32 v7, 4, v110
	v_and_b32_e32 v7, 0xf0f0f0f, v7
	v_dot4c_i32_i8_e32 v165, v3, v142
	v_dot4c_i32_i8_e32 v165, v7, v146
	v_and_b32_e32 v3, 0xf0f0f0f, v111
	v_lshrrev_b32_e32 v7, 4, v111
	v_and_b32_e32 v7, 0xf0f0f0f, v7
	v_dot4c_i32_i8_e32 v165, v3, v143
	v_dot4c_i32_i8_e32 v165, v7, v147
	;; [unrolled: 11-line block ×3, first 2 shown]
	s_waitcnt lgkmcnt(0)
	v_and_b32_e32 v3, 0xf0f0f0f, v156
	v_lshrrev_b32_e32 v7, 4, v156
	v_mov_b32_e32 v166, 0
	v_and_b32_e32 v7, 0xf0f0f0f, v7
	v_dot4c_i32_i8_e32 v166, v3, v142
	v_dot4c_i32_i8_e32 v166, v7, v146
	v_and_b32_e32 v3, 0xf0f0f0f, v157
	v_dot4c_i32_i8_e32 v166, v3, v143
	v_add_u32_e32 v3, 0x31e8, v35
	ds_read2_b32 v[12:13], v43 offset0:4 offset1:5
	ds_read2_b32 v[10:11], v41 offset0:6 offset1:7
	ds_read2_b32 v[110:111], v3 offset1:1
	v_lshrrev_b32_e32 v7, 4, v157
	v_and_b32_e32 v7, 0xf0f0f0f, v7
	v_dot4c_i32_i8_e32 v166, v7, v147
	v_add_u32_e32 v7, 0x10f0, v35
	v_add_u32_e32 v3, 0x2170, v35
	;; [unrolled: 1-line block ×3, first 2 shown]
	ds_read2_b32 v[146:147], v7 offset1:1
	ds_read2_b32 v[156:157], v112 offset1:1
	;; [unrolled: 1-line block ×3, first 2 shown]
	s_waitcnt lgkmcnt(3)
	v_and_b32_e32 v3, 0xf0f0f0f, v110
	v_lshrrev_b32_e32 v7, 4, v110
	v_and_b32_e32 v7, 0xf0f0f0f, v7
	v_dot4c_i32_i8_e32 v166, v3, v144
	v_dot4c_i32_i8_e32 v166, v7, v148
	v_and_b32_e32 v3, 0xf0f0f0f, v111
	v_dot4c_i32_i8_e32 v166, v3, v145
	v_cvt_f32_f16_sdwa v3, v5 dst_sel:DWORD dst_unused:UNUSED_PAD src0_sel:WORD_1
	v_lshrrev_b32_e32 v7, 4, v111
	ds_read_b128 v[110:113], v31 offset:96
	ds_read_b128 v[142:145], v31 offset:112
	v_and_b32_e32 v7, 0xf0f0f0f, v7
	v_dot4c_i32_i8_e32 v166, v7, v149
	v_cvt_f32_f16_e32 v148, v5
	v_mul_f32_e32 v160, 0x41000000, v3
	v_and_b32_e32 v3, 0xf0f0f0f, v150
	v_lshrrev_b32_e32 v5, 4, v150
	v_mov_b32_e32 v7, 0
	v_and_b32_e32 v5, 0xf0f0f0f, v5
	s_waitcnt lgkmcnt(1)
	v_dot4c_i32_i8_e32 v7, v3, v110
	s_waitcnt lgkmcnt(0)
	v_dot4c_i32_i8_e32 v7, v5, v142
	v_and_b32_e32 v3, 0xf0f0f0f, v151
	v_lshrrev_b32_e32 v5, 4, v151
	v_and_b32_e32 v5, 0xf0f0f0f, v5
	v_dot4c_i32_i8_e32 v7, v3, v111
	v_dot4c_i32_i8_e32 v7, v5, v143
	v_and_b32_e32 v3, 0xf0f0f0f, v154
	v_lshrrev_b32_e32 v5, 4, v154
	v_and_b32_e32 v5, 0xf0f0f0f, v5
	v_dot4c_i32_i8_e32 v7, v3, v112
	;; [unrolled: 5-line block ×3, first 2 shown]
	v_dot4c_i32_i8_e32 v7, v5, v145
	v_and_b32_e32 v3, 0xf0f0f0f, v146
	v_lshrrev_b32_e32 v5, 4, v146
	v_mov_b32_e32 v149, 0
	v_cvt_f32_f16_sdwa v104, v2 dst_sel:DWORD dst_unused:UNUSED_PAD src0_sel:WORD_1
	v_and_b32_e32 v5, 0xf0f0f0f, v5
	v_dot4c_i32_i8_e32 v149, v3, v110
	v_cvt_f32_f16_e32 v2, v2
	v_dot4c_i32_i8_e32 v149, v5, v142
	v_and_b32_e32 v3, 0xf0f0f0f, v147
	v_lshrrev_b32_e32 v5, 4, v147
	v_cvt_f32_i32_e32 v147, v161
	v_cvt_f32_i32_e32 v146, v105
	v_and_b32_e32 v5, 0xf0f0f0f, v5
	v_dot4c_i32_i8_e32 v149, v3, v111
	v_dot4c_i32_i8_e32 v149, v5, v143
	v_and_b32_e32 v3, 0xf0f0f0f, v156
	v_mul_f32_e32 v104, 0x41000000, v104
	v_dot4c_i32_i8_e32 v149, v3, v112
	v_and_b32_e32 v3, 0xf0f0f0f, v157
	v_lshrrev_b32_e32 v5, 4, v156
	v_pk_fma_f32 v[146:147], v[2:3], v[146:147], v[104:105] op_sel_hi:[0,1,0] neg_lo:[0,0,1] neg_hi:[0,0,1]
	v_mov_b32_e32 v150, v152
	v_mov_b32_e32 v151, v108
	v_cvt_f32_i32_e32 v155, v141
	v_cvt_f32_i32_e32 v154, v17
	v_cvt_f32_f16_e32 v4, v4
	v_and_b32_e32 v5, 0xf0f0f0f, v5
	v_pk_fma_f32 v[100:101], v[150:151], v[146:147], v[100:101]
	v_cvt_f32_i32_e32 v147, v164
	v_cvt_f32_i32_e32 v146, v15
	v_dot4c_i32_i8_e32 v149, v5, v144
	v_lshrrev_b32_e32 v5, 4, v157
	v_mul_f32_e32 v16, 0x41000000, v16
	v_and_b32_e32 v5, 0xf0f0f0f, v5
	v_dot4c_i32_i8_e32 v149, v3, v113
	v_dot4c_i32_i8_e32 v149, v5, v145
	v_pk_fma_f32 v[150:151], v[14:15], v[154:155], v[16:17] op_sel_hi:[0,1,0] neg_lo:[0,0,1] neg_hi:[0,0,1]
	v_mov_b32_e32 v108, v153
	v_pk_fma_f32 v[100:101], v[108:109], v[150:151], v[100:101]
	v_pk_fma_f32 v[108:109], v[4:5], v[146:147], v[6:7] op_sel_hi:[0,1,0] neg_lo:[0,0,1] neg_hi:[0,0,1]
	v_cvt_f32_i32_e32 v147, v149
	v_cvt_f32_i32_e32 v146, v7
	v_and_b32_e32 v3, 0xf0f0f0f, v158
	v_lshrrev_b32_e32 v5, 4, v158
	v_mov_b32_e32 v17, 0
	v_and_b32_e32 v5, 0xf0f0f0f, v5
	v_dot4c_i32_i8_e32 v17, v3, v110
	v_mov_b32_e32 v150, v20
	v_mov_b32_e32 v151, v18
	v_dot4c_i32_i8_e32 v17, v5, v142
	v_and_b32_e32 v3, 0xf0f0f0f, v159
	v_pk_fma_f32 v[100:101], v[150:151], v[108:109], v[100:101]
	v_pk_fma_f32 v[108:109], v[148:149], v[146:147], v[160:161] op_sel_hi:[0,1,0] neg_lo:[0,0,1] neg_hi:[0,0,1]
	v_mov_b32_e32 v18, v21
	v_dot4c_i32_i8_e32 v17, v3, v111
	v_add_u32_e32 v3, 0x2178, v35
	v_pk_fma_f32 v[100:101], v[18:19], v[108:109], v[100:101]
	ds_read2_b32 v[18:19], v3 offset1:1
	v_lshrrev_b32_e32 v5, 4, v159
	v_and_b32_e32 v5, 0xf0f0f0f, v5
	v_dot4c_i32_i8_e32 v17, v5, v143
	v_add_u32_e32 v3, 0x31f0, v35
	v_add_u32_e32 v5, 0x31f8, v35
	ds_read2_b32 v[20:21], v3 offset1:1
	ds_read2_b32 v[108:109], v5 offset1:1
	s_waitcnt lgkmcnt(2)
	v_and_b32_e32 v3, 0xf0f0f0f, v18
	v_lshrrev_b32_e32 v5, 4, v18
	v_and_b32_e32 v5, 0xf0f0f0f, v5
	v_dot4c_i32_i8_e32 v17, v3, v112
	v_dot4c_i32_i8_e32 v17, v5, v144
	v_and_b32_e32 v3, 0xf0f0f0f, v19
	v_lshrrev_b32_e32 v5, 4, v19
	v_and_b32_e32 v5, 0xf0f0f0f, v5
	v_dot4c_i32_i8_e32 v17, v3, v113
	v_dot4c_i32_i8_e32 v17, v5, v145
	s_waitcnt lgkmcnt(1)
	v_and_b32_e32 v3, 0xf0f0f0f, v20
	v_lshrrev_b32_e32 v5, 4, v20
	v_mov_b32_e32 v7, 0
	v_and_b32_e32 v5, 0xf0f0f0f, v5
	v_dot4c_i32_i8_e32 v7, v3, v110
	v_dot4c_i32_i8_e32 v7, v5, v142
	v_and_b32_e32 v3, 0xf0f0f0f, v21
	v_lshrrev_b32_e32 v5, 4, v21
	v_and_b32_e32 v5, 0xf0f0f0f, v5
	v_dot4c_i32_i8_e32 v7, v3, v111
	v_cvt_f32_i32_e32 v19, v140
	v_cvt_f32_i32_e32 v18, v139
	v_dot4c_i32_i8_e32 v7, v5, v143
	s_waitcnt lgkmcnt(0)
	v_and_b32_e32 v3, 0xf0f0f0f, v108
	v_lshrrev_b32_e32 v5, 4, v108
	v_and_b32_e32 v5, 0xf0f0f0f, v5
	v_dot4c_i32_i8_e32 v7, v3, v112
	v_dot4c_i32_i8_e32 v7, v5, v144
	v_and_b32_e32 v3, 0xf0f0f0f, v109
	v_dot4c_i32_i8_e32 v7, v3, v113
	v_pk_fma_f32 v[2:3], v[2:3], v[18:19], v[104:105] op_sel_hi:[0,1,0] neg_lo:[0,0,1] neg_hi:[0,0,1]
	v_mov_b32_e32 v18, v8
	v_mov_b32_e32 v19, v12
	v_pk_fma_f32 v[2:3], v[18:19], v[2:3], v[102:103]
	v_cvt_f32_i32_e32 v19, v166
	v_cvt_f32_i32_e32 v18, v165
	v_lshrrev_b32_e32 v5, 4, v109
	v_and_b32_e32 v5, 0xf0f0f0f, v5
	v_cvt_f32_i32_e32 v21, v163
	v_cvt_f32_i32_e32 v20, v162
	v_dot4c_i32_i8_e32 v7, v5, v145
	v_mov_b32_e32 v12, v9
	v_mov_b32_e32 v8, v10
	v_pk_fma_f32 v[14:15], v[14:15], v[20:21], v[16:17] op_sel_hi:[0,1,0] neg_lo:[0,0,1] neg_hi:[0,0,1]
	v_pk_fma_f32 v[4:5], v[4:5], v[18:19], v[6:7] op_sel_hi:[0,1,0] neg_lo:[0,0,1] neg_hi:[0,0,1]
	v_cvt_f32_i32_e32 v7, v7
	v_cvt_f32_i32_e32 v6, v17
	v_pk_fma_f32 v[2:3], v[12:13], v[14:15], v[2:3]
	v_mov_b32_e32 v9, v106
	v_pk_fma_f32 v[2:3], v[8:9], v[4:5], v[2:3]
	v_pk_fma_f32 v[4:5], v[148:149], v[6:7], v[160:161] op_sel_hi:[0,1,0] neg_lo:[0,0,1] neg_hi:[0,0,1]
	v_mov_b32_e32 v106, v11
	v_pk_fma_f32 v[102:103], v[106:107], v[4:5], v[2:3]
	s_barrier
.LBB198_5:                              ;   in Loop: Header=BB198_6 Depth=1
	s_add_i32 s20, s20, 8
	s_addk_i32 s4, 0x100
	v_lshl_add_u64 v[58:59], v[58:59], 0, s[12:13]
	v_lshl_add_u64 v[60:61], v[60:61], 0, s[22:23]
	;; [unrolled: 1-line block ×20, first 2 shown]
	s_cmp_ge_i32 s20, s26
	v_lshl_add_u64 v[98:99], v[98:99], 0, s[22:23]
	s_cbranch_scc1 .LBB198_20
.LBB198_6:                              ; =>This Inner Loop Header: Depth=1
	v_lshl_add_u64 v[2:3], v[60:61], 0, s[18:19]
	global_load_dword v4, v[2:3], off
	v_lshl_add_u64 v[2:3], v[62:63], 0, s[18:19]
	global_load_dword v5, v[2:3], off
	;; [unrolled: 2-line block ×16, first 2 shown]
	v_lshl_add_u64 v[2:3], v[92:93], 0, s[18:19]
	global_load_ushort v20, v[2:3], off
	v_lshl_add_u64 v[2:3], v[94:95], 0, s[18:19]
	global_load_ushort v21, v[2:3], off
	;; [unrolled: 2-line block ×4, first 2 shown]
	s_add_i32 s2, s4, 0xffffff80
	s_cmp_lt_i32 s2, s5
	s_waitcnt vmcnt(19)
	ds_write_b32 v24, v4
	s_waitcnt vmcnt(18)
	ds_write_b32 v26, v5
	;; [unrolled: 2-line block ×16, first 2 shown]
	s_waitcnt vmcnt(3)
	v_cvt_f32_f16_e32 v3, v20
	s_waitcnt vmcnt(2)
	v_cvt_f32_f16_e32 v4, v21
	;; [unrolled: 2-line block ×4, first 2 shown]
	ds_write_b32 v51, v3
	ds_write_b32 v53, v4
	;; [unrolled: 1-line block ×4, first 2 shown]
	s_cbranch_scc0 .LBB198_5
; %bb.7:                                ;   in Loop: Header=BB198_6 Depth=1
	v_add_u32_e32 v2, s20, v25
	v_cmp_gt_i32_e64 s[2:3], s8, v2
	s_and_b64 s[24:25], s[0:1], s[2:3]
	s_and_saveexec_b64 s[2:3], s[24:25]
	s_cbranch_execz .LBB198_9
; %bb.8:                                ;   in Loop: Header=BB198_6 Depth=1
	v_add_u32_e32 v2, s20, v49
	v_mad_i64_i32 v[2:3], s[24:25], v2, 36, v[56:57]
	global_load_dword v2, v[2:3], off offset:4
	s_waitcnt vmcnt(0)
	ds_write_b32 v27, v2
.LBB198_9:                              ;   in Loop: Header=BB198_6 Depth=1
	s_or_b64 exec, exec, s[2:3]
	s_and_saveexec_b64 s[24:25], vcc
	s_cbranch_execz .LBB198_12
; %bb.10:                               ;   in Loop: Header=BB198_6 Depth=1
	v_add_u32_e32 v2, s20, v22
	v_cmp_gt_i32_e64 s[2:3], s8, v2
	s_and_b64 s[2:3], s[0:1], s[2:3]
	s_and_b64 exec, exec, s[2:3]
	s_cbranch_execz .LBB198_12
; %bb.11:                               ;   in Loop: Header=BB198_6 Depth=1
	v_add_u32_e32 v2, s20, v23
	v_mad_i64_i32 v[2:3], s[2:3], v2, 36, s[14:15]
	global_load_dword v2, v[2:3], off
	s_waitcnt vmcnt(0)
	ds_write_b32 v29, v2
.LBB198_12:                             ;   in Loop: Header=BB198_6 Depth=1
	s_or_b64 exec, exec, s[24:25]
	s_waitcnt lgkmcnt(0)
	s_barrier
	ds_read_b128 v[2:5], v33
	ds_read_b128 v[14:17], v31
	ds_read_b128 v[18:21], v31 offset:16
	ds_read2_b32 v[104:105], v35 offset1:1
	ds_read_b128 v[6:9], v31 offset:32
	ds_read_b128 v[10:13], v31 offset:48
	v_mov_b32_e32 v139, 0
	v_mov_b32_e32 v148, 0
	s_waitcnt lgkmcnt(2)
	v_and_b32_e32 v107, 0xf0f0f0f, v104
	v_lshrrev_b32_e32 v104, 4, v104
	v_and_b32_e32 v104, 0xf0f0f0f, v104
	v_dot4c_i32_i8_e32 v139, v107, v14
	v_dot4c_i32_i8_e32 v139, v104, v18
	v_and_b32_e32 v104, 0xf0f0f0f, v105
	v_lshrrev_b32_e32 v105, 4, v105
	v_and_b32_e32 v107, 0xf0f0f0f, v105
	v_dot4c_i32_i8_e32 v139, v104, v15
	ds_read2_b32 v[104:105], v35 offset0:2 offset1:3
	ds_read2_b32 v[108:109], v35 offset0:4 offset1:5
	;; [unrolled: 1-line block ×4, first 2 shown]
	ds_read2_b32 v[140:141], v115 offset1:1
	v_dot4c_i32_i8_e32 v139, v107, v19
	v_mov_b32_e32 v149, 0
	s_waitcnt lgkmcnt(4)
	v_and_b32_e32 v107, 0xf0f0f0f, v104
	v_lshrrev_b32_e32 v104, 4, v104
	v_and_b32_e32 v104, 0xf0f0f0f, v104
	v_dot4c_i32_i8_e32 v139, v107, v16
	v_dot4c_i32_i8_e32 v139, v104, v20
	v_and_b32_e32 v104, 0xf0f0f0f, v105
	v_lshrrev_b32_e32 v105, 4, v105
	v_and_b32_e32 v105, 0xf0f0f0f, v105
	v_dot4c_i32_i8_e32 v139, v104, v17
	v_dot4c_i32_i8_e32 v139, v105, v21
	ds_read2_b32 v[104:105], v43 offset0:2 offset1:3
	s_waitcnt lgkmcnt(1)
	v_and_b32_e32 v107, 0xf0f0f0f, v140
	v_lshrrev_b32_e32 v140, 4, v140
	v_and_b32_e32 v140, 0xf0f0f0f, v140
	v_dot4c_i32_i8_e32 v148, v107, v14
	v_dot4c_i32_i8_e32 v148, v140, v18
	v_lshrrev_b32_e32 v140, 4, v141
	v_and_b32_e32 v107, 0xf0f0f0f, v141
	v_and_b32_e32 v142, 0xf0f0f0f, v140
	ds_read2_b32 v[140:141], v116 offset1:1
	v_dot4c_i32_i8_e32 v148, v107, v15
	v_dot4c_i32_i8_e32 v148, v142, v19
	ds_read2_b32 v[142:143], v117 offset1:1
	ds_read2_b32 v[144:145], v118 offset1:1
	;; [unrolled: 1-line block ×3, first 2 shown]
	v_cvt_f32_f16_e32 v106, v2
	s_waitcnt lgkmcnt(3)
	v_and_b32_e32 v107, 0xf0f0f0f, v140
	v_lshrrev_b32_e32 v140, 4, v140
	v_and_b32_e32 v140, 0xf0f0f0f, v140
	v_dot4c_i32_i8_e32 v148, v107, v16
	v_dot4c_i32_i8_e32 v148, v140, v20
	v_and_b32_e32 v107, 0xf0f0f0f, v141
	v_lshrrev_b32_e32 v140, 4, v141
	v_and_b32_e32 v140, 0xf0f0f0f, v140
	v_dot4c_i32_i8_e32 v148, v107, v17
	v_dot4c_i32_i8_e32 v148, v140, v21
	v_cvt_f32_i32_e32 v140, v139
	s_waitcnt lgkmcnt(2)
	v_and_b32_e32 v107, 0xf0f0f0f, v142
	v_lshrrev_b32_e32 v139, 4, v142
	v_cvt_f32_i32_e32 v141, v148
	v_mov_b32_e32 v148, 0
	v_and_b32_e32 v139, 0xf0f0f0f, v139
	v_dot4c_i32_i8_e32 v148, v107, v14
	v_dot4c_i32_i8_e32 v148, v139, v18
	v_and_b32_e32 v107, 0xf0f0f0f, v143
	v_lshrrev_b32_e32 v139, 4, v143
	v_and_b32_e32 v139, 0xf0f0f0f, v139
	v_dot4c_i32_i8_e32 v148, v107, v15
	v_dot4c_i32_i8_e32 v148, v139, v19
	s_waitcnt lgkmcnt(1)
	v_and_b32_e32 v107, 0xf0f0f0f, v144
	v_lshrrev_b32_e32 v139, 4, v144
	v_and_b32_e32 v139, 0xf0f0f0f, v139
	v_dot4c_i32_i8_e32 v148, v107, v16
	v_dot4c_i32_i8_e32 v148, v139, v20
	v_and_b32_e32 v107, 0xf0f0f0f, v145
	v_lshrrev_b32_e32 v139, 4, v145
	v_and_b32_e32 v139, 0xf0f0f0f, v139
	v_dot4c_i32_i8_e32 v148, v107, v17
	v_dot4c_i32_i8_e32 v148, v139, v21
	s_waitcnt lgkmcnt(0)
	v_and_b32_e32 v107, 0xf0f0f0f, v146
	v_lshrrev_b32_e32 v139, 4, v146
	v_and_b32_e32 v139, 0xf0f0f0f, v139
	v_dot4c_i32_i8_e32 v149, v107, v14
	v_dot4c_i32_i8_e32 v149, v139, v18
	v_and_b32_e32 v14, 0xf0f0f0f, v147
	v_dot4c_i32_i8_e32 v149, v14, v15
	ds_read2_b32 v[14:15], v120 offset1:1
	v_lshrrev_b32_e32 v18, 4, v147
	v_and_b32_e32 v18, 0xf0f0f0f, v18
	v_dot4c_i32_i8_e32 v149, v18, v19
	v_cvt_f32_f16_sdwa v2, v2 dst_sel:DWORD dst_unused:UNUSED_PAD src0_sel:WORD_1
	s_waitcnt lgkmcnt(0)
	v_and_b32_e32 v18, 0xf0f0f0f, v14
	v_lshrrev_b32_e32 v14, 4, v14
	v_and_b32_e32 v14, 0xf0f0f0f, v14
	v_dot4c_i32_i8_e32 v149, v18, v16
	v_dot4c_i32_i8_e32 v149, v14, v20
	v_and_b32_e32 v14, 0xf0f0f0f, v15
	v_lshrrev_b32_e32 v15, 4, v15
	v_and_b32_e32 v15, 0xf0f0f0f, v15
	v_dot4c_i32_i8_e32 v149, v14, v17
	v_dot4c_i32_i8_e32 v149, v15, v21
	v_cvt_f32_i32_e32 v14, v148
	v_mul_f32_e32 v2, 0x41000000, v2
	v_cvt_f32_f16_sdwa v16, v3 dst_sel:DWORD dst_unused:UNUSED_PAD src0_sel:WORD_1
	v_cvt_f32_i32_e32 v15, v149
	v_pk_fma_f32 v[18:19], v[106:107], v[140:141], v[2:3] op_sel_hi:[0,1,0] neg_lo:[0,0,1] neg_hi:[0,0,1]
	v_lshrrev_b32_e32 v17, 4, v108
	v_mov_b32_e32 v20, 0
	v_pk_fma_f32 v[14:15], v[106:107], v[14:15], v[2:3] op_sel_hi:[0,1,0] neg_lo:[0,0,1] neg_hi:[0,0,1]
	v_cvt_f32_f16_e32 v2, v3
	v_and_b32_e32 v3, 0xf0f0f0f, v108
	v_and_b32_e32 v17, 0xf0f0f0f, v17
	v_dot4c_i32_i8_e32 v20, v3, v6
	v_dot4c_i32_i8_e32 v20, v17, v10
	v_and_b32_e32 v3, 0xf0f0f0f, v109
	v_lshrrev_b32_e32 v17, 4, v109
	v_and_b32_e32 v17, 0xf0f0f0f, v17
	v_dot4c_i32_i8_e32 v20, v3, v7
	v_dot4c_i32_i8_e32 v20, v17, v11
	v_and_b32_e32 v3, 0xf0f0f0f, v110
	v_lshrrev_b32_e32 v17, 4, v110
	ds_read2_b32 v[142:143], v121 offset1:1
	ds_read2_b32 v[144:145], v122 offset1:1
	;; [unrolled: 1-line block ×3, first 2 shown]
	v_and_b32_e32 v17, 0xf0f0f0f, v17
	v_dot4c_i32_i8_e32 v20, v3, v8
	v_dot4c_i32_i8_e32 v20, v17, v12
	v_and_b32_e32 v3, 0xf0f0f0f, v111
	v_lshrrev_b32_e32 v17, 4, v111
	v_and_b32_e32 v17, 0xf0f0f0f, v17
	v_dot4c_i32_i8_e32 v20, v3, v9
	v_dot4c_i32_i8_e32 v20, v17, v13
	s_waitcnt lgkmcnt(2)
	v_and_b32_e32 v3, 0xf0f0f0f, v142
	v_lshrrev_b32_e32 v17, 4, v142
	v_mov_b32_e32 v21, 0
	v_and_b32_e32 v17, 0xf0f0f0f, v17
	v_dot4c_i32_i8_e32 v21, v3, v6
	v_dot4c_i32_i8_e32 v21, v17, v10
	v_and_b32_e32 v3, 0xf0f0f0f, v143
	v_lshrrev_b32_e32 v17, 4, v143
	v_and_b32_e32 v17, 0xf0f0f0f, v17
	v_dot4c_i32_i8_e32 v21, v3, v7
	v_dot4c_i32_i8_e32 v21, v17, v11
	s_waitcnt lgkmcnt(1)
	v_and_b32_e32 v3, 0xf0f0f0f, v144
	v_lshrrev_b32_e32 v17, 4, v144
	v_and_b32_e32 v17, 0xf0f0f0f, v17
	v_dot4c_i32_i8_e32 v21, v3, v8
	v_dot4c_i32_i8_e32 v21, v17, v12
	v_and_b32_e32 v3, 0xf0f0f0f, v145
	v_lshrrev_b32_e32 v17, 4, v145
	v_and_b32_e32 v17, 0xf0f0f0f, v17
	v_dot4c_i32_i8_e32 v21, v3, v9
	ds_read2_b32 v[106:107], v124 offset1:1
	v_dot4c_i32_i8_e32 v21, v17, v13
	s_waitcnt lgkmcnt(1)
	v_and_b32_e32 v3, 0xf0f0f0f, v146
	v_lshrrev_b32_e32 v17, 4, v146
	v_mov_b32_e32 v139, 0
	v_and_b32_e32 v17, 0xf0f0f0f, v17
	v_dot4c_i32_i8_e32 v139, v3, v6
	v_dot4c_i32_i8_e32 v139, v17, v10
	v_and_b32_e32 v3, 0xf0f0f0f, v147
	v_lshrrev_b32_e32 v17, 4, v147
	v_and_b32_e32 v17, 0xf0f0f0f, v17
	v_dot4c_i32_i8_e32 v139, v3, v7
	v_dot4c_i32_i8_e32 v139, v17, v11
	s_waitcnt lgkmcnt(0)
	v_and_b32_e32 v3, 0xf0f0f0f, v106
	v_lshrrev_b32_e32 v17, 4, v106
	ds_read2_b32 v[108:109], v125 offset1:1
	ds_read2_b32 v[110:111], v126 offset1:1
	ds_read2_b32 v[148:149], v127 offset1:1
	v_and_b32_e32 v17, 0xf0f0f0f, v17
	v_dot4c_i32_i8_e32 v139, v3, v8
	v_dot4c_i32_i8_e32 v139, v17, v12
	v_and_b32_e32 v3, 0xf0f0f0f, v107
	v_lshrrev_b32_e32 v17, 4, v107
	v_and_b32_e32 v17, 0xf0f0f0f, v17
	v_dot4c_i32_i8_e32 v139, v3, v9
	v_dot4c_i32_i8_e32 v139, v17, v13
	s_waitcnt lgkmcnt(2)
	v_and_b32_e32 v3, 0xf0f0f0f, v108
	v_lshrrev_b32_e32 v17, 4, v108
	v_mov_b32_e32 v106, 0
	v_and_b32_e32 v17, 0xf0f0f0f, v17
	v_dot4c_i32_i8_e32 v106, v3, v6
	v_dot4c_i32_i8_e32 v106, v17, v10
	v_and_b32_e32 v3, 0xf0f0f0f, v109
	v_lshrrev_b32_e32 v6, 4, v109
	v_and_b32_e32 v6, 0xf0f0f0f, v6
	v_dot4c_i32_i8_e32 v106, v3, v7
	v_dot4c_i32_i8_e32 v106, v6, v11
	s_waitcnt lgkmcnt(1)
	v_and_b32_e32 v3, 0xf0f0f0f, v110
	v_lshrrev_b32_e32 v6, 4, v110
	v_and_b32_e32 v6, 0xf0f0f0f, v6
	v_dot4c_i32_i8_e32 v106, v3, v8
	v_dot4c_i32_i8_e32 v106, v6, v12
	v_and_b32_e32 v3, 0xf0f0f0f, v111
	v_lshrrev_b32_e32 v6, 4, v111
	v_dot4c_i32_i8_e32 v106, v3, v9
	v_cvt_f32_f16_sdwa v3, v4 dst_sel:DWORD dst_unused:UNUSED_PAD src0_sel:WORD_1
	v_and_b32_e32 v6, 0xf0f0f0f, v6
	ds_read_b128 v[140:143], v31 offset:64
	ds_read_b128 v[144:147], v31 offset:80
	v_dot4c_i32_i8_e32 v106, v6, v13
	v_mul_f32_e32 v8, 0x41000000, v3
	v_and_b32_e32 v3, 0xf0f0f0f, v112
	v_lshrrev_b32_e32 v9, 4, v112
	v_cvt_f32_i32_e32 v7, v106
	ds_read2_b32 v[10:11], v41 offset1:1
	ds_read2_b32 v[12:13], v39 offset0:2 offset1:3
	ds_read2_b32 v[110:111], v39 offset1:1
	ds_read2_b32 v[106:107], v37 offset0:2 offset1:3
	ds_read2_b32 v[108:109], v35 offset0:10 offset1:11
	v_mov_b32_e32 v17, 0
	v_and_b32_e32 v9, 0xf0f0f0f, v9
	s_waitcnt lgkmcnt(6)
	v_dot4c_i32_i8_e32 v17, v3, v140
	s_waitcnt lgkmcnt(5)
	v_dot4c_i32_i8_e32 v17, v9, v144
	v_and_b32_e32 v3, 0xf0f0f0f, v113
	v_lshrrev_b32_e32 v9, 4, v113
	v_and_b32_e32 v9, 0xf0f0f0f, v9
	v_dot4c_i32_i8_e32 v17, v3, v141
	v_dot4c_i32_i8_e32 v17, v9, v145
	s_waitcnt lgkmcnt(0)
	v_and_b32_e32 v3, 0xf0f0f0f, v108
	v_lshrrev_b32_e32 v9, 4, v108
	v_and_b32_e32 v9, 0xf0f0f0f, v9
	v_dot4c_i32_i8_e32 v17, v3, v142
	v_dot4c_i32_i8_e32 v17, v9, v146
	v_and_b32_e32 v3, 0xf0f0f0f, v109
	v_lshrrev_b32_e32 v9, 4, v109
	ds_read2_b32 v[150:151], v35 offset0:12 offset1:13
	ds_read2_b32 v[152:153], v37 offset1:1
	ds_read2_b32 v[154:155], v35 offset0:14 offset1:15
	v_and_b32_e32 v9, 0xf0f0f0f, v9
	v_dot4c_i32_i8_e32 v17, v3, v143
	ds_read2_b32 v[108:109], v128 offset1:1
	v_dot4c_i32_i8_e32 v17, v9, v147
	v_and_b32_e32 v3, 0xf0f0f0f, v148
	v_lshrrev_b32_e32 v9, 4, v148
	v_mov_b32_e32 v112, 0
	v_and_b32_e32 v9, 0xf0f0f0f, v9
	v_dot4c_i32_i8_e32 v112, v3, v140
	v_dot4c_i32_i8_e32 v112, v9, v144
	v_and_b32_e32 v3, 0xf0f0f0f, v149
	v_lshrrev_b32_e32 v9, 4, v149
	v_and_b32_e32 v9, 0xf0f0f0f, v9
	v_dot4c_i32_i8_e32 v112, v3, v141
	v_dot4c_i32_i8_e32 v112, v9, v145
	s_waitcnt lgkmcnt(0)
	v_and_b32_e32 v3, 0xf0f0f0f, v108
	v_lshrrev_b32_e32 v9, 4, v108
	ds_read2_b32 v[148:149], v129 offset1:1
	ds_read2_b32 v[156:157], v130 offset1:1
	;; [unrolled: 1-line block ×3, first 2 shown]
	v_and_b32_e32 v9, 0xf0f0f0f, v9
	v_dot4c_i32_i8_e32 v112, v3, v142
	v_dot4c_i32_i8_e32 v112, v9, v146
	v_and_b32_e32 v3, 0xf0f0f0f, v109
	v_lshrrev_b32_e32 v9, 4, v109
	v_and_b32_e32 v9, 0xf0f0f0f, v9
	v_dot4c_i32_i8_e32 v112, v3, v143
	v_dot4c_i32_i8_e32 v112, v9, v147
	v_cvt_f32_i32_e32 v160, v17
	s_waitcnt lgkmcnt(2)
	v_and_b32_e32 v3, 0xf0f0f0f, v148
	v_lshrrev_b32_e32 v9, 4, v148
	v_mov_b32_e32 v17, 0
	v_and_b32_e32 v9, 0xf0f0f0f, v9
	v_dot4c_i32_i8_e32 v17, v3, v140
	v_dot4c_i32_i8_e32 v17, v9, v144
	v_and_b32_e32 v3, 0xf0f0f0f, v149
	v_lshrrev_b32_e32 v9, 4, v149
	v_and_b32_e32 v9, 0xf0f0f0f, v9
	v_dot4c_i32_i8_e32 v17, v3, v141
	v_dot4c_i32_i8_e32 v17, v9, v145
	s_waitcnt lgkmcnt(1)
	v_and_b32_e32 v3, 0xf0f0f0f, v156
	v_lshrrev_b32_e32 v9, 4, v156
	v_and_b32_e32 v9, 0xf0f0f0f, v9
	v_dot4c_i32_i8_e32 v17, v3, v142
	v_dot4c_i32_i8_e32 v17, v9, v146
	v_and_b32_e32 v3, 0xf0f0f0f, v157
	v_lshrrev_b32_e32 v9, 4, v157
	v_and_b32_e32 v9, 0xf0f0f0f, v9
	v_dot4c_i32_i8_e32 v17, v3, v143
	v_cvt_f32_i32_e32 v6, v139
	v_dot4c_i32_i8_e32 v17, v9, v147
	s_waitcnt lgkmcnt(0)
	v_and_b32_e32 v3, 0xf0f0f0f, v158
	v_lshrrev_b32_e32 v9, 4, v158
	v_mov_b32_e32 v139, 0
	v_and_b32_e32 v9, 0xf0f0f0f, v9
	v_dot4c_i32_i8_e32 v139, v3, v140
	v_dot4c_i32_i8_e32 v139, v9, v144
	v_and_b32_e32 v3, 0xf0f0f0f, v159
	v_cvt_f32_i32_e32 v161, v112
	ds_read2_b32 v[112:113], v43 offset1:1
	ds_read2_b32 v[108:109], v41 offset0:2 offset1:3
	v_dot4c_i32_i8_e32 v139, v3, v141
	ds_read2_b32 v[140:141], v132 offset1:1
	v_lshrrev_b32_e32 v9, 4, v159
	v_and_b32_e32 v9, 0xf0f0f0f, v9
	v_dot4c_i32_i8_e32 v139, v9, v145
	ds_read2_b32 v[148:149], v133 offset1:1
	ds_read2_b32 v[156:157], v134 offset1:1
	;; [unrolled: 1-line block ×3, first 2 shown]
	s_waitcnt lgkmcnt(3)
	v_and_b32_e32 v3, 0xf0f0f0f, v140
	v_lshrrev_b32_e32 v9, 4, v140
	v_and_b32_e32 v9, 0xf0f0f0f, v9
	v_dot4c_i32_i8_e32 v139, v3, v142
	v_dot4c_i32_i8_e32 v139, v9, v146
	v_and_b32_e32 v3, 0xf0f0f0f, v141
	v_lshrrev_b32_e32 v9, 4, v141
	v_and_b32_e32 v9, 0xf0f0f0f, v9
	v_dot4c_i32_i8_e32 v139, v3, v143
	v_cvt_f32_f16_sdwa v3, v5 dst_sel:DWORD dst_unused:UNUSED_PAD src0_sel:WORD_1
	v_dot4c_i32_i8_e32 v139, v9, v147
	ds_read_b128 v[140:143], v31 offset:96
	ds_read_b128 v[144:147], v31 offset:112
	v_cvt_f32_f16_e32 v164, v5
	v_mul_f32_e32 v166, 0x41000000, v3
	v_and_b32_e32 v3, 0xf0f0f0f, v150
	v_lshrrev_b32_e32 v5, 4, v150
	v_mov_b32_e32 v9, 0
	v_and_b32_e32 v5, 0xf0f0f0f, v5
	s_waitcnt lgkmcnt(1)
	v_dot4c_i32_i8_e32 v9, v3, v140
	s_waitcnt lgkmcnt(0)
	v_dot4c_i32_i8_e32 v9, v5, v144
	v_and_b32_e32 v3, 0xf0f0f0f, v151
	v_lshrrev_b32_e32 v5, 4, v151
	v_and_b32_e32 v5, 0xf0f0f0f, v5
	v_dot4c_i32_i8_e32 v9, v3, v141
	v_dot4c_i32_i8_e32 v9, v5, v145
	v_and_b32_e32 v3, 0xf0f0f0f, v154
	v_lshrrev_b32_e32 v5, 4, v154
	v_and_b32_e32 v5, 0xf0f0f0f, v5
	v_dot4c_i32_i8_e32 v9, v3, v142
	;; [unrolled: 5-line block ×3, first 2 shown]
	v_cvt_f32_i32_e32 v162, v17
	v_dot4c_i32_i8_e32 v9, v5, v147
	v_and_b32_e32 v3, 0xf0f0f0f, v148
	v_lshrrev_b32_e32 v5, 4, v148
	v_mov_b32_e32 v17, 0
	v_and_b32_e32 v5, 0xf0f0f0f, v5
	v_dot4c_i32_i8_e32 v17, v3, v140
	v_dot4c_i32_i8_e32 v17, v5, v144
	v_and_b32_e32 v3, 0xf0f0f0f, v149
	v_lshrrev_b32_e32 v5, 4, v149
	v_and_b32_e32 v5, 0xf0f0f0f, v5
	v_dot4c_i32_i8_e32 v17, v3, v141
	v_dot4c_i32_i8_e32 v17, v5, v145
	v_and_b32_e32 v3, 0xf0f0f0f, v156
	v_lshrrev_b32_e32 v5, 4, v156
	;; [unrolled: 5-line block ×3, first 2 shown]
	v_cvt_f32_i32_e32 v21, v21
	v_cvt_f32_i32_e32 v20, v20
	v_and_b32_e32 v5, 0xf0f0f0f, v5
	v_dot4c_i32_i8_e32 v17, v3, v143
	v_cvt_f32_f16_e32 v4, v4
	v_dot4c_i32_i8_e32 v17, v5, v147
	v_mov_b32_e32 v148, v152
	v_mov_b32_e32 v149, v110
	v_pk_fma_f32 v[18:19], v[148:149], v[18:19], v[100:101]
	v_cvt_f32_i32_e32 v101, v17
	v_cvt_f32_i32_e32 v100, v9
	v_mul_f32_e32 v16, 0x41000000, v16
	v_pk_fma_f32 v[20:21], v[2:3], v[20:21], v[16:17] op_sel_hi:[0,1,0] neg_lo:[0,0,1] neg_hi:[0,0,1]
	v_mov_b32_e32 v110, v153
	v_pk_fma_f32 v[18:19], v[110:111], v[20:21], v[18:19]
	v_pk_fma_f32 v[20:21], v[4:5], v[160:161], v[8:9] op_sel_hi:[0,1,0] neg_lo:[0,0,1] neg_hi:[0,0,1]
	v_mov_b32_e32 v110, v106
	v_mov_b32_e32 v111, v12
	v_pk_fma_f32 v[18:19], v[110:111], v[20:21], v[18:19]
	v_pk_fma_f32 v[20:21], v[164:165], v[100:101], v[166:167] op_sel_hi:[0,1,0] neg_lo:[0,0,1] neg_hi:[0,0,1]
	v_mov_b32_e32 v12, v107
	v_pk_fma_f32 v[100:101], v[12:13], v[20:21], v[18:19]
	ds_read2_b32 v[12:13], v136 offset1:1
	v_and_b32_e32 v3, 0xf0f0f0f, v158
	v_lshrrev_b32_e32 v5, 4, v158
	v_mov_b32_e32 v9, 0
	v_and_b32_e32 v5, 0xf0f0f0f, v5
	v_dot4c_i32_i8_e32 v9, v3, v140
	v_dot4c_i32_i8_e32 v9, v5, v144
	v_and_b32_e32 v3, 0xf0f0f0f, v159
	v_lshrrev_b32_e32 v5, 4, v159
	v_and_b32_e32 v5, 0xf0f0f0f, v5
	v_dot4c_i32_i8_e32 v9, v3, v141
	v_dot4c_i32_i8_e32 v9, v5, v145
	ds_read2_b32 v[18:19], v137 offset1:1
	ds_read2_b32 v[20:21], v138 offset1:1
	s_waitcnt lgkmcnt(2)
	v_and_b32_e32 v3, 0xf0f0f0f, v12
	v_lshrrev_b32_e32 v5, 4, v12
	v_and_b32_e32 v5, 0xf0f0f0f, v5
	v_dot4c_i32_i8_e32 v9, v3, v142
	v_dot4c_i32_i8_e32 v9, v5, v146
	v_and_b32_e32 v3, 0xf0f0f0f, v13
	v_lshrrev_b32_e32 v5, 4, v13
	v_and_b32_e32 v5, 0xf0f0f0f, v5
	v_dot4c_i32_i8_e32 v9, v3, v143
	v_dot4c_i32_i8_e32 v9, v5, v147
	s_waitcnt lgkmcnt(1)
	v_and_b32_e32 v3, 0xf0f0f0f, v18
	v_lshrrev_b32_e32 v5, 4, v18
	v_mov_b32_e32 v17, 0
	v_and_b32_e32 v5, 0xf0f0f0f, v5
	v_dot4c_i32_i8_e32 v17, v3, v140
	v_dot4c_i32_i8_e32 v17, v5, v144
	v_and_b32_e32 v3, 0xf0f0f0f, v19
	v_lshrrev_b32_e32 v5, 4, v19
	v_and_b32_e32 v5, 0xf0f0f0f, v5
	v_dot4c_i32_i8_e32 v17, v3, v141
	v_dot4c_i32_i8_e32 v17, v5, v145
	s_waitcnt lgkmcnt(0)
	v_and_b32_e32 v3, 0xf0f0f0f, v20
	v_lshrrev_b32_e32 v5, 4, v20
	v_and_b32_e32 v5, 0xf0f0f0f, v5
	v_dot4c_i32_i8_e32 v17, v3, v142
	v_dot4c_i32_i8_e32 v17, v5, v146
	v_and_b32_e32 v3, 0xf0f0f0f, v21
	v_lshrrev_b32_e32 v5, 4, v21
	v_and_b32_e32 v5, 0xf0f0f0f, v5
	v_dot4c_i32_i8_e32 v17, v3, v143
	v_cvt_f32_i32_e32 v163, v139
	v_dot4c_i32_i8_e32 v17, v5, v147
	v_mov_b32_e32 v12, v10
	v_mov_b32_e32 v13, v112
	v_pk_fma_f32 v[12:13], v[12:13], v[14:15], v[102:103]
	v_pk_fma_f32 v[2:3], v[2:3], v[6:7], v[16:17] op_sel_hi:[0,1,0] neg_lo:[0,0,1] neg_hi:[0,0,1]
	v_cvt_f32_i32_e32 v7, v17
	v_cvt_f32_i32_e32 v6, v9
	v_mov_b32_e32 v112, v11
	v_pk_fma_f32 v[2:3], v[112:113], v[2:3], v[12:13]
	v_pk_fma_f32 v[4:5], v[4:5], v[162:163], v[8:9] op_sel_hi:[0,1,0] neg_lo:[0,0,1] neg_hi:[0,0,1]
	v_mov_b32_e32 v8, v108
	v_mov_b32_e32 v9, v104
	v_pk_fma_f32 v[2:3], v[8:9], v[4:5], v[2:3]
	v_pk_fma_f32 v[4:5], v[164:165], v[6:7], v[166:167] op_sel_hi:[0,1,0] neg_lo:[0,0,1] neg_hi:[0,0,1]
	v_mov_b32_e32 v104, v109
	v_pk_fma_f32 v[102:103], v[104:105], v[4:5], v[2:3]
	s_cmp_ge_i32 s4, s5
	s_barrier
	s_cbranch_scc1 .LBB198_5
; %bb.13:                               ;   in Loop: Header=BB198_6 Depth=1
	v_add_u32_e32 v2, s20, v45
	v_cmp_gt_i32_e64 s[2:3], s8, v2
	s_and_b64 s[24:25], s[0:1], s[2:3]
	s_and_saveexec_b64 s[2:3], s[24:25]
	s_cbranch_execz .LBB198_15
; %bb.14:                               ;   in Loop: Header=BB198_6 Depth=1
	v_add_u32_e32 v2, s20, v47
	v_mad_i64_i32 v[2:3], s[24:25], v2, 36, v[56:57]
	global_load_dword v2, v[2:3], off offset:4
	s_waitcnt vmcnt(0)
	ds_write_b32 v27, v2
.LBB198_15:                             ;   in Loop: Header=BB198_6 Depth=1
	s_or_b64 exec, exec, s[2:3]
	s_and_saveexec_b64 s[24:25], vcc
	s_cbranch_execz .LBB198_4
; %bb.16:                               ;   in Loop: Header=BB198_6 Depth=1
	v_add3_u32 v2, v22, s20, 4
	v_cmp_gt_i32_e64 s[2:3], s8, v2
	s_and_b64 s[2:3], s[0:1], s[2:3]
	s_and_b64 exec, exec, s[2:3]
	s_cbranch_execz .LBB198_4
; %bb.17:                               ;   in Loop: Header=BB198_6 Depth=1
	global_load_dword v2, v[58:59], off
	s_waitcnt vmcnt(0)
	ds_write_b32 v29, v2
	s_branch .LBB198_4
.LBB198_18:
	v_mov_b32_e32 v2, 0
	s_mul_i32 s0, s10, s7
	s_waitcnt vmcnt(0)
	v_cmp_gt_i32_e32 vcc, s0, v1
	s_and_saveexec_b64 s[0:1], vcc
	s_cbranch_execnz .LBB198_21
.LBB198_19:
	s_endpgm
.LBB198_20:
	v_cvt_f16_f32_e32 v2, v101
	v_cvt_f16_f32_e32 v3, v100
	v_cvt_f16_f32_e32 v4, v103
	v_cvt_f16_f32_e32 v5, v102
	v_pack_b32_f16 v2, v3, v2
	v_pack_b32_f16 v3, v5, v4
	s_mul_i32 s0, s10, s7
	v_cmp_gt_i32_e32 vcc, s0, v1
	s_and_saveexec_b64 s[0:1], vcc
	s_cbranch_execz .LBB198_19
.LBB198_21:
	v_and_b32_e32 v0, 0x3ff, v0
	v_add_u32_e32 v4, s11, v0
	v_mul_lo_u32 v0, v1, s9
	v_cmp_gt_u32_e32 vcc, s9, v4
	s_and_saveexec_b64 s[0:1], vcc
	s_cbranch_execz .LBB198_23
; %bb.22:
	v_add_u32_e32 v6, v0, v4
	v_mov_b32_e32 v7, 0
	v_lshl_add_u64 v[6:7], v[6:7], 1, s[16:17]
	global_store_short v[6:7], v2, off
.LBB198_23:
	s_or_b64 exec, exec, s[0:1]
	v_add_u32_e32 v1, 32, v4
	v_cmp_gt_u32_e32 vcc, s9, v1
	s_and_saveexec_b64 s[0:1], vcc
	s_cbranch_execz .LBB198_25
; %bb.24:
	v_add_u32_e32 v6, v0, v1
	v_mov_b32_e32 v7, 0
	v_lshl_add_u64 v[6:7], v[6:7], 1, s[16:17]
	global_store_short_d16_hi v[6:7], v2, off
.LBB198_25:
	s_or_b64 exec, exec, s[0:1]
	v_add_u32_e32 v1, 64, v4
	v_cmp_gt_u32_e32 vcc, s9, v1
	s_and_saveexec_b64 s[0:1], vcc
	s_cbranch_execz .LBB198_27
; %bb.26:
	v_add_u32_e32 v6, v0, v1
	v_mov_b32_e32 v7, 0
	v_lshl_add_u64 v[6:7], v[6:7], 1, s[16:17]
	global_store_short v[6:7], v3, off
.LBB198_27:
	s_or_b64 exec, exec, s[0:1]
	v_add_u32_e32 v1, 0x60, v4
	v_cmp_gt_u32_e32 vcc, s9, v1
	s_and_b64 exec, exec, vcc
	s_cbranch_execz .LBB198_19
; %bb.28:
	v_add_u32_e32 v0, v0, v1
	v_mov_b32_e32 v1, 0
	v_lshl_add_u64 v[0:1], v[0:1], 1, s[16:17]
	global_store_short_d16_hi v[0:1], v3, off
	s_endpgm
	.section	.rodata,"a",@progbits
	.p2align	6, 0x0
	.amdhsa_kernel _ZL8moe_q4_0IN3c104HalfELb1EEvPKvS3_PT_PKiS7_S7_iiiiiii
		.amdhsa_group_segment_fixed_size 22272
		.amdhsa_private_segment_fixed_size 0
		.amdhsa_kernarg_size 76
		.amdhsa_user_sgpr_count 2
		.amdhsa_user_sgpr_dispatch_ptr 0
		.amdhsa_user_sgpr_queue_ptr 0
		.amdhsa_user_sgpr_kernarg_segment_ptr 1
		.amdhsa_user_sgpr_dispatch_id 0
		.amdhsa_user_sgpr_kernarg_preload_length 0
		.amdhsa_user_sgpr_kernarg_preload_offset 0
		.amdhsa_user_sgpr_private_segment_size 0
		.amdhsa_uses_dynamic_stack 0
		.amdhsa_enable_private_segment 0
		.amdhsa_system_sgpr_workgroup_id_x 1
		.amdhsa_system_sgpr_workgroup_id_y 1
		.amdhsa_system_sgpr_workgroup_id_z 0
		.amdhsa_system_sgpr_workgroup_info 0
		.amdhsa_system_vgpr_workitem_id 1
		.amdhsa_next_free_vgpr 168
		.amdhsa_next_free_sgpr 27
		.amdhsa_accum_offset 168
		.amdhsa_reserve_vcc 1
		.amdhsa_float_round_mode_32 0
		.amdhsa_float_round_mode_16_64 0
		.amdhsa_float_denorm_mode_32 3
		.amdhsa_float_denorm_mode_16_64 3
		.amdhsa_dx10_clamp 1
		.amdhsa_ieee_mode 1
		.amdhsa_fp16_overflow 0
		.amdhsa_tg_split 0
		.amdhsa_exception_fp_ieee_invalid_op 0
		.amdhsa_exception_fp_denorm_src 0
		.amdhsa_exception_fp_ieee_div_zero 0
		.amdhsa_exception_fp_ieee_overflow 0
		.amdhsa_exception_fp_ieee_underflow 0
		.amdhsa_exception_fp_ieee_inexact 0
		.amdhsa_exception_int_div_zero 0
	.end_amdhsa_kernel
	.section	.text._ZL8moe_q4_0IN3c104HalfELb1EEvPKvS3_PT_PKiS7_S7_iiiiiii,"axG",@progbits,_ZL8moe_q4_0IN3c104HalfELb1EEvPKvS3_PT_PKiS7_S7_iiiiiii,comdat
.Lfunc_end198:
	.size	_ZL8moe_q4_0IN3c104HalfELb1EEvPKvS3_PT_PKiS7_S7_iiiiiii, .Lfunc_end198-_ZL8moe_q4_0IN3c104HalfELb1EEvPKvS3_PT_PKiS7_S7_iiiiiii
                                        ; -- End function
	.section	.AMDGPU.csdata,"",@progbits
; Kernel info:
; codeLenInByte = 9052
; NumSgprs: 33
; NumVgprs: 168
; NumAgprs: 0
; TotalNumVgprs: 168
; ScratchSize: 0
; MemoryBound: 0
; FloatMode: 240
; IeeeMode: 1
; LDSByteSize: 22272 bytes/workgroup (compile time only)
; SGPRBlocks: 4
; VGPRBlocks: 20
; NumSGPRsForWavesPerEU: 33
; NumVGPRsForWavesPerEU: 168
; AccumOffset: 168
; Occupancy: 2
; WaveLimiterHint : 1
; COMPUTE_PGM_RSRC2:SCRATCH_EN: 0
; COMPUTE_PGM_RSRC2:USER_SGPR: 2
; COMPUTE_PGM_RSRC2:TRAP_HANDLER: 0
; COMPUTE_PGM_RSRC2:TGID_X_EN: 1
; COMPUTE_PGM_RSRC2:TGID_Y_EN: 1
; COMPUTE_PGM_RSRC2:TGID_Z_EN: 0
; COMPUTE_PGM_RSRC2:TIDIG_COMP_CNT: 1
; COMPUTE_PGM_RSRC3_GFX90A:ACCUM_OFFSET: 41
; COMPUTE_PGM_RSRC3_GFX90A:TG_SPLIT: 0
	.section	.text._ZL8moe_q4_1IN3c104HalfELb0EEvPKvS3_PT_PKiS7_S7_iiiiiii,"axG",@progbits,_ZL8moe_q4_1IN3c104HalfELb0EEvPKvS3_PT_PKiS7_S7_iiiiiii,comdat
	.globl	_ZL8moe_q4_1IN3c104HalfELb0EEvPKvS3_PT_PKiS7_S7_iiiiiii ; -- Begin function _ZL8moe_q4_1IN3c104HalfELb0EEvPKvS3_PT_PKiS7_S7_iiiiiii
	.p2align	8
	.type	_ZL8moe_q4_1IN3c104HalfELb0EEvPKvS3_PT_PKiS7_S7_iiiiiii,@function
_ZL8moe_q4_1IN3c104HalfELb0EEvPKvS3_PT_PKiS7_S7_iiiiiii: ; @_ZL8moe_q4_1IN3c104HalfELb0EEvPKvS3_PT_PKiS7_S7_iiiiiii
; %bb.0:
	s_load_dwordx4 s[4:7], s[0:1], 0x18
	s_mov_b32 s8, s3
	s_mov_b32 s9, 0
	s_lshl_b64 s[10:11], s[8:9], 2
	s_waitcnt lgkmcnt(0)
	s_add_u32 s6, s6, s10
	s_addc_u32 s7, s7, s11
	s_load_dword s3, s[6:7], 0x0
	s_waitcnt lgkmcnt(0)
	s_cmpk_gt_u32 s3, 0xff
	s_cbranch_scc1 .LBB199_19
; %bb.1:
	s_load_dwordx2 s[6:7], s[0:1], 0x28
	s_waitcnt lgkmcnt(0)
	s_load_dword s7, s[6:7], 0x0
	s_lshl_b32 s6, s8, 3
	s_waitcnt lgkmcnt(0)
	s_cmp_gt_u32 s6, s7
	s_cbranch_scc1 .LBB199_19
; %bb.2:
	v_bfe_u32 v4, v0, 10, 10
	v_mov_b32_e32 v6, s4
	v_mov_b32_e32 v7, s5
	v_add_u32_e32 v2, s6, v4
	v_mov_b32_e32 v3, 0
	v_lshl_add_u64 v[6:7], v[2:3], 2, v[6:7]
	global_load_dword v1, v[6:7], off
	s_load_dwordx2 s[14:15], s[0:1], 0x30
	s_load_dwordx2 s[12:13], s[0:1], 0x10
	s_load_dwordx4 s[4:7], s[0:1], 0x3c
	s_lshl_b32 s24, s2, 7
	s_waitcnt lgkmcnt(0)
	s_cmp_lt_i32 s15, 32
	s_cbranch_scc1 .LBB199_18
; %bb.3:
	s_load_dwordx4 s[8:11], s[0:1], 0x0
	s_ashr_i32 s0, s15, 31
	s_ashr_i32 s1, s5, 31
	s_lshr_b32 s0, s0, 27
	s_lshr_b32 s1, s1, 27
	s_add_i32 s0, s15, s0
	s_add_i32 s1, s5, s1
	v_and_b32_e32 v22, 0x3ff, v0
	s_ashr_i32 s25, s0, 5
	s_ashr_i32 s5, s1, 5
	v_lshlrev_b32_e32 v5, 2, v22
	s_movk_i32 s1, 0x84
	v_mul_lo_u32 v11, s25, v4
	v_mad_u32_u24 v100, v4, s1, v5
	s_lshl_b32 s1, s25, 3
	v_add_u32_e32 v12, s1, v11
	v_add_u32_e32 v13, s1, v12
	;; [unrolled: 1-line block ×13, first 2 shown]
	v_lshlrev_b32_e32 v8, 2, v4
	v_lshrrev_b32_e32 v116, 3, v22
	v_add_u32_e32 v56, s1, v54
	v_and_b32_e32 v66, 7, v22
	v_add_u32_e32 v6, v116, v8
	v_add_u32_e32 v58, s1, v56
	v_and_b32_e32 v7, 0x1ffc, v6
	v_lshlrev_b32_e32 v9, 2, v66
	s_movk_i32 s1, 0x4200
	v_add3_u32 v70, v7, v9, s1
	v_add_u32_e32 v7, 32, v6
	v_mul_lo_u32 v60, s25, v6
	v_lshlrev_b32_e32 v71, 5, v6
	v_and_b32_e32 v23, 0x3ffc, v7
	v_lshlrev_b32_e32 v73, 5, v7
	v_add_u32_e32 v7, 64, v6
	v_add_u32_e32 v6, 0x60, v6
	v_mov_b32_e32 v3, 0
	v_add3_u32 v72, v23, v9, s1
	v_and_b32_e32 v23, 0x3ffc, v7
	v_lshlrev_b32_e32 v75, 5, v7
	v_and_b32_e32 v7, 0x3ffc, v6
	v_add3_u32 v76, v7, v9, s1
	v_lshlrev_b32_e32 v77, 5, v6
	v_and_b32_e32 v6, 28, v5
	v_mov_b32_e32 v7, v3
	v_and_b32_e32 v2, 12, v5
	v_add3_u32 v74, v23, v9, s1
	v_and_b32_e32 v9, 31, v22
	s_waitcnt lgkmcnt(0)
	v_lshl_add_u64 v[24:25], s[10:11], 0, v[6:7]
	v_lshlrev_b32_e32 v5, 7, v4
	v_mov_b32_e32 v7, 0x5680
	v_lshl_or_b32 v6, v9, 2, v5
	v_add_u32_e32 v119, 0x5280, v5
	v_lshl_add_u32 v120, v4, 4, v7
	v_and_b32_e32 v4, 0xfc, v22
	v_lshlrev_b32_e32 v5, 5, v22
	v_add_u32_e32 v117, 0x5280, v6
	v_or_b32_e32 v6, v8, v22
	v_add3_u32 v122, v5, v4, s1
	v_add_u32_e32 v4, 32, v22
	v_lshl_add_u32 v118, v6, 2, v7
	v_and_b32_e32 v5, 0x1fc, v4
	v_lshlrev_b32_e32 v6, 5, v4
	v_add3_u32 v123, v6, v5, s1
	v_add_u32_e32 v5, 64, v22
	s_mul_i32 s16, s3, s14
	v_and_b32_e32 v6, 0x1fc, v5
	v_lshlrev_b32_e32 v5, 5, v5
	s_abs_i32 s3, s7
	v_add3_u32 v124, v5, v6, s1
	v_cvt_f32_u32_e32 v6, s3
	v_add_u32_e32 v5, 0x60, v22
	v_and_b32_e32 v7, 0x1fc, v5
	v_lshlrev_b32_e32 v5, 5, v5
	v_add3_u32 v125, v5, v7, s1
	v_rcp_iflag_f32_e32 v5, v6
	s_andn2_b32 s0, s0, 31
	v_add_u32_e32 v62, s0, v60
	v_add_u32_e32 v64, s0, v62
	v_mul_f32_e32 v5, 0x4f7ffffe, v5
	v_cvt_u32_f32_e32 v5, v5
	v_add_u32_e32 v67, s0, v64
	s_sub_i32 s0, 0, s3
	s_waitcnt vmcnt(0)
	v_sub_u32_e32 v6, 0, v1
	v_mul_lo_u32 v7, s0, v5
	v_mul_hi_u32 v7, v5, v7
	v_max_i32_e32 v6, v1, v6
	v_add_u32_e32 v5, v5, v7
	v_mul_hi_u32 v5, v6, v5
	v_mul_lo_u32 v7, v5, s3
	v_sub_u32_e32 v6, v6, v7
	v_add_u32_e32 v7, 1, v5
	v_cmp_le_u32_e64 s[0:1], s3, v6
	v_lshrrev_b32_e32 v126, 3, v4
	v_xor_b32_e32 v4, s7, v1
	v_cndmask_b32_e64 v5, v5, v7, s[0:1]
	v_subrev_u32_e32 v7, s3, v6
	v_cndmask_b32_e64 v6, v6, v7, s[0:1]
	v_add_u32_e32 v7, 1, v5
	v_cmp_le_u32_e64 s[0:1], s3, v6
	v_ashrrev_i32_e32 v4, 31, v4
	v_mov_b32_e32 v23, v3
	v_cndmask_b32_e64 v5, v5, v7, s[0:1]
	v_xor_b32_e32 v5, v5, v4
	v_sub_u32_e32 v4, v5, v4
	v_cmp_gt_i32_e64 s[0:1], s4, v4
	v_mul_lo_u32 v4, v4, s5
	v_ashrrev_i32_e32 v5, 31, v4
	s_mul_i32 s2, s25, s24
	v_lshl_add_u64 v[6:7], v[4:5], 0, v[22:23]
	v_mad_u64_u32 v[8:9], s[20:21], v6, 36, s[10:11]
	s_mul_hi_i32 s3, s2, 20
	s_mul_i32 s14, s2, 20
	v_lshrrev_b32_e32 v10, 2, v22
	v_mad_i32_i24 v9, v7, 36, v9
	s_mov_b64 s[20:21], 0x90
	v_add_u32_e32 v23, v22, v4
	v_add_u32_e32 v127, v126, v4
	;; [unrolled: 1-line block ×3, first 2 shown]
	v_mov_b32_e32 v4, s14
	v_mov_b32_e32 v5, s3
	v_lshl_add_u64 v[26:27], v[8:9], 0, s[20:21]
	v_mad_u64_u32 v[4:5], s[20:21], v10, 20, v[4:5]
	v_mad_u64_u32 v[6:7], s[20:21], v11, 20, v[4:5]
	v_lshl_add_u64 v[6:7], v[6:7], 0, v[2:3]
	v_lshl_add_u64 v[6:7], v[6:7], 0, s[8:9]
	v_lshl_add_u64 v[28:29], v[6:7], 0, 4
	v_mad_u64_u32 v[6:7], s[20:21], v12, 20, v[4:5]
	v_lshl_add_u64 v[6:7], v[6:7], 0, v[2:3]
	v_lshl_add_u64 v[6:7], v[6:7], 0, s[8:9]
	v_lshl_add_u64 v[30:31], v[6:7], 0, 4
	;; [unrolled: 4-line block ×14, first 2 shown]
	v_mad_u64_u32 v[6:7], s[20:21], v56, 20, v[4:5]
	v_mad_u64_u32 v[4:5], s[20:21], v58, 20, v[4:5]
	v_lshl_add_u64 v[6:7], v[6:7], 0, v[2:3]
	v_lshl_add_u64 v[2:3], v[4:5], 0, v[2:3]
	;; [unrolled: 1-line block ×4, first 2 shown]
	v_mad_u64_u32 v[2:3], s[20:21], v60, 20, 0
	v_mad_i64_i32 v[2:3], s[20:21], s2, 20, v[2:3]
	v_mad_u64_u32 v[2:3], s[20:21], v66, 20, v[2:3]
	v_lshl_add_u64 v[60:61], s[8:9], 0, v[2:3]
	v_mad_u64_u32 v[2:3], s[20:21], v62, 20, 0
	v_mad_i64_i32 v[2:3], s[20:21], s2, 20, v[2:3]
	v_mad_u64_u32 v[2:3], s[20:21], v66, 20, v[2:3]
	v_lshl_add_u64 v[62:63], s[8:9], 0, v[2:3]
	;; [unrolled: 4-line block ×3, first 2 shown]
	v_mad_u64_u32 v[2:3], s[20:21], v67, 20, 0
	s_mov_b32 s18, 0
	v_mad_i64_i32 v[2:3], s[2:3], s2, 20, v[2:3]
	v_mul_u32_u24_e32 v121, 0x84, v22
	v_lshl_add_u64 v[6:7], v[6:7], 0, s[8:9]
	v_mad_u64_u32 v[2:3], s[2:3], v66, 20, v[2:3]
	s_mov_b32 s19, s18
	s_ashr_i32 s17, s16, 31
	v_add_u32_e32 v101, 0x420, v100
	v_add_u32_e32 v102, 0x840, v100
	;; [unrolled: 1-line block ×15, first 2 shown]
	v_cmp_gt_u32_e32 vcc, 4, v22
	v_lshl_add_u64 v[56:57], v[6:7], 0, 4
	v_lshl_add_u64 v[66:67], s[8:9], 0, v[2:3]
	s_movk_i32 s14, 0x80
	v_mov_b64_e32 v[68:69], s[18:19]
	v_add_u32_e32 v129, v70, v71
	v_add_u32_e32 v130, v72, v73
	;; [unrolled: 1-line block ×28, first 2 shown]
	s_mov_b64 s[8:9], 0x120
	s_mov_b64 s[20:21], 0xa0
	v_mov_b64_e32 v[70:71], s[18:19]
	s_branch .LBB199_6
.LBB199_4:                              ;   in Loop: Header=BB199_6 Depth=1
	s_or_b64 exec, exec, s[22:23]
	s_waitcnt lgkmcnt(0)
	s_barrier
	ds_read_b128 v[2:5], v120
	ds_read2_b32 v[72:73], v121 offset0:16 offset1:17
	ds_read_b128 v[14:17], v119
	ds_read_b128 v[18:21], v119 offset:16
	ds_read_b128 v[6:9], v119 offset:32
	;; [unrolled: 1-line block ×3, first 2 shown]
	ds_read2_b32 v[74:75], v122 offset0:4 offset1:5
	s_waitcnt lgkmcnt(5)
	v_and_b32_e32 v76, 0xf0f0f0f, v72
	v_lshrrev_b32_e32 v72, 4, v72
	v_mov_b32_e32 v92, 0
	v_and_b32_e32 v72, 0xf0f0f0f, v72
	s_waitcnt lgkmcnt(4)
	v_dot4c_i32_i8_e32 v92, v76, v14
	s_waitcnt lgkmcnt(3)
	v_dot4c_i32_i8_e32 v92, v72, v18
	v_and_b32_e32 v72, 0xf0f0f0f, v73
	v_lshrrev_b32_e32 v73, 4, v73
	v_and_b32_e32 v76, 0xf0f0f0f, v73
	v_dot4c_i32_i8_e32 v92, v72, v15
	ds_read2_b32 v[72:73], v121 offset0:18 offset1:19
	v_dot4c_i32_i8_e32 v92, v76, v19
	ds_read2_b32 v[82:83], v121 offset0:20 offset1:21
	ds_read2_b32 v[84:85], v121 offset0:22 offset1:23
	;; [unrolled: 1-line block ×3, first 2 shown]
	s_waitcnt lgkmcnt(4)
	v_pk_mul_f16 v93, v2, v74
	v_mov_b32_e32 v157, 0
	s_waitcnt lgkmcnt(3)
	v_and_b32_e32 v76, 0xf0f0f0f, v72
	v_lshrrev_b32_e32 v72, 4, v72
	v_and_b32_e32 v72, 0xf0f0f0f, v72
	v_dot4c_i32_i8_e32 v92, v76, v16
	v_dot4c_i32_i8_e32 v92, v72, v20
	v_and_b32_e32 v72, 0xf0f0f0f, v73
	v_dot4c_i32_i8_e32 v92, v72, v17
	v_add_u32_e32 v72, 0x10c0, v121
	ds_read2_b32 v[78:79], v72 offset1:1
	ds_read2_b32 v[90:91], v121 offset0:26 offset1:27
	ds_read2_b32 v[76:77], v121 offset0:28 offset1:29
	;; [unrolled: 1-line block ×3, first 2 shown]
	v_lshrrev_b32_e32 v73, 4, v73
	s_waitcnt lgkmcnt(3)
	v_and_b32_e32 v74, 0xf0f0f0f, v78
	v_lshrrev_b32_e32 v78, 4, v78
	v_and_b32_e32 v78, 0xf0f0f0f, v78
	v_dot4c_i32_i8_e32 v157, v74, v14
	v_dot4c_i32_i8_e32 v157, v78, v18
	v_and_b32_e32 v74, 0xf0f0f0f, v79
	v_lshrrev_b32_e32 v78, 4, v79
	v_and_b32_e32 v73, 0xf0f0f0f, v73
	v_and_b32_e32 v78, 0xf0f0f0f, v78
	v_dot4c_i32_i8_e32 v157, v74, v15
	v_add_u32_e32 v74, 0x10c8, v121
	v_dot4c_i32_i8_e32 v92, v73, v21
	ds_read2_b32 v[94:95], v123 offset0:4 offset1:5
	ds_read2_b32 v[72:73], v125 offset0:6 offset1:7
	v_dot4c_i32_i8_e32 v157, v78, v19
	ds_read2_b32 v[78:79], v74 offset1:1
	v_add_u32_e32 v86, 0x2140, v121
	v_add_u32_e32 v74, 0x31c0, v121
	;; [unrolled: 1-line block ×3, first 2 shown]
	ds_read2_b32 v[96:97], v86 offset1:1
	ds_read2_b32 v[98:99], v87 offset1:1
	;; [unrolled: 1-line block ×3, first 2 shown]
	s_waitcnt lgkmcnt(3)
	v_and_b32_e32 v74, 0xf0f0f0f, v78
	v_lshrrev_b32_e32 v78, 4, v78
	v_and_b32_e32 v78, 0xf0f0f0f, v78
	v_dot4c_i32_i8_e32 v157, v74, v16
	v_dot4c_i32_i8_e32 v157, v78, v20
	v_and_b32_e32 v74, 0xf0f0f0f, v79
	v_dot4c_i32_i8_e32 v157, v74, v17
	s_waitcnt lgkmcnt(2)
	v_lshrrev_b32_e32 v74, 4, v96
	v_and_b32_e32 v162, 0xf0f0f0f, v96
	v_and_b32_e32 v96, 0xf0f0f0f, v74
	v_mov_b32_e32 v74, 0
	v_dot4c_i32_i8_e32 v74, v162, v14
	v_dot4c_i32_i8_e32 v74, v96, v18
	v_and_b32_e32 v96, 0xf0f0f0f, v97
	v_lshrrev_b32_e32 v97, 4, v97
	v_and_b32_e32 v97, 0xf0f0f0f, v97
	v_dot4c_i32_i8_e32 v74, v96, v15
	v_dot4c_i32_i8_e32 v74, v97, v19
	s_waitcnt lgkmcnt(1)
	v_and_b32_e32 v96, 0xf0f0f0f, v98
	v_lshrrev_b32_e32 v97, 4, v98
	v_and_b32_e32 v97, 0xf0f0f0f, v97
	v_dot4c_i32_i8_e32 v74, v96, v16
	v_dot4c_i32_i8_e32 v74, v97, v20
	v_and_b32_e32 v96, 0xf0f0f0f, v99
	v_lshrrev_b32_e32 v97, 4, v99
	v_and_b32_e32 v97, 0xf0f0f0f, v97
	v_dot4c_i32_i8_e32 v74, v96, v17
	v_dot4c_i32_i8_e32 v74, v97, v21
	s_waitcnt lgkmcnt(0)
	v_and_b32_e32 v96, 0xf0f0f0f, v158
	v_lshrrev_b32_e32 v97, 4, v158
	v_mov_b32_e32 v162, 0
	v_and_b32_e32 v97, 0xf0f0f0f, v97
	v_dot4c_i32_i8_e32 v162, v96, v14
	v_lshrrev_b32_e32 v78, 4, v79
	v_dot4c_i32_i8_e32 v162, v97, v18
	v_and_b32_e32 v14, 0xf0f0f0f, v159
	v_and_b32_e32 v78, 0xf0f0f0f, v78
	v_dot4c_i32_i8_e32 v162, v14, v15
	v_add_u32_e32 v14, 0x31c8, v121
	v_dot4c_i32_i8_e32 v157, v78, v21
	ds_read2_b32 v[160:161], v124 offset0:4 offset1:5
	ds_read2_b32 v[78:79], v123 offset0:6 offset1:7
	;; [unrolled: 1-line block ×3, first 2 shown]
	ds_read2_b32 v[14:15], v14 offset1:1
	v_lshrrev_b32_e32 v18, 4, v159
	v_and_b32_e32 v18, 0xf0f0f0f, v18
	v_dot4c_i32_i8_e32 v162, v18, v19
	v_add_u32_e32 v18, 0x10d0, v121
	v_add_u32_e32 v96, 0x10d8, v121
	;; [unrolled: 1-line block ×3, first 2 shown]
	s_waitcnt lgkmcnt(0)
	v_and_b32_e32 v158, 0xf0f0f0f, v14
	ds_read2_b32 v[18:19], v18 offset1:1
	ds_read2_b32 v[96:97], v96 offset1:1
	;; [unrolled: 1-line block ×3, first 2 shown]
	v_dot4c_i32_i8_e32 v162, v158, v16
	ds_read2_b32 v[158:159], v125 offset0:4 offset1:5
	v_lshrrev_b32_e32 v14, 4, v14
	v_and_b32_e32 v14, 0xf0f0f0f, v14
	v_dot4c_i32_i8_e32 v162, v14, v20
	v_and_b32_e32 v14, 0xf0f0f0f, v15
	v_lshrrev_b32_e32 v15, 4, v15
	v_and_b32_e32 v15, 0xf0f0f0f, v15
	v_dot4c_i32_i8_e32 v162, v14, v17
	v_pk_mul_f16 v94, v2, v94
	v_pk_mul_f16 v160, v2, v160
	v_dot4c_i32_i8_e32 v162, v15, v21
	ds_read2_b32 v[14:15], v124 offset0:6 offset1:7
	s_waitcnt lgkmcnt(1)
	v_pk_mul_f16 v158, v2, v158
	v_and_b32_e32 v2, 0xf0f0f0f, v82
	v_lshrrev_b32_e32 v16, 4, v82
	v_mov_b32_e32 v163, 0
	v_and_b32_e32 v16, 0xf0f0f0f, v16
	v_dot4c_i32_i8_e32 v163, v2, v6
	v_dot4c_i32_i8_e32 v163, v16, v10
	v_and_b32_e32 v2, 0xf0f0f0f, v83
	v_lshrrev_b32_e32 v16, 4, v83
	v_and_b32_e32 v16, 0xf0f0f0f, v16
	v_dot4c_i32_i8_e32 v163, v2, v7
	v_dot4c_i32_i8_e32 v163, v16, v11
	v_and_b32_e32 v2, 0xf0f0f0f, v84
	v_lshrrev_b32_e32 v16, 4, v84
	;; [unrolled: 5-line block ×4, first 2 shown]
	v_mov_b32_e32 v84, 0
	v_and_b32_e32 v16, 0xf0f0f0f, v16
	v_dot4c_i32_i8_e32 v84, v2, v6
	v_dot4c_i32_i8_e32 v84, v16, v10
	v_and_b32_e32 v2, 0xf0f0f0f, v19
	v_lshrrev_b32_e32 v16, 4, v19
	v_and_b32_e32 v16, 0xf0f0f0f, v16
	v_dot4c_i32_i8_e32 v84, v2, v7
	v_dot4c_i32_i8_e32 v84, v16, v11
	v_and_b32_e32 v2, 0xf0f0f0f, v96
	v_lshrrev_b32_e32 v16, 4, v96
	;; [unrolled: 5-line block ×3, first 2 shown]
	v_and_b32_e32 v16, 0xf0f0f0f, v16
	v_dot4c_i32_i8_e32 v84, v2, v9
	v_dot4c_i32_i8_e32 v84, v16, v13
	v_pk_mul_f16 v85, v3, v95
	v_and_b32_e32 v2, 0xf0f0f0f, v98
	v_lshrrev_b32_e32 v16, 4, v98
	v_mov_b32_e32 v95, 0
	v_and_b32_e32 v16, 0xf0f0f0f, v16
	v_dot4c_i32_i8_e32 v95, v2, v6
	v_dot4c_i32_i8_e32 v95, v16, v10
	v_and_b32_e32 v2, 0xf0f0f0f, v99
	v_lshrrev_b32_e32 v16, 4, v99
	v_and_b32_e32 v16, 0xf0f0f0f, v16
	v_dot4c_i32_i8_e32 v95, v2, v7
	v_add_u32_e32 v2, 0x2158, v121
	v_dot4c_i32_i8_e32 v95, v16, v11
	ds_read2_b32 v[16:17], v2 offset1:1
	v_add_u32_e32 v18, 0x31d0, v121
	v_add_u32_e32 v20, 0x31d8, v121
	;; [unrolled: 1-line block ×3, first 2 shown]
	ds_read2_b32 v[18:19], v18 offset1:1
	ds_read2_b32 v[20:21], v20 offset1:1
	;; [unrolled: 1-line block ×3, first 2 shown]
	s_waitcnt lgkmcnt(3)
	v_and_b32_e32 v2, 0xf0f0f0f, v16
	v_lshrrev_b32_e32 v16, 4, v16
	v_and_b32_e32 v16, 0xf0f0f0f, v16
	v_dot4c_i32_i8_e32 v95, v2, v8
	v_dot4c_i32_i8_e32 v95, v16, v12
	v_and_b32_e32 v2, 0xf0f0f0f, v17
	v_lshrrev_b32_e32 v16, 4, v17
	v_and_b32_e32 v16, 0xf0f0f0f, v16
	v_dot4c_i32_i8_e32 v95, v2, v9
	v_dot4c_i32_i8_e32 v95, v16, v13
	s_waitcnt lgkmcnt(2)
	v_and_b32_e32 v2, 0xf0f0f0f, v18
	v_lshrrev_b32_e32 v16, 4, v18
	v_mov_b32_e32 v97, 0
	v_and_b32_e32 v16, 0xf0f0f0f, v16
	v_dot4c_i32_i8_e32 v97, v2, v6
	v_dot4c_i32_i8_e32 v97, v16, v10
	v_and_b32_e32 v2, 0xf0f0f0f, v19
	v_lshrrev_b32_e32 v6, 4, v19
	v_and_b32_e32 v6, 0xf0f0f0f, v6
	v_dot4c_i32_i8_e32 v97, v2, v7
	v_dot4c_i32_i8_e32 v97, v6, v11
	s_waitcnt lgkmcnt(1)
	v_and_b32_e32 v2, 0xf0f0f0f, v20
	v_lshrrev_b32_e32 v6, 4, v20
	v_and_b32_e32 v6, 0xf0f0f0f, v6
	v_dot4c_i32_i8_e32 v97, v2, v8
	v_dot4c_i32_i8_e32 v97, v6, v12
	v_and_b32_e32 v2, 0xf0f0f0f, v21
	v_lshrrev_b32_e32 v6, 4, v21
	v_and_b32_e32 v6, 0xf0f0f0f, v6
	v_dot4c_i32_i8_e32 v97, v2, v9
	v_dot4c_i32_i8_e32 v97, v6, v13
	ds_read_b128 v[6:9], v119 offset:64
	ds_read_b128 v[10:13], v119 offset:80
	v_pk_mul_f16 v75, v3, v75
	v_pk_mul_f16 v96, v3, v161
	;; [unrolled: 1-line block ×3, first 2 shown]
	v_and_b32_e32 v2, 0xf0f0f0f, v88
	v_lshrrev_b32_e32 v3, 4, v88
	v_mov_b32_e32 v88, 0
	v_and_b32_e32 v3, 0xf0f0f0f, v3
	s_waitcnt lgkmcnt(1)
	v_dot4c_i32_i8_e32 v88, v2, v6
	s_waitcnt lgkmcnt(0)
	v_dot4c_i32_i8_e32 v88, v3, v10
	v_and_b32_e32 v2, 0xf0f0f0f, v89
	v_lshrrev_b32_e32 v3, 4, v89
	v_and_b32_e32 v3, 0xf0f0f0f, v3
	v_dot4c_i32_i8_e32 v88, v2, v7
	v_dot4c_i32_i8_e32 v88, v3, v11
	v_and_b32_e32 v2, 0xf0f0f0f, v90
	v_lshrrev_b32_e32 v3, 4, v90
	v_and_b32_e32 v3, 0xf0f0f0f, v3
	v_dot4c_i32_i8_e32 v88, v2, v8
	v_dot4c_i32_i8_e32 v88, v3, v12
	v_and_b32_e32 v2, 0xf0f0f0f, v91
	v_lshrrev_b32_e32 v3, 4, v91
	v_and_b32_e32 v3, 0xf0f0f0f, v3
	v_dot4c_i32_i8_e32 v88, v2, v9
	v_dot4c_i32_i8_e32 v88, v3, v13
	v_and_b32_e32 v2, 0xf0f0f0f, v82
	v_lshrrev_b32_e32 v3, 4, v82
	v_mov_b32_e32 v89, 0
	v_and_b32_e32 v3, 0xf0f0f0f, v3
	v_dot4c_i32_i8_e32 v89, v2, v6
	v_dot4c_i32_i8_e32 v89, v3, v10
	v_and_b32_e32 v2, 0xf0f0f0f, v83
	v_lshrrev_b32_e32 v3, 4, v83
	v_and_b32_e32 v3, 0xf0f0f0f, v3
	v_dot4c_i32_i8_e32 v89, v2, v7
	v_add_u32_e32 v2, 0x10e8, v121
	v_dot4c_i32_i8_e32 v89, v3, v11
	ds_read2_b32 v[2:3], v2 offset1:1
	v_add_u32_e32 v16, 0x2160, v121
	v_add_u32_e32 v18, 0x2168, v121
	;; [unrolled: 1-line block ×3, first 2 shown]
	ds_read2_b32 v[16:17], v16 offset1:1
	ds_read2_b32 v[18:19], v18 offset1:1
	;; [unrolled: 1-line block ×3, first 2 shown]
	s_waitcnt lgkmcnt(3)
	v_and_b32_e32 v82, 0xf0f0f0f, v2
	v_lshrrev_b32_e32 v2, 4, v2
	v_and_b32_e32 v2, 0xf0f0f0f, v2
	v_dot4c_i32_i8_e32 v89, v82, v8
	v_dot4c_i32_i8_e32 v89, v2, v12
	v_and_b32_e32 v2, 0xf0f0f0f, v3
	v_lshrrev_b32_e32 v3, 4, v3
	v_and_b32_e32 v3, 0xf0f0f0f, v3
	v_dot4c_i32_i8_e32 v89, v2, v9
	v_dot4c_i32_i8_e32 v89, v3, v13
	s_waitcnt lgkmcnt(2)
	v_and_b32_e32 v2, 0xf0f0f0f, v16
	v_lshrrev_b32_e32 v3, 4, v16
	v_mov_b32_e32 v90, 0
	v_and_b32_e32 v3, 0xf0f0f0f, v3
	v_dot4c_i32_i8_e32 v90, v2, v6
	v_dot4c_i32_i8_e32 v90, v3, v10
	v_and_b32_e32 v2, 0xf0f0f0f, v17
	v_lshrrev_b32_e32 v3, 4, v17
	v_and_b32_e32 v3, 0xf0f0f0f, v3
	v_dot4c_i32_i8_e32 v90, v2, v7
	v_dot4c_i32_i8_e32 v90, v3, v11
	s_waitcnt lgkmcnt(1)
	v_and_b32_e32 v2, 0xf0f0f0f, v18
	v_lshrrev_b32_e32 v3, 4, v18
	v_and_b32_e32 v3, 0xf0f0f0f, v3
	v_dot4c_i32_i8_e32 v90, v2, v8
	v_dot4c_i32_i8_e32 v90, v3, v12
	v_and_b32_e32 v2, 0xf0f0f0f, v19
	v_lshrrev_b32_e32 v3, 4, v19
	v_and_b32_e32 v3, 0xf0f0f0f, v3
	v_dot4c_i32_i8_e32 v90, v2, v9
	v_dot4c_i32_i8_e32 v90, v3, v13
	s_waitcnt lgkmcnt(0)
	v_and_b32_e32 v2, 0xf0f0f0f, v20
	v_lshrrev_b32_e32 v3, 4, v20
	v_mov_b32_e32 v99, 0
	v_and_b32_e32 v3, 0xf0f0f0f, v3
	v_dot4c_i32_i8_e32 v99, v2, v6
	v_dot4c_i32_i8_e32 v99, v3, v10
	v_and_b32_e32 v2, 0xf0f0f0f, v21
	v_lshrrev_b32_e32 v3, 4, v21
	v_and_b32_e32 v3, 0xf0f0f0f, v3
	v_dot4c_i32_i8_e32 v99, v2, v7
	v_add_u32_e32 v2, 0x31e8, v121
	v_dot4c_i32_i8_e32 v99, v3, v11
	ds_read2_b32 v[2:3], v2 offset1:1
	v_add_u32_e32 v6, 0x10f0, v121
	v_add_u32_e32 v7, 0x10f8, v121
	v_add_u32_e32 v10, 0x2170, v121
	ds_read2_b32 v[16:17], v6 offset1:1
	ds_read2_b32 v[18:19], v7 offset1:1
	;; [unrolled: 1-line block ×3, first 2 shown]
	s_waitcnt lgkmcnt(3)
	v_and_b32_e32 v6, 0xf0f0f0f, v2
	v_lshrrev_b32_e32 v2, 4, v2
	v_and_b32_e32 v2, 0xf0f0f0f, v2
	v_dot4c_i32_i8_e32 v99, v6, v8
	v_dot4c_i32_i8_e32 v99, v2, v12
	v_and_b32_e32 v2, 0xf0f0f0f, v3
	v_lshrrev_b32_e32 v3, 4, v3
	v_and_b32_e32 v3, 0xf0f0f0f, v3
	v_dot4c_i32_i8_e32 v99, v2, v9
	v_dot4c_i32_i8_e32 v99, v3, v13
	ds_read_b128 v[6:9], v119 offset:96
	ds_read_b128 v[10:13], v119 offset:112
	v_pk_mul_f16 v86, v4, v86
	v_pk_mul_f16 v78, v4, v78
	;; [unrolled: 1-line block ×4, first 2 shown]
	v_and_b32_e32 v2, 0xf0f0f0f, v76
	v_lshrrev_b32_e32 v3, 4, v76
	v_mov_b32_e32 v4, 0
	v_and_b32_e32 v3, 0xf0f0f0f, v3
	s_waitcnt lgkmcnt(1)
	v_dot4c_i32_i8_e32 v4, v2, v6
	s_waitcnt lgkmcnt(0)
	v_dot4c_i32_i8_e32 v4, v3, v10
	v_and_b32_e32 v2, 0xf0f0f0f, v77
	v_lshrrev_b32_e32 v3, 4, v77
	v_and_b32_e32 v3, 0xf0f0f0f, v3
	v_dot4c_i32_i8_e32 v4, v2, v7
	v_dot4c_i32_i8_e32 v4, v3, v11
	v_and_b32_e32 v2, 0xf0f0f0f, v80
	v_lshrrev_b32_e32 v3, 4, v80
	v_and_b32_e32 v3, 0xf0f0f0f, v3
	v_dot4c_i32_i8_e32 v4, v2, v8
	;; [unrolled: 5-line block ×3, first 2 shown]
	v_dot4c_i32_i8_e32 v4, v3, v13
	v_pk_mul_f16 v14, v5, v87
	v_and_b32_e32 v2, 0xf0f0f0f, v16
	v_lshrrev_b32_e32 v3, 4, v16
	v_mov_b32_e32 v87, 0
	v_and_b32_e32 v3, 0xf0f0f0f, v3
	v_dot4c_i32_i8_e32 v87, v2, v6
	v_dot4c_i32_i8_e32 v87, v3, v10
	v_and_b32_e32 v2, 0xf0f0f0f, v17
	v_lshrrev_b32_e32 v3, 4, v17
	v_and_b32_e32 v3, 0xf0f0f0f, v3
	v_dot4c_i32_i8_e32 v87, v2, v7
	v_dot4c_i32_i8_e32 v87, v3, v11
	v_and_b32_e32 v2, 0xf0f0f0f, v18
	v_lshrrev_b32_e32 v3, 4, v18
	;; [unrolled: 5-line block ×3, first 2 shown]
	v_and_b32_e32 v3, 0xf0f0f0f, v3
	v_dot4c_i32_i8_e32 v87, v2, v9
	v_dot4c_i32_i8_e32 v87, v3, v13
	v_cvt_f32_f16_e32 v3, v94
	v_cvt_f32_f16_e32 v2, v93
	v_cvt_f32_f16_sdwa v17, v94 dst_sel:DWORD dst_unused:UNUSED_PAD src0_sel:WORD_1
	v_cvt_f32_f16_sdwa v16, v93 dst_sel:DWORD dst_unused:UNUSED_PAD src0_sel:WORD_1
	v_cvt_f32_i32_e32 v19, v157
	v_cvt_f32_i32_e32 v18, v92
	v_cvt_f32_f16_e32 v77, v85
	v_cvt_f32_f16_e32 v76, v75
	v_cvt_f32_f16_sdwa v81, v85 dst_sel:DWORD dst_unused:UNUSED_PAD src0_sel:WORD_1
	v_cvt_f32_f16_sdwa v80, v75 dst_sel:DWORD dst_unused:UNUSED_PAD src0_sel:WORD_1
	v_cvt_f32_i32_e32 v83, v84
	v_cvt_f32_i32_e32 v82, v163
	v_pk_fma_f32 v[2:3], v[2:3], v[18:19], v[16:17]
	v_pk_mul_f16 v75, v5, v79
	v_pk_add_f32 v[2:3], v[68:69], v[2:3]
	v_pk_fma_f32 v[16:17], v[76:77], v[82:83], v[80:81]
	v_cvt_f32_f16_e32 v19, v78
	v_cvt_f32_f16_e32 v18, v86
	v_cvt_f32_f16_sdwa v69, v78 dst_sel:DWORD dst_unused:UNUSED_PAD src0_sel:WORD_1
	v_cvt_f32_f16_sdwa v68, v86 dst_sel:DWORD dst_unused:UNUSED_PAD src0_sel:WORD_1
	v_cvt_f32_i32_e32 v77, v89
	v_cvt_f32_i32_e32 v76, v88
	v_cvt_f32_f16_e32 v79, v75
	v_cvt_f32_f16_e32 v78, v14
	v_cvt_f32_f16_sdwa v81, v75 dst_sel:DWORD dst_unused:UNUSED_PAD src0_sel:WORD_1
	v_cvt_f32_f16_sdwa v80, v14 dst_sel:DWORD dst_unused:UNUSED_PAD src0_sel:WORD_1
	v_cvt_f32_i32_e32 v83, v87
	v_cvt_f32_i32_e32 v82, v4
	v_pk_add_f32 v[2:3], v[2:3], v[16:17]
	v_pk_fma_f32 v[16:17], v[18:19], v[76:77], v[68:69]
	v_add_u32_e32 v4, 0x31f0, v121
	v_pk_add_f32 v[2:3], v[2:3], v[16:17]
	v_pk_fma_f32 v[16:17], v[78:79], v[82:83], v[80:81]
	v_add_u32_e32 v14, 0x31f8, v121
	v_pk_add_f32 v[68:69], v[2:3], v[16:17]
	v_and_b32_e32 v2, 0xf0f0f0f, v20
	v_lshrrev_b32_e32 v3, 4, v20
	v_mov_b32_e32 v20, 0
	v_and_b32_e32 v3, 0xf0f0f0f, v3
	v_dot4c_i32_i8_e32 v20, v2, v6
	v_dot4c_i32_i8_e32 v20, v3, v10
	v_and_b32_e32 v2, 0xf0f0f0f, v21
	v_lshrrev_b32_e32 v3, 4, v21
	v_and_b32_e32 v3, 0xf0f0f0f, v3
	v_dot4c_i32_i8_e32 v20, v2, v7
	v_add_u32_e32 v2, 0x2178, v121
	v_dot4c_i32_i8_e32 v20, v3, v11
	ds_read2_b32 v[2:3], v2 offset1:1
	ds_read2_b32 v[16:17], v4 offset1:1
	;; [unrolled: 1-line block ×3, first 2 shown]
	v_pk_mul_f16 v21, v5, v15
	v_cvt_f32_i32_e32 v15, v97
	v_cvt_f32_i32_e32 v14, v95
	s_waitcnt lgkmcnt(2)
	v_and_b32_e32 v4, 0xf0f0f0f, v2
	v_lshrrev_b32_e32 v2, 4, v2
	v_and_b32_e32 v2, 0xf0f0f0f, v2
	v_dot4c_i32_i8_e32 v20, v4, v8
	v_dot4c_i32_i8_e32 v20, v2, v12
	v_and_b32_e32 v2, 0xf0f0f0f, v3
	v_lshrrev_b32_e32 v3, 4, v3
	v_and_b32_e32 v3, 0xf0f0f0f, v3
	v_dot4c_i32_i8_e32 v20, v2, v9
	v_dot4c_i32_i8_e32 v20, v3, v13
	s_waitcnt lgkmcnt(1)
	v_and_b32_e32 v2, 0xf0f0f0f, v16
	v_lshrrev_b32_e32 v3, 4, v16
	v_mov_b32_e32 v16, 0
	v_and_b32_e32 v3, 0xf0f0f0f, v3
	v_dot4c_i32_i8_e32 v16, v2, v6
	v_dot4c_i32_i8_e32 v16, v3, v10
	v_and_b32_e32 v2, 0xf0f0f0f, v17
	v_lshrrev_b32_e32 v3, 4, v17
	v_and_b32_e32 v3, 0xf0f0f0f, v3
	v_dot4c_i32_i8_e32 v16, v2, v7
	v_dot4c_i32_i8_e32 v16, v3, v11
	s_waitcnt lgkmcnt(0)
	v_and_b32_e32 v2, 0xf0f0f0f, v18
	v_lshrrev_b32_e32 v3, 4, v18
	v_and_b32_e32 v3, 0xf0f0f0f, v3
	v_dot4c_i32_i8_e32 v16, v2, v8
	v_dot4c_i32_i8_e32 v16, v3, v12
	v_and_b32_e32 v2, 0xf0f0f0f, v19
	v_lshrrev_b32_e32 v3, 4, v19
	v_and_b32_e32 v3, 0xf0f0f0f, v3
	v_dot4c_i32_i8_e32 v16, v2, v9
	v_dot4c_i32_i8_e32 v16, v3, v13
	v_cvt_f32_f16_e32 v3, v158
	v_cvt_f32_f16_e32 v2, v160
	v_cvt_f32_f16_sdwa v7, v158 dst_sel:DWORD dst_unused:UNUSED_PAD src0_sel:WORD_1
	v_cvt_f32_f16_sdwa v6, v160 dst_sel:DWORD dst_unused:UNUSED_PAD src0_sel:WORD_1
	v_cvt_f32_i32_e32 v9, v162
	v_cvt_f32_i32_e32 v8, v74
	v_cvt_f32_f16_e32 v11, v98
	v_cvt_f32_f16_e32 v10, v96
	v_cvt_f32_f16_sdwa v13, v98 dst_sel:DWORD dst_unused:UNUSED_PAD src0_sel:WORD_1
	v_cvt_f32_f16_sdwa v12, v96 dst_sel:DWORD dst_unused:UNUSED_PAD src0_sel:WORD_1
	v_pk_mul_f16 v17, v5, v73
	v_pk_fma_f32 v[2:3], v[2:3], v[8:9], v[6:7]
	v_cvt_f32_f16_e32 v7, v72
	v_pk_fma_f32 v[4:5], v[10:11], v[14:15], v[12:13]
	v_cvt_f32_f16_e32 v6, v91
	v_cvt_f32_f16_sdwa v9, v72 dst_sel:DWORD dst_unused:UNUSED_PAD src0_sel:WORD_1
	v_cvt_f32_f16_sdwa v8, v91 dst_sel:DWORD dst_unused:UNUSED_PAD src0_sel:WORD_1
	v_cvt_f32_i32_e32 v11, v99
	v_cvt_f32_i32_e32 v10, v90
	v_cvt_f32_f16_e32 v13, v17
	v_cvt_f32_f16_e32 v12, v21
	v_cvt_f32_f16_sdwa v15, v17 dst_sel:DWORD dst_unused:UNUSED_PAD src0_sel:WORD_1
	v_cvt_f32_f16_sdwa v14, v21 dst_sel:DWORD dst_unused:UNUSED_PAD src0_sel:WORD_1
	v_cvt_f32_i32_e32 v17, v16
	v_cvt_f32_i32_e32 v16, v20
	v_pk_add_f32 v[2:3], v[70:71], v[2:3]
	s_nop 0
	v_pk_add_f32 v[2:3], v[2:3], v[4:5]
	v_pk_fma_f32 v[4:5], v[6:7], v[10:11], v[8:9]
	s_barrier
	v_pk_add_f32 v[2:3], v[2:3], v[4:5]
	v_pk_fma_f32 v[4:5], v[12:13], v[16:17], v[14:15]
	s_nop 0
	v_pk_add_f32 v[70:71], v[2:3], v[4:5]
.LBB199_5:                              ;   in Loop: Header=BB199_6 Depth=1
	s_add_i32 s18, s18, 8
	s_addk_i32 s14, 0x100
	v_lshl_add_u64 v[26:27], v[26:27], 0, s[8:9]
	v_lshl_add_u64 v[28:29], v[28:29], 0, s[20:21]
	;; [unrolled: 1-line block ×20, first 2 shown]
	s_cmp_ge_i32 s18, s25
	v_lshl_add_u64 v[66:67], v[66:67], 0, s[20:21]
	s_cbranch_scc1 .LBB199_20
.LBB199_6:                              ; =>This Inner Loop Header: Depth=1
	v_lshl_add_u64 v[2:3], v[28:29], 0, s[16:17]
	global_load_dword v4, v[2:3], off
	v_lshl_add_u64 v[2:3], v[30:31], 0, s[16:17]
	global_load_dword v5, v[2:3], off
	;; [unrolled: 2-line block ×20, first 2 shown]
	s_add_i32 s2, s14, 0xffffff80
	s_cmp_lt_i32 s2, s15
	s_waitcnt vmcnt(19)
	ds_write_b32 v100, v4
	s_waitcnt vmcnt(18)
	ds_write_b32 v101, v5
	;; [unrolled: 2-line block ×20, first 2 shown]
	s_cbranch_scc0 .LBB199_5
; %bb.7:                                ;   in Loop: Header=BB199_6 Depth=1
	v_add_u32_e32 v2, s18, v116
	v_cmp_gt_i32_e64 s[2:3], s5, v2
	s_and_b64 s[22:23], s[0:1], s[2:3]
	s_and_saveexec_b64 s[2:3], s[22:23]
	s_cbranch_execz .LBB199_9
; %bb.8:                                ;   in Loop: Header=BB199_6 Depth=1
	v_add_u32_e32 v2, s18, v128
	v_mad_i64_i32 v[2:3], s[22:23], v2, 36, v[24:25]
	global_load_dword v2, v[2:3], off offset:4
	s_waitcnt vmcnt(0)
	ds_write_b32 v117, v2
.LBB199_9:                              ;   in Loop: Header=BB199_6 Depth=1
	s_or_b64 exec, exec, s[2:3]
	s_and_saveexec_b64 s[22:23], vcc
	s_cbranch_execz .LBB199_12
; %bb.10:                               ;   in Loop: Header=BB199_6 Depth=1
	v_add_u32_e32 v2, s18, v22
	v_cmp_gt_i32_e64 s[2:3], s5, v2
	s_and_b64 s[2:3], s[0:1], s[2:3]
	s_and_b64 exec, exec, s[2:3]
	s_cbranch_execz .LBB199_12
; %bb.11:                               ;   in Loop: Header=BB199_6 Depth=1
	v_add_u32_e32 v2, s18, v23
	v_mad_i64_i32 v[2:3], s[2:3], v2, 36, s[10:11]
	global_load_dword v2, v[2:3], off
	s_waitcnt vmcnt(0)
	ds_write_b32 v118, v2
.LBB199_12:                             ;   in Loop: Header=BB199_6 Depth=1
	s_or_b64 exec, exec, s[22:23]
	s_waitcnt lgkmcnt(0)
	s_barrier
	ds_read_b128 v[2:5], v120
	ds_read2_b32 v[72:73], v121 offset1:1
	ds_read_b128 v[14:17], v119
	ds_read_b128 v[18:21], v119 offset:16
	ds_read_b128 v[6:9], v119 offset:32
	;; [unrolled: 1-line block ×3, first 2 shown]
	ds_read2_b32 v[74:75], v122 offset1:1
	s_waitcnt lgkmcnt(5)
	v_and_b32_e32 v76, 0xf0f0f0f, v72
	v_lshrrev_b32_e32 v72, 4, v72
	v_mov_b32_e32 v78, 0
	v_and_b32_e32 v72, 0xf0f0f0f, v72
	s_waitcnt lgkmcnt(4)
	v_dot4c_i32_i8_e32 v78, v76, v14
	s_waitcnt lgkmcnt(3)
	v_dot4c_i32_i8_e32 v78, v72, v18
	v_and_b32_e32 v72, 0xf0f0f0f, v73
	v_lshrrev_b32_e32 v73, 4, v73
	v_and_b32_e32 v76, 0xf0f0f0f, v73
	v_dot4c_i32_i8_e32 v78, v72, v15
	ds_read2_b32 v[72:73], v121 offset0:2 offset1:3
	v_dot4c_i32_i8_e32 v78, v76, v19
	ds_read2_b32 v[90:91], v121 offset0:4 offset1:5
	ds_read2_b32 v[92:93], v121 offset0:6 offset1:7
	;; [unrolled: 1-line block ×6, first 2 shown]
	s_waitcnt lgkmcnt(7)
	v_pk_mul_f16 v157, v2, v74
	s_waitcnt lgkmcnt(6)
	v_and_b32_e32 v76, 0xf0f0f0f, v72
	v_dot4c_i32_i8_e32 v78, v76, v16
	ds_read2_b32 v[76:77], v133 offset1:1
	v_lshrrev_b32_e32 v72, 4, v72
	v_and_b32_e32 v72, 0xf0f0f0f, v72
	v_dot4c_i32_i8_e32 v78, v72, v20
	v_and_b32_e32 v72, 0xf0f0f0f, v73
	v_lshrrev_b32_e32 v73, 4, v73
	s_waitcnt lgkmcnt(0)
	v_and_b32_e32 v74, 0xf0f0f0f, v76
	v_lshrrev_b32_e32 v76, 4, v76
	v_mov_b32_e32 v83, 0
	v_and_b32_e32 v73, 0xf0f0f0f, v73
	v_dot4c_i32_i8_e32 v78, v72, v17
	v_and_b32_e32 v76, 0xf0f0f0f, v76
	v_dot4c_i32_i8_e32 v83, v74, v14
	v_dot4c_i32_i8_e32 v78, v73, v21
	;; [unrolled: 1-line block ×3, first 2 shown]
	v_lshrrev_b32_e32 v76, 4, v77
	ds_read2_b32 v[158:159], v123 offset1:1
	ds_read2_b32 v[72:73], v125 offset0:2 offset1:3
	v_cvt_f32_i32_e32 v82, v78
	v_and_b32_e32 v74, 0xf0f0f0f, v77
	v_and_b32_e32 v78, 0xf0f0f0f, v76
	ds_read2_b32 v[76:77], v134 offset1:1
	v_dot4c_i32_i8_e32 v83, v74, v15
	v_dot4c_i32_i8_e32 v83, v78, v19
	ds_read2_b32 v[78:79], v135 offset1:1
	ds_read2_b32 v[160:161], v136 offset1:1
	;; [unrolled: 1-line block ×4, first 2 shown]
	ds_read2_b32 v[86:87], v123 offset0:2 offset1:3
	ds_read2_b32 v[94:95], v122 offset0:2 offset1:3
	s_waitcnt lgkmcnt(6)
	v_and_b32_e32 v74, 0xf0f0f0f, v76
	v_lshrrev_b32_e32 v76, 4, v76
	v_and_b32_e32 v76, 0xf0f0f0f, v76
	v_dot4c_i32_i8_e32 v83, v74, v16
	v_dot4c_i32_i8_e32 v83, v76, v20
	v_and_b32_e32 v74, 0xf0f0f0f, v77
	v_lshrrev_b32_e32 v76, 4, v77
	v_and_b32_e32 v76, 0xf0f0f0f, v76
	v_dot4c_i32_i8_e32 v83, v74, v17
	v_dot4c_i32_i8_e32 v83, v76, v21
	s_waitcnt lgkmcnt(5)
	v_and_b32_e32 v74, 0xf0f0f0f, v78
	v_lshrrev_b32_e32 v76, 4, v78
	v_mov_b32_e32 v77, 0
	v_and_b32_e32 v76, 0xf0f0f0f, v76
	v_dot4c_i32_i8_e32 v77, v74, v14
	v_dot4c_i32_i8_e32 v77, v76, v18
	v_and_b32_e32 v74, 0xf0f0f0f, v79
	v_lshrrev_b32_e32 v76, 4, v79
	v_and_b32_e32 v76, 0xf0f0f0f, v76
	v_dot4c_i32_i8_e32 v77, v74, v15
	v_dot4c_i32_i8_e32 v77, v76, v19
	s_waitcnt lgkmcnt(4)
	v_and_b32_e32 v74, 0xf0f0f0f, v160
	v_lshrrev_b32_e32 v76, 4, v160
	v_and_b32_e32 v76, 0xf0f0f0f, v76
	v_dot4c_i32_i8_e32 v77, v74, v16
	v_dot4c_i32_i8_e32 v77, v76, v20
	v_and_b32_e32 v74, 0xf0f0f0f, v161
	v_lshrrev_b32_e32 v76, 4, v161
	v_and_b32_e32 v76, 0xf0f0f0f, v76
	v_dot4c_i32_i8_e32 v77, v74, v17
	v_dot4c_i32_i8_e32 v77, v76, v21
	s_waitcnt lgkmcnt(3)
	v_and_b32_e32 v74, 0xf0f0f0f, v162
	v_mov_b32_e32 v79, 0
	v_dot4c_i32_i8_e32 v79, v74, v14
	v_cvt_f32_i32_e32 v78, v77
	v_lshrrev_b32_e32 v77, 4, v162
	v_and_b32_e32 v77, 0xf0f0f0f, v77
	v_dot4c_i32_i8_e32 v79, v77, v18
	v_and_b32_e32 v14, 0xf0f0f0f, v163
	v_dot4c_i32_i8_e32 v79, v14, v15
	ds_read2_b32 v[14:15], v138 offset1:1
	v_lshrrev_b32_e32 v18, 4, v163
	v_and_b32_e32 v18, 0xf0f0f0f, v18
	v_dot4c_i32_i8_e32 v79, v18, v19
	ds_read2_b32 v[18:19], v139 offset1:1
	ds_read2_b32 v[160:161], v140 offset1:1
	;; [unrolled: 1-line block ×4, first 2 shown]
	s_waitcnt lgkmcnt(4)
	v_and_b32_e32 v74, 0xf0f0f0f, v14
	v_lshrrev_b32_e32 v14, 4, v14
	v_and_b32_e32 v14, 0xf0f0f0f, v14
	v_dot4c_i32_i8_e32 v79, v74, v16
	v_dot4c_i32_i8_e32 v79, v14, v20
	v_and_b32_e32 v14, 0xf0f0f0f, v15
	v_lshrrev_b32_e32 v15, 4, v15
	v_and_b32_e32 v15, 0xf0f0f0f, v15
	v_dot4c_i32_i8_e32 v79, v14, v17
	v_pk_mul_f16 v158, v2, v158
	v_pk_mul_f16 v164, v2, v164
	v_dot4c_i32_i8_e32 v79, v15, v21
	ds_read2_b32 v[14:15], v124 offset0:2 offset1:3
	s_waitcnt lgkmcnt(1)
	v_pk_mul_f16 v166, v2, v166
	v_and_b32_e32 v2, 0xf0f0f0f, v90
	v_lshrrev_b32_e32 v16, 4, v90
	v_mov_b32_e32 v90, 0
	v_and_b32_e32 v16, 0xf0f0f0f, v16
	v_dot4c_i32_i8_e32 v90, v2, v6
	v_dot4c_i32_i8_e32 v90, v16, v10
	v_and_b32_e32 v2, 0xf0f0f0f, v91
	v_lshrrev_b32_e32 v16, 4, v91
	v_and_b32_e32 v16, 0xf0f0f0f, v16
	v_dot4c_i32_i8_e32 v90, v2, v7
	v_dot4c_i32_i8_e32 v90, v16, v11
	v_and_b32_e32 v2, 0xf0f0f0f, v92
	v_lshrrev_b32_e32 v16, 4, v92
	v_and_b32_e32 v16, 0xf0f0f0f, v16
	v_dot4c_i32_i8_e32 v90, v2, v8
	v_dot4c_i32_i8_e32 v90, v16, v12
	v_and_b32_e32 v2, 0xf0f0f0f, v93
	v_lshrrev_b32_e32 v16, 4, v93
	v_and_b32_e32 v16, 0xf0f0f0f, v16
	v_dot4c_i32_i8_e32 v90, v2, v9
	v_dot4c_i32_i8_e32 v90, v16, v13
	v_and_b32_e32 v2, 0xf0f0f0f, v18
	v_lshrrev_b32_e32 v16, 4, v18
	v_mov_b32_e32 v92, 0
	v_and_b32_e32 v16, 0xf0f0f0f, v16
	v_dot4c_i32_i8_e32 v92, v2, v6
	v_dot4c_i32_i8_e32 v92, v16, v10
	v_and_b32_e32 v2, 0xf0f0f0f, v19
	v_lshrrev_b32_e32 v16, 4, v19
	v_and_b32_e32 v16, 0xf0f0f0f, v16
	v_dot4c_i32_i8_e32 v92, v2, v7
	v_dot4c_i32_i8_e32 v92, v16, v11
	v_and_b32_e32 v2, 0xf0f0f0f, v160
	v_lshrrev_b32_e32 v16, 4, v160
	;; [unrolled: 5-line block ×3, first 2 shown]
	v_and_b32_e32 v16, 0xf0f0f0f, v16
	v_dot4c_i32_i8_e32 v92, v2, v9
	v_dot4c_i32_i8_e32 v92, v16, v13
	v_pk_mul_f16 v93, v3, v159
	v_and_b32_e32 v2, 0xf0f0f0f, v162
	v_lshrrev_b32_e32 v16, 4, v162
	v_mov_b32_e32 v159, 0
	v_and_b32_e32 v16, 0xf0f0f0f, v16
	v_dot4c_i32_i8_e32 v159, v2, v6
	v_dot4c_i32_i8_e32 v159, v16, v10
	v_lshrrev_b32_e32 v16, 4, v163
	v_and_b32_e32 v18, 0xf0f0f0f, v16
	ds_read2_b32 v[16:17], v142 offset1:1
	v_and_b32_e32 v2, 0xf0f0f0f, v163
	v_dot4c_i32_i8_e32 v159, v2, v7
	v_dot4c_i32_i8_e32 v159, v18, v11
	v_pk_mul_f16 v91, v3, v75
	s_waitcnt lgkmcnt(0)
	v_and_b32_e32 v2, 0xf0f0f0f, v16
	v_lshrrev_b32_e32 v16, 4, v16
	ds_read2_b32 v[18:19], v143 offset1:1
	ds_read2_b32 v[20:21], v144 offset1:1
	;; [unrolled: 1-line block ×3, first 2 shown]
	v_and_b32_e32 v16, 0xf0f0f0f, v16
	v_dot4c_i32_i8_e32 v159, v2, v8
	v_dot4c_i32_i8_e32 v159, v16, v12
	v_and_b32_e32 v2, 0xf0f0f0f, v17
	v_lshrrev_b32_e32 v16, 4, v17
	v_and_b32_e32 v16, 0xf0f0f0f, v16
	v_dot4c_i32_i8_e32 v159, v2, v9
	v_dot4c_i32_i8_e32 v159, v16, v13
	s_waitcnt lgkmcnt(2)
	v_and_b32_e32 v2, 0xf0f0f0f, v18
	v_lshrrev_b32_e32 v16, 4, v18
	v_mov_b32_e32 v161, 0
	v_and_b32_e32 v16, 0xf0f0f0f, v16
	v_dot4c_i32_i8_e32 v161, v2, v6
	v_dot4c_i32_i8_e32 v161, v16, v10
	v_and_b32_e32 v2, 0xf0f0f0f, v19
	v_lshrrev_b32_e32 v6, 4, v19
	v_and_b32_e32 v6, 0xf0f0f0f, v6
	v_dot4c_i32_i8_e32 v161, v2, v7
	v_dot4c_i32_i8_e32 v161, v6, v11
	s_waitcnt lgkmcnt(1)
	v_and_b32_e32 v2, 0xf0f0f0f, v20
	v_lshrrev_b32_e32 v6, 4, v20
	v_and_b32_e32 v6, 0xf0f0f0f, v6
	v_dot4c_i32_i8_e32 v161, v2, v8
	v_dot4c_i32_i8_e32 v161, v6, v12
	v_and_b32_e32 v2, 0xf0f0f0f, v21
	v_lshrrev_b32_e32 v6, 4, v21
	v_and_b32_e32 v6, 0xf0f0f0f, v6
	v_dot4c_i32_i8_e32 v161, v2, v9
	v_dot4c_i32_i8_e32 v161, v6, v13
	ds_read_b128 v[6:9], v119 offset:64
	ds_read_b128 v[10:13], v119 offset:80
	v_pk_mul_f16 v160, v3, v165
	v_pk_mul_f16 v162, v3, v167
	v_and_b32_e32 v2, 0xf0f0f0f, v96
	v_lshrrev_b32_e32 v3, 4, v96
	v_mov_b32_e32 v96, 0
	v_and_b32_e32 v3, 0xf0f0f0f, v3
	s_waitcnt lgkmcnt(1)
	v_dot4c_i32_i8_e32 v96, v2, v6
	s_waitcnt lgkmcnt(0)
	v_dot4c_i32_i8_e32 v96, v3, v10
	v_and_b32_e32 v2, 0xf0f0f0f, v97
	v_lshrrev_b32_e32 v3, 4, v97
	v_and_b32_e32 v3, 0xf0f0f0f, v3
	v_dot4c_i32_i8_e32 v96, v2, v7
	v_dot4c_i32_i8_e32 v96, v3, v11
	v_and_b32_e32 v2, 0xf0f0f0f, v98
	v_lshrrev_b32_e32 v3, 4, v98
	v_and_b32_e32 v3, 0xf0f0f0f, v3
	v_dot4c_i32_i8_e32 v96, v2, v8
	;; [unrolled: 5-line block ×3, first 2 shown]
	v_dot4c_i32_i8_e32 v96, v3, v13
	v_and_b32_e32 v2, 0xf0f0f0f, v74
	v_lshrrev_b32_e32 v3, 4, v74
	v_mov_b32_e32 v97, 0
	v_and_b32_e32 v3, 0xf0f0f0f, v3
	v_dot4c_i32_i8_e32 v97, v2, v6
	v_dot4c_i32_i8_e32 v97, v3, v10
	v_and_b32_e32 v2, 0xf0f0f0f, v75
	v_lshrrev_b32_e32 v3, 4, v75
	v_and_b32_e32 v16, 0xf0f0f0f, v3
	v_dot4c_i32_i8_e32 v97, v2, v7
	ds_read2_b32 v[2:3], v146 offset1:1
	v_dot4c_i32_i8_e32 v97, v16, v11
	ds_read2_b32 v[16:17], v147 offset1:1
	ds_read2_b32 v[18:19], v148 offset1:1
	;; [unrolled: 1-line block ×3, first 2 shown]
	v_mov_b32_e32 v98, 0
	v_mov_b32_e32 v99, 0
	s_waitcnt lgkmcnt(3)
	v_and_b32_e32 v74, 0xf0f0f0f, v2
	v_lshrrev_b32_e32 v2, 4, v2
	v_and_b32_e32 v2, 0xf0f0f0f, v2
	v_dot4c_i32_i8_e32 v97, v74, v8
	v_dot4c_i32_i8_e32 v97, v2, v12
	v_and_b32_e32 v2, 0xf0f0f0f, v3
	v_lshrrev_b32_e32 v3, 4, v3
	v_and_b32_e32 v3, 0xf0f0f0f, v3
	v_dot4c_i32_i8_e32 v97, v2, v9
	v_dot4c_i32_i8_e32 v97, v3, v13
	s_waitcnt lgkmcnt(2)
	v_and_b32_e32 v2, 0xf0f0f0f, v16
	v_lshrrev_b32_e32 v3, 4, v16
	v_and_b32_e32 v3, 0xf0f0f0f, v3
	v_dot4c_i32_i8_e32 v98, v2, v6
	v_dot4c_i32_i8_e32 v98, v3, v10
	v_and_b32_e32 v2, 0xf0f0f0f, v17
	v_lshrrev_b32_e32 v3, 4, v17
	v_and_b32_e32 v3, 0xf0f0f0f, v3
	v_dot4c_i32_i8_e32 v98, v2, v7
	v_dot4c_i32_i8_e32 v98, v3, v11
	;; [unrolled: 11-line block ×3, first 2 shown]
	s_waitcnt lgkmcnt(0)
	v_and_b32_e32 v2, 0xf0f0f0f, v20
	v_lshrrev_b32_e32 v3, 4, v20
	v_and_b32_e32 v3, 0xf0f0f0f, v3
	v_dot4c_i32_i8_e32 v99, v2, v6
	v_dot4c_i32_i8_e32 v99, v3, v10
	v_and_b32_e32 v2, 0xf0f0f0f, v21
	v_lshrrev_b32_e32 v3, 4, v21
	v_and_b32_e32 v6, 0xf0f0f0f, v3
	v_dot4c_i32_i8_e32 v99, v2, v7
	ds_read2_b32 v[2:3], v150 offset1:1
	v_dot4c_i32_i8_e32 v99, v6, v11
	ds_read2_b32 v[16:17], v151 offset1:1
	ds_read2_b32 v[18:19], v152 offset1:1
	;; [unrolled: 1-line block ×3, first 2 shown]
	v_pk_mul_f16 v94, v4, v94
	v_pk_mul_f16 v86, v4, v86
	s_waitcnt lgkmcnt(3)
	v_and_b32_e32 v6, 0xf0f0f0f, v2
	v_lshrrev_b32_e32 v2, 4, v2
	v_and_b32_e32 v2, 0xf0f0f0f, v2
	v_dot4c_i32_i8_e32 v99, v6, v8
	v_dot4c_i32_i8_e32 v99, v2, v12
	v_and_b32_e32 v2, 0xf0f0f0f, v3
	v_lshrrev_b32_e32 v3, 4, v3
	v_and_b32_e32 v3, 0xf0f0f0f, v3
	v_dot4c_i32_i8_e32 v99, v2, v9
	v_dot4c_i32_i8_e32 v99, v3, v13
	ds_read_b128 v[6:9], v119 offset:96
	ds_read_b128 v[10:13], v119 offset:112
	v_pk_mul_f16 v14, v4, v14
	v_pk_mul_f16 v72, v4, v72
	v_and_b32_e32 v2, 0xf0f0f0f, v84
	v_lshrrev_b32_e32 v3, 4, v84
	v_mov_b32_e32 v4, 0
	v_and_b32_e32 v3, 0xf0f0f0f, v3
	s_waitcnt lgkmcnt(1)
	v_dot4c_i32_i8_e32 v4, v2, v6
	s_waitcnt lgkmcnt(0)
	v_dot4c_i32_i8_e32 v4, v3, v10
	v_and_b32_e32 v2, 0xf0f0f0f, v85
	v_lshrrev_b32_e32 v3, 4, v85
	v_and_b32_e32 v3, 0xf0f0f0f, v3
	v_dot4c_i32_i8_e32 v4, v2, v7
	v_dot4c_i32_i8_e32 v4, v3, v11
	v_and_b32_e32 v2, 0xf0f0f0f, v88
	v_lshrrev_b32_e32 v3, 4, v88
	v_and_b32_e32 v3, 0xf0f0f0f, v3
	v_dot4c_i32_i8_e32 v4, v2, v8
	;; [unrolled: 5-line block ×3, first 2 shown]
	v_dot4c_i32_i8_e32 v4, v3, v13
	v_and_b32_e32 v2, 0xf0f0f0f, v16
	v_lshrrev_b32_e32 v3, 4, v16
	v_mov_b32_e32 v85, 0
	v_and_b32_e32 v3, 0xf0f0f0f, v3
	v_dot4c_i32_i8_e32 v85, v2, v6
	v_dot4c_i32_i8_e32 v85, v3, v10
	v_and_b32_e32 v2, 0xf0f0f0f, v17
	v_lshrrev_b32_e32 v3, 4, v17
	v_and_b32_e32 v3, 0xf0f0f0f, v3
	v_dot4c_i32_i8_e32 v85, v2, v7
	v_dot4c_i32_i8_e32 v85, v3, v11
	v_and_b32_e32 v2, 0xf0f0f0f, v18
	v_lshrrev_b32_e32 v3, 4, v18
	;; [unrolled: 5-line block ×3, first 2 shown]
	v_and_b32_e32 v3, 0xf0f0f0f, v3
	v_dot4c_i32_i8_e32 v85, v2, v9
	v_cvt_f32_f16_e32 v80, v157
	v_cvt_f32_f16_e32 v81, v158
	v_cvt_f32_i32_e32 v83, v83
	v_dot4c_i32_i8_e32 v85, v3, v13
	v_cvt_f32_f16_sdwa v3, v158 dst_sel:DWORD dst_unused:UNUSED_PAD src0_sel:WORD_1
	v_cvt_f32_f16_sdwa v2, v157 dst_sel:DWORD dst_unused:UNUSED_PAD src0_sel:WORD_1
	v_cvt_f32_f16_e32 v17, v93
	v_cvt_f32_f16_e32 v16, v91
	v_cvt_f32_f16_sdwa v19, v93 dst_sel:DWORD dst_unused:UNUSED_PAD src0_sel:WORD_1
	v_cvt_f32_f16_sdwa v18, v91 dst_sel:DWORD dst_unused:UNUSED_PAD src0_sel:WORD_1
	v_cvt_f32_i32_e32 v75, v92
	v_cvt_f32_i32_e32 v74, v90
	v_pk_fma_f32 v[2:3], v[80:81], v[82:83], v[2:3]
	v_pk_mul_f16 v84, v5, v95
	v_pk_mul_f16 v87, v5, v87
	v_pk_add_f32 v[2:3], v[68:69], v[2:3]
	v_pk_fma_f32 v[16:17], v[16:17], v[74:75], v[18:19]
	v_cvt_f32_f16_e32 v19, v86
	v_cvt_f32_f16_e32 v18, v94
	v_cvt_f32_f16_sdwa v69, v86 dst_sel:DWORD dst_unused:UNUSED_PAD src0_sel:WORD_1
	v_cvt_f32_f16_sdwa v68, v94 dst_sel:DWORD dst_unused:UNUSED_PAD src0_sel:WORD_1
	v_cvt_f32_i32_e32 v75, v97
	v_cvt_f32_i32_e32 v74, v96
	v_cvt_f32_f16_e32 v81, v87
	v_cvt_f32_f16_e32 v80, v84
	v_cvt_f32_f16_sdwa v83, v87 dst_sel:DWORD dst_unused:UNUSED_PAD src0_sel:WORD_1
	v_cvt_f32_f16_sdwa v82, v84 dst_sel:DWORD dst_unused:UNUSED_PAD src0_sel:WORD_1
	v_cvt_f32_i32_e32 v85, v85
	v_cvt_f32_i32_e32 v84, v4
	v_pk_add_f32 v[2:3], v[2:3], v[16:17]
	v_pk_fma_f32 v[16:17], v[18:19], v[74:75], v[68:69]
	v_and_b32_e32 v4, 0xf0f0f0f, v21
	v_pk_add_f32 v[2:3], v[2:3], v[16:17]
	v_pk_fma_f32 v[16:17], v[80:81], v[84:85], v[82:83]
	v_cvt_f32_f16_e32 v76, v164
	v_pk_add_f32 v[68:69], v[2:3], v[16:17]
	v_and_b32_e32 v2, 0xf0f0f0f, v20
	v_lshrrev_b32_e32 v3, 4, v20
	v_mov_b32_e32 v20, 0
	v_and_b32_e32 v3, 0xf0f0f0f, v3
	v_dot4c_i32_i8_e32 v20, v2, v6
	v_lshrrev_b32_e32 v2, 4, v21
	v_dot4c_i32_i8_e32 v20, v3, v10
	v_and_b32_e32 v16, 0xf0f0f0f, v2
	ds_read2_b32 v[2:3], v154 offset1:1
	v_dot4c_i32_i8_e32 v20, v4, v7
	v_dot4c_i32_i8_e32 v20, v16, v11
	ds_read2_b32 v[16:17], v155 offset1:1
	ds_read2_b32 v[18:19], v156 offset1:1
	v_cvt_f32_f16_e32 v77, v166
	s_waitcnt lgkmcnt(2)
	v_and_b32_e32 v4, 0xf0f0f0f, v2
	v_lshrrev_b32_e32 v2, 4, v2
	v_and_b32_e32 v2, 0xf0f0f0f, v2
	v_dot4c_i32_i8_e32 v20, v4, v8
	v_dot4c_i32_i8_e32 v20, v2, v12
	v_and_b32_e32 v2, 0xf0f0f0f, v3
	v_lshrrev_b32_e32 v3, 4, v3
	v_and_b32_e32 v3, 0xf0f0f0f, v3
	v_dot4c_i32_i8_e32 v20, v2, v9
	v_dot4c_i32_i8_e32 v20, v3, v13
	s_waitcnt lgkmcnt(1)
	v_and_b32_e32 v2, 0xf0f0f0f, v16
	v_lshrrev_b32_e32 v3, 4, v16
	v_mov_b32_e32 v16, 0
	v_and_b32_e32 v3, 0xf0f0f0f, v3
	v_dot4c_i32_i8_e32 v16, v2, v6
	v_dot4c_i32_i8_e32 v16, v3, v10
	v_and_b32_e32 v2, 0xf0f0f0f, v17
	v_lshrrev_b32_e32 v3, 4, v17
	v_and_b32_e32 v3, 0xf0f0f0f, v3
	v_dot4c_i32_i8_e32 v16, v2, v7
	v_dot4c_i32_i8_e32 v16, v3, v11
	s_waitcnt lgkmcnt(0)
	v_and_b32_e32 v2, 0xf0f0f0f, v18
	v_lshrrev_b32_e32 v3, 4, v18
	v_and_b32_e32 v3, 0xf0f0f0f, v3
	v_dot4c_i32_i8_e32 v16, v2, v8
	v_dot4c_i32_i8_e32 v16, v3, v12
	v_and_b32_e32 v2, 0xf0f0f0f, v19
	v_lshrrev_b32_e32 v3, 4, v19
	v_dot4c_i32_i8_e32 v16, v2, v9
	v_cvt_f32_f16_e32 v7, v162
	v_cvt_f32_f16_e32 v6, v160
	v_cvt_f32_f16_sdwa v9, v162 dst_sel:DWORD dst_unused:UNUSED_PAD src0_sel:WORD_1
	v_cvt_f32_f16_sdwa v8, v160 dst_sel:DWORD dst_unused:UNUSED_PAD src0_sel:WORD_1
	v_cvt_f32_i32_e32 v11, v161
	v_cvt_f32_i32_e32 v10, v159
	v_and_b32_e32 v3, 0xf0f0f0f, v3
	v_cvt_f32_i32_e32 v79, v79
	v_dot4c_i32_i8_e32 v16, v3, v13
	v_cvt_f32_f16_sdwa v3, v166 dst_sel:DWORD dst_unused:UNUSED_PAD src0_sel:WORD_1
	v_cvt_f32_f16_sdwa v2, v164 dst_sel:DWORD dst_unused:UNUSED_PAD src0_sel:WORD_1
	v_pk_mul_f16 v21, v5, v15
	v_pk_mul_f16 v15, v5, v73
	v_pk_fma_f32 v[4:5], v[6:7], v[10:11], v[8:9]
	v_cvt_f32_f16_e32 v7, v72
	v_cvt_f32_f16_e32 v6, v14
	v_cvt_f32_f16_sdwa v9, v72 dst_sel:DWORD dst_unused:UNUSED_PAD src0_sel:WORD_1
	v_cvt_f32_f16_sdwa v8, v14 dst_sel:DWORD dst_unused:UNUSED_PAD src0_sel:WORD_1
	v_cvt_f32_i32_e32 v11, v99
	v_cvt_f32_i32_e32 v10, v98
	v_cvt_f32_f16_e32 v13, v15
	v_cvt_f32_f16_e32 v12, v21
	v_cvt_f32_f16_sdwa v15, v15 dst_sel:DWORD dst_unused:UNUSED_PAD src0_sel:WORD_1
	v_cvt_f32_f16_sdwa v14, v21 dst_sel:DWORD dst_unused:UNUSED_PAD src0_sel:WORD_1
	v_cvt_f32_i32_e32 v17, v16
	v_cvt_f32_i32_e32 v16, v20
	v_pk_fma_f32 v[2:3], v[76:77], v[78:79], v[2:3]
	s_cmp_ge_i32 s14, s15
	v_pk_add_f32 v[2:3], v[70:71], v[2:3]
	s_nop 0
	v_pk_add_f32 v[2:3], v[2:3], v[4:5]
	v_pk_fma_f32 v[4:5], v[6:7], v[10:11], v[8:9]
	s_barrier
	v_pk_add_f32 v[2:3], v[2:3], v[4:5]
	v_pk_fma_f32 v[4:5], v[12:13], v[16:17], v[14:15]
	s_nop 0
	v_pk_add_f32 v[70:71], v[2:3], v[4:5]
	s_cbranch_scc1 .LBB199_5
; %bb.13:                               ;   in Loop: Header=BB199_6 Depth=1
	v_add_u32_e32 v2, s18, v126
	v_cmp_gt_i32_e64 s[2:3], s5, v2
	s_and_b64 s[22:23], s[0:1], s[2:3]
	s_and_saveexec_b64 s[2:3], s[22:23]
	s_cbranch_execz .LBB199_15
; %bb.14:                               ;   in Loop: Header=BB199_6 Depth=1
	v_add_u32_e32 v2, s18, v127
	v_mad_i64_i32 v[2:3], s[22:23], v2, 36, v[24:25]
	global_load_dword v2, v[2:3], off offset:4
	s_waitcnt vmcnt(0)
	ds_write_b32 v117, v2
.LBB199_15:                             ;   in Loop: Header=BB199_6 Depth=1
	s_or_b64 exec, exec, s[2:3]
	s_and_saveexec_b64 s[22:23], vcc
	s_cbranch_execz .LBB199_4
; %bb.16:                               ;   in Loop: Header=BB199_6 Depth=1
	v_add3_u32 v2, v22, s18, 4
	v_cmp_gt_i32_e64 s[2:3], s5, v2
	s_and_b64 s[2:3], s[0:1], s[2:3]
	s_and_b64 exec, exec, s[2:3]
	s_cbranch_execz .LBB199_4
; %bb.17:                               ;   in Loop: Header=BB199_6 Depth=1
	global_load_dword v2, v[26:27], off
	s_waitcnt vmcnt(0)
	ds_write_b32 v118, v2
	s_branch .LBB199_4
.LBB199_18:
	v_mov_b32_e32 v2, 0
	v_mov_b32_e32 v4, 0
	;; [unrolled: 1-line block ×3, first 2 shown]
	s_mul_i32 s0, s7, s4
	s_waitcnt vmcnt(0)
	v_cmp_gt_i32_e32 vcc, s0, v1
	s_and_saveexec_b64 s[0:1], vcc
	s_cbranch_execnz .LBB199_21
.LBB199_19:
	s_endpgm
.LBB199_20:
	v_cvt_f16_f32_e32 v6, v68
	v_cvt_f16_f32_e32 v4, v69
	;; [unrolled: 1-line block ×4, first 2 shown]
	s_mul_i32 s0, s7, s4
	v_cmp_gt_i32_e32 vcc, s0, v1
	s_and_saveexec_b64 s[0:1], vcc
	s_cbranch_execz .LBB199_19
.LBB199_21:
	v_and_b32_e32 v0, 0x3ff, v0
	v_add_u32_e32 v5, s24, v0
	v_mul_lo_u32 v0, v1, s6
	v_cmp_gt_u32_e32 vcc, s6, v5
	s_and_saveexec_b64 s[0:1], vcc
	s_cbranch_execz .LBB199_23
; %bb.22:
	v_add_u32_e32 v8, v0, v5
	v_mov_b32_e32 v9, 0
	v_lshl_add_u64 v[8:9], v[8:9], 1, s[12:13]
	global_store_short v[8:9], v6, off
.LBB199_23:
	s_or_b64 exec, exec, s[0:1]
	v_add_u32_e32 v1, 32, v5
	v_cmp_gt_u32_e32 vcc, s6, v1
	s_and_saveexec_b64 s[0:1], vcc
	s_cbranch_execz .LBB199_25
; %bb.24:
	v_add_u32_e32 v6, v0, v1
	v_mov_b32_e32 v7, 0
	v_lshl_add_u64 v[6:7], v[6:7], 1, s[12:13]
	global_store_short v[6:7], v4, off
.LBB199_25:
	s_or_b64 exec, exec, s[0:1]
	v_add_u32_e32 v1, 64, v5
	;; [unrolled: 11-line block ×3, first 2 shown]
	v_cmp_gt_u32_e32 vcc, s6, v1
	s_and_b64 exec, exec, vcc
	s_cbranch_execz .LBB199_19
; %bb.28:
	v_add_u32_e32 v0, v0, v1
	v_mov_b32_e32 v1, 0
	v_lshl_add_u64 v[0:1], v[0:1], 1, s[12:13]
	global_store_short v[0:1], v3, off
	s_endpgm
	.section	.rodata,"a",@progbits
	.p2align	6, 0x0
	.amdhsa_kernel _ZL8moe_q4_1IN3c104HalfELb0EEvPKvS3_PT_PKiS7_S7_iiiiiii
		.amdhsa_group_segment_fixed_size 22272
		.amdhsa_private_segment_fixed_size 0
		.amdhsa_kernarg_size 76
		.amdhsa_user_sgpr_count 2
		.amdhsa_user_sgpr_dispatch_ptr 0
		.amdhsa_user_sgpr_queue_ptr 0
		.amdhsa_user_sgpr_kernarg_segment_ptr 1
		.amdhsa_user_sgpr_dispatch_id 0
		.amdhsa_user_sgpr_kernarg_preload_length 0
		.amdhsa_user_sgpr_kernarg_preload_offset 0
		.amdhsa_user_sgpr_private_segment_size 0
		.amdhsa_uses_dynamic_stack 0
		.amdhsa_enable_private_segment 0
		.amdhsa_system_sgpr_workgroup_id_x 1
		.amdhsa_system_sgpr_workgroup_id_y 1
		.amdhsa_system_sgpr_workgroup_id_z 0
		.amdhsa_system_sgpr_workgroup_info 0
		.amdhsa_system_vgpr_workitem_id 1
		.amdhsa_next_free_vgpr 168
		.amdhsa_next_free_sgpr 26
		.amdhsa_accum_offset 168
		.amdhsa_reserve_vcc 1
		.amdhsa_float_round_mode_32 0
		.amdhsa_float_round_mode_16_64 0
		.amdhsa_float_denorm_mode_32 3
		.amdhsa_float_denorm_mode_16_64 3
		.amdhsa_dx10_clamp 1
		.amdhsa_ieee_mode 1
		.amdhsa_fp16_overflow 0
		.amdhsa_tg_split 0
		.amdhsa_exception_fp_ieee_invalid_op 0
		.amdhsa_exception_fp_denorm_src 0
		.amdhsa_exception_fp_ieee_div_zero 0
		.amdhsa_exception_fp_ieee_overflow 0
		.amdhsa_exception_fp_ieee_underflow 0
		.amdhsa_exception_fp_ieee_inexact 0
		.amdhsa_exception_int_div_zero 0
	.end_amdhsa_kernel
	.section	.text._ZL8moe_q4_1IN3c104HalfELb0EEvPKvS3_PT_PKiS7_S7_iiiiiii,"axG",@progbits,_ZL8moe_q4_1IN3c104HalfELb0EEvPKvS3_PT_PKiS7_S7_iiiiiii,comdat
.Lfunc_end199:
	.size	_ZL8moe_q4_1IN3c104HalfELb0EEvPKvS3_PT_PKiS7_S7_iiiiiii, .Lfunc_end199-_ZL8moe_q4_1IN3c104HalfELb0EEvPKvS3_PT_PKiS7_S7_iiiiiii
                                        ; -- End function
	.section	.AMDGPU.csdata,"",@progbits
; Kernel info:
; codeLenInByte = 9172
; NumSgprs: 32
; NumVgprs: 168
; NumAgprs: 0
; TotalNumVgprs: 168
; ScratchSize: 0
; MemoryBound: 0
; FloatMode: 240
; IeeeMode: 1
; LDSByteSize: 22272 bytes/workgroup (compile time only)
; SGPRBlocks: 3
; VGPRBlocks: 20
; NumSGPRsForWavesPerEU: 32
; NumVGPRsForWavesPerEU: 168
; AccumOffset: 168
; Occupancy: 2
; WaveLimiterHint : 1
; COMPUTE_PGM_RSRC2:SCRATCH_EN: 0
; COMPUTE_PGM_RSRC2:USER_SGPR: 2
; COMPUTE_PGM_RSRC2:TRAP_HANDLER: 0
; COMPUTE_PGM_RSRC2:TGID_X_EN: 1
; COMPUTE_PGM_RSRC2:TGID_Y_EN: 1
; COMPUTE_PGM_RSRC2:TGID_Z_EN: 0
; COMPUTE_PGM_RSRC2:TIDIG_COMP_CNT: 1
; COMPUTE_PGM_RSRC3_GFX90A:ACCUM_OFFSET: 41
; COMPUTE_PGM_RSRC3_GFX90A:TG_SPLIT: 0
	.section	.text._ZL8moe_q4_1IN3c104HalfELb1EEvPKvS3_PT_PKiS7_S7_iiiiiii,"axG",@progbits,_ZL8moe_q4_1IN3c104HalfELb1EEvPKvS3_PT_PKiS7_S7_iiiiiii,comdat
	.globl	_ZL8moe_q4_1IN3c104HalfELb1EEvPKvS3_PT_PKiS7_S7_iiiiiii ; -- Begin function _ZL8moe_q4_1IN3c104HalfELb1EEvPKvS3_PT_PKiS7_S7_iiiiiii
	.p2align	8
	.type	_ZL8moe_q4_1IN3c104HalfELb1EEvPKvS3_PT_PKiS7_S7_iiiiiii,@function
_ZL8moe_q4_1IN3c104HalfELb1EEvPKvS3_PT_PKiS7_S7_iiiiiii: ; @_ZL8moe_q4_1IN3c104HalfELb1EEvPKvS3_PT_PKiS7_S7_iiiiiii
; %bb.0:
	s_load_dwordx4 s[4:7], s[0:1], 0x18
	s_mov_b32 s8, s3
	s_mov_b32 s9, 0
	s_lshl_b64 s[10:11], s[8:9], 2
	s_waitcnt lgkmcnt(0)
	s_add_u32 s6, s6, s10
	s_addc_u32 s7, s7, s11
	s_load_dword s3, s[6:7], 0x0
	s_waitcnt lgkmcnt(0)
	s_cmpk_gt_u32 s3, 0xff
	s_cbranch_scc1 .LBB200_19
; %bb.1:
	s_load_dwordx2 s[6:7], s[0:1], 0x28
	s_waitcnt lgkmcnt(0)
	s_load_dword s7, s[6:7], 0x0
	s_lshl_b32 s6, s8, 3
	s_waitcnt lgkmcnt(0)
	s_cmp_gt_u32 s6, s7
	s_cbranch_scc1 .LBB200_19
; %bb.2:
	v_bfe_u32 v4, v0, 10, 10
	v_mov_b32_e32 v6, s4
	v_mov_b32_e32 v7, s5
	v_add_u32_e32 v2, s6, v4
	v_mov_b32_e32 v3, 0
	v_lshl_add_u64 v[6:7], v[2:3], 2, v[6:7]
	global_load_dword v1, v[6:7], off
	s_load_dwordx8 s[4:11], s[0:1], 0x30
	s_load_dwordx2 s[16:17], s[0:1], 0x10
	s_waitcnt lgkmcnt(0)
	s_lshl_b32 s11, s2, 7
	s_cmp_lt_i32 s5, 32
	s_cbranch_scc1 .LBB200_18
; %bb.3:
	s_load_dwordx4 s[12:15], s[0:1], 0x0
	s_ashr_i32 s0, s5, 31
	s_lshr_b32 s0, s0, 27
	s_add_i32 s0, s5, s0
	s_ashr_i32 s26, s0, 5
	s_ashr_i32 s0, s8, 31
	s_lshr_b32 s0, s0, 27
	s_add_i32 s0, s8, s0
	s_ashr_i32 s8, s0, 5
	s_not_b32 s0, s11
	s_mul_i32 s18, s3, s4
	s_add_i32 s3, s0, s6
	v_and_b32_e32 v22, 0x3ff, v0
	v_lshlrev_b32_e32 v6, 2, v22
	v_min_i32_e32 v5, s3, v4
	s_movk_i32 s4, 0x84
	v_mul_lo_u32 v11, v5, s26
	v_mad_u64_u32 v[24:25], s[0:1], v5, s4, v[6:7]
	v_add_u32_e32 v5, 8, v4
	v_min_i32_e32 v5, s3, v5
	v_mul_lo_u32 v12, v5, s26
	v_mad_u64_u32 v[26:27], s[0:1], v5, s4, v[6:7]
	v_add_u32_e32 v5, 16, v4
	v_min_i32_e32 v5, s3, v5
	;; [unrolled: 4-line block ×15, first 2 shown]
	v_mul_lo_u32 v53, v5, s26
	v_mad_u64_u32 v[54:55], s[0:1], v5, s4, v[6:7]
	v_lshlrev_b32_e32 v5, 2, v4
	v_lshrrev_b32_e32 v25, 3, v22
	v_add_u32_e32 v7, v25, v5
	v_min_i32_e32 v8, s3, v7
	v_ashrrev_i32_e32 v9, 31, v8
	v_lshrrev_b32_e32 v9, 30, v9
	v_and_b32_e32 v55, 7, v22
	v_mul_lo_u32 v92, v8, s26
	v_add_u32_e32 v9, v8, v9
	v_lshlrev_b32_e32 v103, 5, v8
	v_add_u32_e32 v8, 32, v7
	v_and_b32_e32 v9, -4, v9
	v_lshlrev_b32_e32 v23, 2, v55
	s_movk_i32 s0, 0x4200
	v_min_i32_e32 v8, s3, v8
	v_add3_u32 v102, v9, v23, s0
	v_ashrrev_i32_e32 v9, 31, v8
	v_lshrrev_b32_e32 v9, 30, v9
	v_mul_lo_u32 v94, v8, s26
	v_add_u32_e32 v9, v8, v9
	v_lshlrev_b32_e32 v105, 5, v8
	v_add_u32_e32 v8, 64, v7
	v_and_b32_e32 v9, -4, v9
	v_min_i32_e32 v8, s3, v8
	v_add3_u32 v104, v9, v23, s0
	v_ashrrev_i32_e32 v9, 31, v8
	v_add_u32_e32 v7, 0x60, v7
	v_lshrrev_b32_e32 v9, 30, v9
	v_min_i32_e32 v7, s3, v7
	v_mul_lo_u32 v96, v8, s26
	v_add_u32_e32 v9, v8, v9
	v_lshlrev_b32_e32 v107, 5, v8
	v_ashrrev_i32_e32 v8, 31, v7
	v_lshrrev_b32_e32 v8, 30, v8
	v_mov_b32_e32 v3, 0
	v_add_u32_e32 v8, v7, v8
	v_and_b32_e32 v2, 12, v6
	v_mul_lo_u32 v98, v7, s26
	v_and_b32_e32 v8, -4, v8
	v_lshlrev_b32_e32 v109, 5, v7
	v_and_b32_e32 v6, 28, v6
	v_mov_b32_e32 v7, v3
	v_add3_u32 v108, v8, v23, s0
	v_and_b32_e32 v8, 31, v22
	s_waitcnt lgkmcnt(0)
	v_lshl_add_u64 v[56:57], s[14:15], 0, v[6:7]
	v_lshlrev_b32_e32 v6, 7, v4
	v_lshl_or_b32 v7, v8, 2, v6
	v_add_u32_e32 v27, 0x5280, v7
	v_or_b32_e32 v5, v5, v22
	v_mov_b32_e32 v7, 0x5680
	v_lshl_add_u32 v29, v5, 2, v7
	v_lshl_add_u32 v33, v4, 4, v7
	v_and_b32_e32 v4, 0xfc, v22
	v_lshlrev_b32_e32 v5, 5, v22
	v_add3_u32 v37, v5, v4, s0
	v_add_u32_e32 v4, 32, v22
	v_add_u32_e32 v31, 0x5280, v6
	v_and_b32_e32 v5, 0x1fc, v4
	v_lshlrev_b32_e32 v6, 5, v4
	v_add3_u32 v39, v6, v5, s0
	v_add_u32_e32 v5, 64, v22
	v_and_b32_e32 v6, 0x1fc, v5
	v_lshlrev_b32_e32 v5, 5, v5
	s_abs_i32 s3, s10
	v_add3_u32 v41, v5, v6, s0
	v_cvt_f32_u32_e32 v6, s3
	v_add_u32_e32 v5, 0x60, v22
	v_and_b32_e32 v7, 0x1fc, v5
	v_lshlrev_b32_e32 v5, 5, v5
	v_add3_u32 v43, v5, v7, s0
	v_rcp_iflag_f32_e32 v5, v6
	v_and_b32_e32 v9, -4, v9
	v_add3_u32 v106, v9, v23, s0
	s_sub_i32 s0, 0, s3
	v_mul_f32_e32 v5, 0x4f7ffffe, v5
	v_cvt_u32_f32_e32 v5, v5
	s_waitcnt vmcnt(0)
	v_sub_u32_e32 v6, 0, v1
	v_max_i32_e32 v6, v1, v6
	v_lshrrev_b32_e32 v45, 3, v4
	v_mul_lo_u32 v7, s0, v5
	v_mul_hi_u32 v7, v5, v7
	v_add_u32_e32 v5, v5, v7
	v_mul_hi_u32 v5, v6, v5
	v_mul_lo_u32 v7, v5, s3
	v_sub_u32_e32 v6, v6, v7
	v_add_u32_e32 v7, 1, v5
	v_cmp_le_u32_e64 s[0:1], s3, v6
	v_xor_b32_e32 v4, s10, v1
	v_ashrrev_i32_e32 v4, 31, v4
	v_cndmask_b32_e64 v5, v5, v7, s[0:1]
	v_subrev_u32_e32 v7, s3, v6
	v_cndmask_b32_e64 v6, v6, v7, s[0:1]
	v_add_u32_e32 v7, 1, v5
	v_cmp_le_u32_e64 s[0:1], s3, v6
	v_mov_b32_e32 v23, v3
	s_mul_i32 s2, s26, s11
	v_cndmask_b32_e64 v5, v5, v7, s[0:1]
	v_xor_b32_e32 v5, v5, v4
	v_sub_u32_e32 v4, v5, v4
	v_cmp_gt_i32_e64 s[0:1], s7, v4
	v_mul_lo_u32 v4, v4, s8
	v_ashrrev_i32_e32 v5, 31, v4
	v_lshl_add_u64 v[6:7], v[4:5], 0, v[22:23]
	v_mad_u64_u32 v[8:9], s[22:23], v6, 36, s[14:15]
	s_mul_hi_i32 s3, s2, 20
	s_mul_i32 s4, s2, 20
	v_lshrrev_b32_e32 v10, 2, v22
	v_mad_i32_i24 v9, v7, 36, v9
	s_mov_b64 s[22:23], 0x90
	v_add_u32_e32 v23, v22, v4
	v_add_u32_e32 v47, v45, v4
	;; [unrolled: 1-line block ×3, first 2 shown]
	v_mov_b32_e32 v4, s4
	v_mov_b32_e32 v5, s3
	v_lshl_add_u64 v[58:59], v[8:9], 0, s[22:23]
	v_mad_u64_u32 v[4:5], s[22:23], v10, 20, v[4:5]
	v_mad_i64_i32 v[6:7], s[22:23], v11, 20, v[4:5]
	v_lshl_add_u64 v[6:7], v[6:7], 0, v[2:3]
	v_lshl_add_u64 v[6:7], v[6:7], 0, s[12:13]
	v_lshl_add_u64 v[60:61], v[6:7], 0, 4
	v_mad_i64_i32 v[6:7], s[22:23], v12, 20, v[4:5]
	v_lshl_add_u64 v[6:7], v[6:7], 0, v[2:3]
	v_lshl_add_u64 v[6:7], v[6:7], 0, s[12:13]
	v_lshl_add_u64 v[62:63], v[6:7], 0, 4
	;; [unrolled: 4-line block ×14, first 2 shown]
	v_mad_i64_i32 v[6:7], s[22:23], v51, 20, v[4:5]
	v_mad_i64_i32 v[4:5], s[22:23], v53, 20, v[4:5]
	v_lshl_add_u64 v[6:7], v[6:7], 0, v[2:3]
	v_lshl_add_u64 v[2:3], v[4:5], 0, v[2:3]
	v_lshl_add_u64 v[2:3], v[2:3], 0, s[12:13]
	v_lshl_add_u64 v[90:91], v[2:3], 0, 4
	v_mad_i64_i32 v[2:3], s[22:23], v92, 20, 0
	v_mad_i64_i32 v[2:3], s[22:23], s2, 20, v[2:3]
	v_mad_u64_u32 v[2:3], s[22:23], v55, 20, v[2:3]
	v_lshl_add_u64 v[92:93], s[12:13], 0, v[2:3]
	v_mad_i64_i32 v[2:3], s[22:23], v94, 20, 0
	v_mad_i64_i32 v[2:3], s[22:23], s2, 20, v[2:3]
	v_mad_u64_u32 v[2:3], s[22:23], v55, 20, v[2:3]
	v_lshl_add_u64 v[94:95], s[12:13], 0, v[2:3]
	;; [unrolled: 4-line block ×3, first 2 shown]
	v_mad_i64_i32 v[2:3], s[22:23], v98, 20, 0
	s_mov_b32 s20, 0
	v_mad_i64_i32 v[2:3], s[2:3], s2, 20, v[2:3]
	v_mul_u32_u24_e32 v35, 0x84, v22
	v_lshl_add_u64 v[6:7], v[6:7], 0, s[12:13]
	v_mad_u64_u32 v[2:3], s[2:3], v55, 20, v[2:3]
	s_mov_b32 s21, s20
	s_ashr_i32 s19, s18, 31
	v_cmp_gt_u32_e32 vcc, 4, v22
	v_lshl_add_u64 v[88:89], v[6:7], 0, 4
	v_lshl_add_u64 v[98:99], s[12:13], 0, v[2:3]
	s_movk_i32 s4, 0x80
	v_mov_b64_e32 v[100:101], s[20:21]
	v_add_u32_e32 v51, v102, v103
	v_add_u32_e32 v53, v104, v105
	v_add_u32_e32 v55, v106, v107
	v_add_u32_e32 v132, v108, v109
	v_add_u32_e32 v133, 0x1080, v35
	v_add_u32_e32 v134, 0x1088, v35
	v_add_u32_e32 v135, 0x2100, v35
	v_add_u32_e32 v136, 0x2108, v35
	v_add_u32_e32 v137, 0x3180, v35
	v_add_u32_e32 v138, 0x3188, v35
	v_add_u32_e32 v139, 0x1090, v35
	v_add_u32_e32 v140, 0x1098, v35
	v_add_u32_e32 v141, 0x2110, v35
	v_add_u32_e32 v142, 0x2118, v35
	v_add_u32_e32 v143, 0x3190, v35
	v_add_u32_e32 v144, 0x3198, v35
	v_add_u32_e32 v145, 0x10a0, v35
	v_add_u32_e32 v146, 0x10a8, v35
	v_add_u32_e32 v147, 0x2120, v35
	v_add_u32_e32 v148, 0x2128, v35
	v_add_u32_e32 v149, 0x31a0, v35
	v_add_u32_e32 v150, 0x31a8, v35
	v_add_u32_e32 v151, 0x10b0, v35
	v_add_u32_e32 v152, 0x10b8, v35
	v_add_u32_e32 v153, 0x2130, v35
	v_add_u32_e32 v154, 0x2138, v35
	v_add_u32_e32 v155, 0x31b0, v35
	v_add_u32_e32 v156, 0x31b8, v35
	s_mov_b64 s[12:13], 0x120
	s_mov_b64 s[22:23], 0xa0
	v_mov_b64_e32 v[102:103], s[20:21]
	s_branch .LBB200_6
.LBB200_4:                              ;   in Loop: Header=BB200_6 Depth=1
	s_or_b64 exec, exec, s[24:25]
	s_waitcnt lgkmcnt(0)
	s_barrier
	ds_read_b128 v[2:5], v33
	ds_read2_b32 v[104:105], v35 offset0:16 offset1:17
	ds_read_b128 v[14:17], v31
	ds_read_b128 v[18:21], v31 offset:16
	ds_read_b128 v[6:9], v31 offset:32
	;; [unrolled: 1-line block ×3, first 2 shown]
	ds_read2_b32 v[106:107], v37 offset0:4 offset1:5
	s_waitcnt lgkmcnt(5)
	v_and_b32_e32 v108, 0xf0f0f0f, v104
	v_lshrrev_b32_e32 v104, 4, v104
	v_mov_b32_e32 v124, 0
	v_and_b32_e32 v104, 0xf0f0f0f, v104
	s_waitcnt lgkmcnt(4)
	v_dot4c_i32_i8_e32 v124, v108, v14
	s_waitcnt lgkmcnt(3)
	v_dot4c_i32_i8_e32 v124, v104, v18
	v_and_b32_e32 v104, 0xf0f0f0f, v105
	v_lshrrev_b32_e32 v105, 4, v105
	v_and_b32_e32 v108, 0xf0f0f0f, v105
	v_dot4c_i32_i8_e32 v124, v104, v15
	ds_read2_b32 v[104:105], v35 offset0:18 offset1:19
	v_dot4c_i32_i8_e32 v124, v108, v19
	ds_read2_b32 v[114:115], v35 offset0:20 offset1:21
	ds_read2_b32 v[116:117], v35 offset0:22 offset1:23
	;; [unrolled: 1-line block ×3, first 2 shown]
	s_waitcnt lgkmcnt(4)
	v_pk_mul_f16 v125, v2, v106
	v_mov_b32_e32 v157, 0
	s_waitcnt lgkmcnt(3)
	v_and_b32_e32 v108, 0xf0f0f0f, v104
	v_lshrrev_b32_e32 v104, 4, v104
	v_and_b32_e32 v104, 0xf0f0f0f, v104
	v_dot4c_i32_i8_e32 v124, v108, v16
	v_dot4c_i32_i8_e32 v124, v104, v20
	v_and_b32_e32 v104, 0xf0f0f0f, v105
	v_dot4c_i32_i8_e32 v124, v104, v17
	v_add_u32_e32 v104, 0x10c0, v35
	ds_read2_b32 v[110:111], v104 offset1:1
	ds_read2_b32 v[122:123], v35 offset0:26 offset1:27
	ds_read2_b32 v[108:109], v35 offset0:28 offset1:29
	;; [unrolled: 1-line block ×3, first 2 shown]
	v_lshrrev_b32_e32 v105, 4, v105
	s_waitcnt lgkmcnt(3)
	v_and_b32_e32 v106, 0xf0f0f0f, v110
	v_lshrrev_b32_e32 v110, 4, v110
	v_and_b32_e32 v110, 0xf0f0f0f, v110
	v_dot4c_i32_i8_e32 v157, v106, v14
	v_dot4c_i32_i8_e32 v157, v110, v18
	v_and_b32_e32 v106, 0xf0f0f0f, v111
	v_lshrrev_b32_e32 v110, 4, v111
	v_and_b32_e32 v105, 0xf0f0f0f, v105
	v_and_b32_e32 v110, 0xf0f0f0f, v110
	v_dot4c_i32_i8_e32 v157, v106, v15
	v_add_u32_e32 v106, 0x10c8, v35
	v_dot4c_i32_i8_e32 v124, v105, v21
	ds_read2_b32 v[126:127], v39 offset0:4 offset1:5
	ds_read2_b32 v[104:105], v43 offset0:6 offset1:7
	v_dot4c_i32_i8_e32 v157, v110, v19
	ds_read2_b32 v[110:111], v106 offset1:1
	v_add_u32_e32 v118, 0x2140, v35
	v_add_u32_e32 v106, 0x31c0, v35
	;; [unrolled: 1-line block ×3, first 2 shown]
	ds_read2_b32 v[128:129], v118 offset1:1
	ds_read2_b32 v[130:131], v119 offset1:1
	;; [unrolled: 1-line block ×3, first 2 shown]
	s_waitcnt lgkmcnt(3)
	v_and_b32_e32 v106, 0xf0f0f0f, v110
	v_lshrrev_b32_e32 v110, 4, v110
	v_and_b32_e32 v110, 0xf0f0f0f, v110
	v_dot4c_i32_i8_e32 v157, v106, v16
	v_dot4c_i32_i8_e32 v157, v110, v20
	v_and_b32_e32 v106, 0xf0f0f0f, v111
	v_dot4c_i32_i8_e32 v157, v106, v17
	s_waitcnt lgkmcnt(2)
	v_lshrrev_b32_e32 v106, 4, v128
	v_and_b32_e32 v162, 0xf0f0f0f, v128
	v_and_b32_e32 v128, 0xf0f0f0f, v106
	v_mov_b32_e32 v106, 0
	v_dot4c_i32_i8_e32 v106, v162, v14
	v_dot4c_i32_i8_e32 v106, v128, v18
	v_and_b32_e32 v128, 0xf0f0f0f, v129
	v_lshrrev_b32_e32 v129, 4, v129
	v_and_b32_e32 v129, 0xf0f0f0f, v129
	v_dot4c_i32_i8_e32 v106, v128, v15
	v_dot4c_i32_i8_e32 v106, v129, v19
	s_waitcnt lgkmcnt(1)
	v_and_b32_e32 v128, 0xf0f0f0f, v130
	v_lshrrev_b32_e32 v129, 4, v130
	v_and_b32_e32 v129, 0xf0f0f0f, v129
	v_dot4c_i32_i8_e32 v106, v128, v16
	v_dot4c_i32_i8_e32 v106, v129, v20
	v_and_b32_e32 v128, 0xf0f0f0f, v131
	v_lshrrev_b32_e32 v129, 4, v131
	v_and_b32_e32 v129, 0xf0f0f0f, v129
	v_dot4c_i32_i8_e32 v106, v128, v17
	v_dot4c_i32_i8_e32 v106, v129, v21
	s_waitcnt lgkmcnt(0)
	v_and_b32_e32 v128, 0xf0f0f0f, v158
	v_lshrrev_b32_e32 v129, 4, v158
	v_mov_b32_e32 v162, 0
	v_and_b32_e32 v129, 0xf0f0f0f, v129
	v_dot4c_i32_i8_e32 v162, v128, v14
	v_lshrrev_b32_e32 v110, 4, v111
	v_dot4c_i32_i8_e32 v162, v129, v18
	v_and_b32_e32 v14, 0xf0f0f0f, v159
	v_and_b32_e32 v110, 0xf0f0f0f, v110
	v_dot4c_i32_i8_e32 v162, v14, v15
	v_add_u32_e32 v14, 0x31c8, v35
	v_dot4c_i32_i8_e32 v157, v110, v21
	ds_read2_b32 v[160:161], v41 offset0:4 offset1:5
	ds_read2_b32 v[110:111], v39 offset0:6 offset1:7
	;; [unrolled: 1-line block ×3, first 2 shown]
	ds_read2_b32 v[14:15], v14 offset1:1
	v_lshrrev_b32_e32 v18, 4, v159
	v_and_b32_e32 v18, 0xf0f0f0f, v18
	v_dot4c_i32_i8_e32 v162, v18, v19
	v_add_u32_e32 v18, 0x10d0, v35
	v_add_u32_e32 v128, 0x10d8, v35
	;; [unrolled: 1-line block ×3, first 2 shown]
	s_waitcnt lgkmcnt(0)
	v_and_b32_e32 v158, 0xf0f0f0f, v14
	ds_read2_b32 v[18:19], v18 offset1:1
	ds_read2_b32 v[128:129], v128 offset1:1
	;; [unrolled: 1-line block ×3, first 2 shown]
	v_dot4c_i32_i8_e32 v162, v158, v16
	ds_read2_b32 v[158:159], v43 offset0:4 offset1:5
	v_lshrrev_b32_e32 v14, 4, v14
	v_and_b32_e32 v14, 0xf0f0f0f, v14
	v_dot4c_i32_i8_e32 v162, v14, v20
	v_and_b32_e32 v14, 0xf0f0f0f, v15
	v_lshrrev_b32_e32 v15, 4, v15
	v_and_b32_e32 v15, 0xf0f0f0f, v15
	v_dot4c_i32_i8_e32 v162, v14, v17
	v_pk_mul_f16 v126, v2, v126
	v_pk_mul_f16 v160, v2, v160
	v_dot4c_i32_i8_e32 v162, v15, v21
	ds_read2_b32 v[14:15], v41 offset0:6 offset1:7
	s_waitcnt lgkmcnt(1)
	v_pk_mul_f16 v158, v2, v158
	v_and_b32_e32 v2, 0xf0f0f0f, v114
	v_lshrrev_b32_e32 v16, 4, v114
	v_mov_b32_e32 v163, 0
	v_and_b32_e32 v16, 0xf0f0f0f, v16
	v_dot4c_i32_i8_e32 v163, v2, v6
	v_dot4c_i32_i8_e32 v163, v16, v10
	v_and_b32_e32 v2, 0xf0f0f0f, v115
	v_lshrrev_b32_e32 v16, 4, v115
	v_and_b32_e32 v16, 0xf0f0f0f, v16
	v_dot4c_i32_i8_e32 v163, v2, v7
	v_dot4c_i32_i8_e32 v163, v16, v11
	v_and_b32_e32 v2, 0xf0f0f0f, v116
	v_lshrrev_b32_e32 v16, 4, v116
	;; [unrolled: 5-line block ×4, first 2 shown]
	v_mov_b32_e32 v116, 0
	v_and_b32_e32 v16, 0xf0f0f0f, v16
	v_dot4c_i32_i8_e32 v116, v2, v6
	v_dot4c_i32_i8_e32 v116, v16, v10
	v_and_b32_e32 v2, 0xf0f0f0f, v19
	v_lshrrev_b32_e32 v16, 4, v19
	v_and_b32_e32 v16, 0xf0f0f0f, v16
	v_dot4c_i32_i8_e32 v116, v2, v7
	v_dot4c_i32_i8_e32 v116, v16, v11
	v_and_b32_e32 v2, 0xf0f0f0f, v128
	v_lshrrev_b32_e32 v16, 4, v128
	;; [unrolled: 5-line block ×3, first 2 shown]
	v_and_b32_e32 v16, 0xf0f0f0f, v16
	v_dot4c_i32_i8_e32 v116, v2, v9
	v_dot4c_i32_i8_e32 v116, v16, v13
	v_pk_mul_f16 v117, v3, v127
	v_and_b32_e32 v2, 0xf0f0f0f, v130
	v_lshrrev_b32_e32 v16, 4, v130
	v_mov_b32_e32 v127, 0
	v_and_b32_e32 v16, 0xf0f0f0f, v16
	v_dot4c_i32_i8_e32 v127, v2, v6
	v_dot4c_i32_i8_e32 v127, v16, v10
	v_and_b32_e32 v2, 0xf0f0f0f, v131
	v_lshrrev_b32_e32 v16, 4, v131
	v_and_b32_e32 v16, 0xf0f0f0f, v16
	v_dot4c_i32_i8_e32 v127, v2, v7
	v_add_u32_e32 v2, 0x2158, v35
	v_dot4c_i32_i8_e32 v127, v16, v11
	ds_read2_b32 v[16:17], v2 offset1:1
	v_add_u32_e32 v18, 0x31d0, v35
	v_add_u32_e32 v20, 0x31d8, v35
	v_add_u32_e32 v2, 0x10e0, v35
	ds_read2_b32 v[18:19], v18 offset1:1
	ds_read2_b32 v[20:21], v20 offset1:1
	;; [unrolled: 1-line block ×3, first 2 shown]
	s_waitcnt lgkmcnt(3)
	v_and_b32_e32 v2, 0xf0f0f0f, v16
	v_lshrrev_b32_e32 v16, 4, v16
	v_and_b32_e32 v16, 0xf0f0f0f, v16
	v_dot4c_i32_i8_e32 v127, v2, v8
	v_dot4c_i32_i8_e32 v127, v16, v12
	v_and_b32_e32 v2, 0xf0f0f0f, v17
	v_lshrrev_b32_e32 v16, 4, v17
	v_and_b32_e32 v16, 0xf0f0f0f, v16
	v_dot4c_i32_i8_e32 v127, v2, v9
	v_dot4c_i32_i8_e32 v127, v16, v13
	s_waitcnt lgkmcnt(2)
	v_and_b32_e32 v2, 0xf0f0f0f, v18
	v_lshrrev_b32_e32 v16, 4, v18
	v_mov_b32_e32 v129, 0
	v_and_b32_e32 v16, 0xf0f0f0f, v16
	v_dot4c_i32_i8_e32 v129, v2, v6
	v_dot4c_i32_i8_e32 v129, v16, v10
	v_and_b32_e32 v2, 0xf0f0f0f, v19
	v_lshrrev_b32_e32 v6, 4, v19
	v_and_b32_e32 v6, 0xf0f0f0f, v6
	v_dot4c_i32_i8_e32 v129, v2, v7
	v_dot4c_i32_i8_e32 v129, v6, v11
	s_waitcnt lgkmcnt(1)
	v_and_b32_e32 v2, 0xf0f0f0f, v20
	v_lshrrev_b32_e32 v6, 4, v20
	v_and_b32_e32 v6, 0xf0f0f0f, v6
	v_dot4c_i32_i8_e32 v129, v2, v8
	v_dot4c_i32_i8_e32 v129, v6, v12
	v_and_b32_e32 v2, 0xf0f0f0f, v21
	v_lshrrev_b32_e32 v6, 4, v21
	v_and_b32_e32 v6, 0xf0f0f0f, v6
	v_dot4c_i32_i8_e32 v129, v2, v9
	v_dot4c_i32_i8_e32 v129, v6, v13
	ds_read_b128 v[6:9], v31 offset:64
	ds_read_b128 v[10:13], v31 offset:80
	v_pk_mul_f16 v107, v3, v107
	v_pk_mul_f16 v128, v3, v161
	;; [unrolled: 1-line block ×3, first 2 shown]
	v_and_b32_e32 v2, 0xf0f0f0f, v120
	v_lshrrev_b32_e32 v3, 4, v120
	v_mov_b32_e32 v120, 0
	v_and_b32_e32 v3, 0xf0f0f0f, v3
	s_waitcnt lgkmcnt(1)
	v_dot4c_i32_i8_e32 v120, v2, v6
	s_waitcnt lgkmcnt(0)
	v_dot4c_i32_i8_e32 v120, v3, v10
	v_and_b32_e32 v2, 0xf0f0f0f, v121
	v_lshrrev_b32_e32 v3, 4, v121
	v_and_b32_e32 v3, 0xf0f0f0f, v3
	v_dot4c_i32_i8_e32 v120, v2, v7
	v_dot4c_i32_i8_e32 v120, v3, v11
	v_and_b32_e32 v2, 0xf0f0f0f, v122
	v_lshrrev_b32_e32 v3, 4, v122
	v_and_b32_e32 v3, 0xf0f0f0f, v3
	v_dot4c_i32_i8_e32 v120, v2, v8
	;; [unrolled: 5-line block ×3, first 2 shown]
	v_dot4c_i32_i8_e32 v120, v3, v13
	v_and_b32_e32 v2, 0xf0f0f0f, v114
	v_lshrrev_b32_e32 v3, 4, v114
	v_mov_b32_e32 v121, 0
	v_and_b32_e32 v3, 0xf0f0f0f, v3
	v_dot4c_i32_i8_e32 v121, v2, v6
	v_dot4c_i32_i8_e32 v121, v3, v10
	v_and_b32_e32 v2, 0xf0f0f0f, v115
	v_lshrrev_b32_e32 v3, 4, v115
	v_and_b32_e32 v3, 0xf0f0f0f, v3
	v_dot4c_i32_i8_e32 v121, v2, v7
	v_add_u32_e32 v2, 0x10e8, v35
	v_dot4c_i32_i8_e32 v121, v3, v11
	ds_read2_b32 v[2:3], v2 offset1:1
	v_add_u32_e32 v16, 0x2160, v35
	v_add_u32_e32 v18, 0x2168, v35
	;; [unrolled: 1-line block ×3, first 2 shown]
	ds_read2_b32 v[16:17], v16 offset1:1
	ds_read2_b32 v[18:19], v18 offset1:1
	;; [unrolled: 1-line block ×3, first 2 shown]
	s_waitcnt lgkmcnt(3)
	v_and_b32_e32 v114, 0xf0f0f0f, v2
	v_lshrrev_b32_e32 v2, 4, v2
	v_and_b32_e32 v2, 0xf0f0f0f, v2
	v_dot4c_i32_i8_e32 v121, v114, v8
	v_dot4c_i32_i8_e32 v121, v2, v12
	v_and_b32_e32 v2, 0xf0f0f0f, v3
	v_lshrrev_b32_e32 v3, 4, v3
	v_and_b32_e32 v3, 0xf0f0f0f, v3
	v_dot4c_i32_i8_e32 v121, v2, v9
	v_dot4c_i32_i8_e32 v121, v3, v13
	s_waitcnt lgkmcnt(2)
	v_and_b32_e32 v2, 0xf0f0f0f, v16
	v_lshrrev_b32_e32 v3, 4, v16
	v_mov_b32_e32 v122, 0
	v_and_b32_e32 v3, 0xf0f0f0f, v3
	v_dot4c_i32_i8_e32 v122, v2, v6
	v_dot4c_i32_i8_e32 v122, v3, v10
	v_and_b32_e32 v2, 0xf0f0f0f, v17
	v_lshrrev_b32_e32 v3, 4, v17
	v_and_b32_e32 v3, 0xf0f0f0f, v3
	v_dot4c_i32_i8_e32 v122, v2, v7
	v_dot4c_i32_i8_e32 v122, v3, v11
	s_waitcnt lgkmcnt(1)
	v_and_b32_e32 v2, 0xf0f0f0f, v18
	v_lshrrev_b32_e32 v3, 4, v18
	v_and_b32_e32 v3, 0xf0f0f0f, v3
	v_dot4c_i32_i8_e32 v122, v2, v8
	v_dot4c_i32_i8_e32 v122, v3, v12
	v_and_b32_e32 v2, 0xf0f0f0f, v19
	v_lshrrev_b32_e32 v3, 4, v19
	v_and_b32_e32 v3, 0xf0f0f0f, v3
	v_dot4c_i32_i8_e32 v122, v2, v9
	v_dot4c_i32_i8_e32 v122, v3, v13
	s_waitcnt lgkmcnt(0)
	v_and_b32_e32 v2, 0xf0f0f0f, v20
	v_lshrrev_b32_e32 v3, 4, v20
	v_mov_b32_e32 v131, 0
	v_and_b32_e32 v3, 0xf0f0f0f, v3
	v_dot4c_i32_i8_e32 v131, v2, v6
	v_dot4c_i32_i8_e32 v131, v3, v10
	v_and_b32_e32 v2, 0xf0f0f0f, v21
	v_lshrrev_b32_e32 v3, 4, v21
	v_and_b32_e32 v3, 0xf0f0f0f, v3
	v_dot4c_i32_i8_e32 v131, v2, v7
	v_add_u32_e32 v2, 0x31e8, v35
	v_dot4c_i32_i8_e32 v131, v3, v11
	ds_read2_b32 v[2:3], v2 offset1:1
	v_add_u32_e32 v6, 0x10f0, v35
	v_add_u32_e32 v7, 0x10f8, v35
	;; [unrolled: 1-line block ×3, first 2 shown]
	ds_read2_b32 v[16:17], v6 offset1:1
	ds_read2_b32 v[18:19], v7 offset1:1
	;; [unrolled: 1-line block ×3, first 2 shown]
	s_waitcnt lgkmcnt(3)
	v_and_b32_e32 v6, 0xf0f0f0f, v2
	v_lshrrev_b32_e32 v2, 4, v2
	v_and_b32_e32 v2, 0xf0f0f0f, v2
	v_dot4c_i32_i8_e32 v131, v6, v8
	v_dot4c_i32_i8_e32 v131, v2, v12
	v_and_b32_e32 v2, 0xf0f0f0f, v3
	v_lshrrev_b32_e32 v3, 4, v3
	v_and_b32_e32 v3, 0xf0f0f0f, v3
	v_dot4c_i32_i8_e32 v131, v2, v9
	v_dot4c_i32_i8_e32 v131, v3, v13
	ds_read_b128 v[6:9], v31 offset:96
	ds_read_b128 v[10:13], v31 offset:112
	v_pk_mul_f16 v118, v4, v118
	v_pk_mul_f16 v110, v4, v110
	;; [unrolled: 1-line block ×4, first 2 shown]
	v_and_b32_e32 v2, 0xf0f0f0f, v108
	v_lshrrev_b32_e32 v3, 4, v108
	v_mov_b32_e32 v4, 0
	v_and_b32_e32 v3, 0xf0f0f0f, v3
	s_waitcnt lgkmcnt(1)
	v_dot4c_i32_i8_e32 v4, v2, v6
	s_waitcnt lgkmcnt(0)
	v_dot4c_i32_i8_e32 v4, v3, v10
	v_and_b32_e32 v2, 0xf0f0f0f, v109
	v_lshrrev_b32_e32 v3, 4, v109
	v_and_b32_e32 v3, 0xf0f0f0f, v3
	v_dot4c_i32_i8_e32 v4, v2, v7
	v_dot4c_i32_i8_e32 v4, v3, v11
	v_and_b32_e32 v2, 0xf0f0f0f, v112
	v_lshrrev_b32_e32 v3, 4, v112
	v_and_b32_e32 v3, 0xf0f0f0f, v3
	v_dot4c_i32_i8_e32 v4, v2, v8
	;; [unrolled: 5-line block ×3, first 2 shown]
	v_dot4c_i32_i8_e32 v4, v3, v13
	v_pk_mul_f16 v14, v5, v119
	v_and_b32_e32 v2, 0xf0f0f0f, v16
	v_lshrrev_b32_e32 v3, 4, v16
	v_mov_b32_e32 v119, 0
	v_and_b32_e32 v3, 0xf0f0f0f, v3
	v_dot4c_i32_i8_e32 v119, v2, v6
	v_dot4c_i32_i8_e32 v119, v3, v10
	v_and_b32_e32 v2, 0xf0f0f0f, v17
	v_lshrrev_b32_e32 v3, 4, v17
	v_and_b32_e32 v3, 0xf0f0f0f, v3
	v_dot4c_i32_i8_e32 v119, v2, v7
	v_dot4c_i32_i8_e32 v119, v3, v11
	v_and_b32_e32 v2, 0xf0f0f0f, v18
	v_lshrrev_b32_e32 v3, 4, v18
	;; [unrolled: 5-line block ×3, first 2 shown]
	v_and_b32_e32 v3, 0xf0f0f0f, v3
	v_dot4c_i32_i8_e32 v119, v2, v9
	v_dot4c_i32_i8_e32 v119, v3, v13
	v_cvt_f32_f16_e32 v3, v126
	v_cvt_f32_f16_e32 v2, v125
	v_cvt_f32_f16_sdwa v17, v126 dst_sel:DWORD dst_unused:UNUSED_PAD src0_sel:WORD_1
	v_cvt_f32_f16_sdwa v16, v125 dst_sel:DWORD dst_unused:UNUSED_PAD src0_sel:WORD_1
	v_cvt_f32_i32_e32 v19, v157
	v_cvt_f32_i32_e32 v18, v124
	v_cvt_f32_f16_e32 v109, v117
	v_cvt_f32_f16_e32 v108, v107
	v_cvt_f32_f16_sdwa v113, v117 dst_sel:DWORD dst_unused:UNUSED_PAD src0_sel:WORD_1
	v_cvt_f32_f16_sdwa v112, v107 dst_sel:DWORD dst_unused:UNUSED_PAD src0_sel:WORD_1
	v_cvt_f32_i32_e32 v115, v116
	v_cvt_f32_i32_e32 v114, v163
	v_pk_fma_f32 v[2:3], v[2:3], v[18:19], v[16:17]
	v_pk_mul_f16 v107, v5, v111
	v_pk_add_f32 v[2:3], v[100:101], v[2:3]
	v_pk_fma_f32 v[16:17], v[108:109], v[114:115], v[112:113]
	v_cvt_f32_f16_e32 v19, v110
	v_cvt_f32_f16_e32 v18, v118
	v_cvt_f32_f16_sdwa v101, v110 dst_sel:DWORD dst_unused:UNUSED_PAD src0_sel:WORD_1
	v_cvt_f32_f16_sdwa v100, v118 dst_sel:DWORD dst_unused:UNUSED_PAD src0_sel:WORD_1
	v_cvt_f32_i32_e32 v109, v121
	v_cvt_f32_i32_e32 v108, v120
	v_cvt_f32_f16_e32 v111, v107
	v_cvt_f32_f16_e32 v110, v14
	v_cvt_f32_f16_sdwa v113, v107 dst_sel:DWORD dst_unused:UNUSED_PAD src0_sel:WORD_1
	v_cvt_f32_f16_sdwa v112, v14 dst_sel:DWORD dst_unused:UNUSED_PAD src0_sel:WORD_1
	v_cvt_f32_i32_e32 v115, v119
	v_cvt_f32_i32_e32 v114, v4
	v_pk_add_f32 v[2:3], v[2:3], v[16:17]
	v_pk_fma_f32 v[16:17], v[18:19], v[108:109], v[100:101]
	v_add_u32_e32 v4, 0x31f0, v35
	v_pk_add_f32 v[2:3], v[2:3], v[16:17]
	v_pk_fma_f32 v[16:17], v[110:111], v[114:115], v[112:113]
	v_add_u32_e32 v14, 0x31f8, v35
	v_pk_add_f32 v[100:101], v[2:3], v[16:17]
	v_and_b32_e32 v2, 0xf0f0f0f, v20
	v_lshrrev_b32_e32 v3, 4, v20
	v_mov_b32_e32 v20, 0
	v_and_b32_e32 v3, 0xf0f0f0f, v3
	v_dot4c_i32_i8_e32 v20, v2, v6
	v_dot4c_i32_i8_e32 v20, v3, v10
	v_and_b32_e32 v2, 0xf0f0f0f, v21
	v_lshrrev_b32_e32 v3, 4, v21
	v_and_b32_e32 v3, 0xf0f0f0f, v3
	v_dot4c_i32_i8_e32 v20, v2, v7
	v_add_u32_e32 v2, 0x2178, v35
	v_dot4c_i32_i8_e32 v20, v3, v11
	ds_read2_b32 v[2:3], v2 offset1:1
	ds_read2_b32 v[16:17], v4 offset1:1
	;; [unrolled: 1-line block ×3, first 2 shown]
	v_pk_mul_f16 v21, v5, v15
	v_cvt_f32_i32_e32 v15, v129
	v_cvt_f32_i32_e32 v14, v127
	s_waitcnt lgkmcnt(2)
	v_and_b32_e32 v4, 0xf0f0f0f, v2
	v_lshrrev_b32_e32 v2, 4, v2
	v_and_b32_e32 v2, 0xf0f0f0f, v2
	v_dot4c_i32_i8_e32 v20, v4, v8
	v_dot4c_i32_i8_e32 v20, v2, v12
	v_and_b32_e32 v2, 0xf0f0f0f, v3
	v_lshrrev_b32_e32 v3, 4, v3
	v_and_b32_e32 v3, 0xf0f0f0f, v3
	v_dot4c_i32_i8_e32 v20, v2, v9
	v_dot4c_i32_i8_e32 v20, v3, v13
	s_waitcnt lgkmcnt(1)
	v_and_b32_e32 v2, 0xf0f0f0f, v16
	v_lshrrev_b32_e32 v3, 4, v16
	v_mov_b32_e32 v16, 0
	v_and_b32_e32 v3, 0xf0f0f0f, v3
	v_dot4c_i32_i8_e32 v16, v2, v6
	v_dot4c_i32_i8_e32 v16, v3, v10
	v_and_b32_e32 v2, 0xf0f0f0f, v17
	v_lshrrev_b32_e32 v3, 4, v17
	v_and_b32_e32 v3, 0xf0f0f0f, v3
	v_dot4c_i32_i8_e32 v16, v2, v7
	v_dot4c_i32_i8_e32 v16, v3, v11
	s_waitcnt lgkmcnt(0)
	v_and_b32_e32 v2, 0xf0f0f0f, v18
	v_lshrrev_b32_e32 v3, 4, v18
	v_and_b32_e32 v3, 0xf0f0f0f, v3
	v_dot4c_i32_i8_e32 v16, v2, v8
	v_dot4c_i32_i8_e32 v16, v3, v12
	v_and_b32_e32 v2, 0xf0f0f0f, v19
	v_lshrrev_b32_e32 v3, 4, v19
	v_and_b32_e32 v3, 0xf0f0f0f, v3
	v_dot4c_i32_i8_e32 v16, v2, v9
	v_dot4c_i32_i8_e32 v16, v3, v13
	v_cvt_f32_f16_e32 v3, v158
	v_cvt_f32_f16_e32 v2, v160
	v_cvt_f32_f16_sdwa v7, v158 dst_sel:DWORD dst_unused:UNUSED_PAD src0_sel:WORD_1
	v_cvt_f32_f16_sdwa v6, v160 dst_sel:DWORD dst_unused:UNUSED_PAD src0_sel:WORD_1
	v_cvt_f32_i32_e32 v9, v162
	v_cvt_f32_i32_e32 v8, v106
	v_cvt_f32_f16_e32 v11, v130
	v_cvt_f32_f16_e32 v10, v128
	v_cvt_f32_f16_sdwa v13, v130 dst_sel:DWORD dst_unused:UNUSED_PAD src0_sel:WORD_1
	v_cvt_f32_f16_sdwa v12, v128 dst_sel:DWORD dst_unused:UNUSED_PAD src0_sel:WORD_1
	v_pk_mul_f16 v17, v5, v105
	v_pk_fma_f32 v[2:3], v[2:3], v[8:9], v[6:7]
	v_cvt_f32_f16_e32 v7, v104
	v_pk_fma_f32 v[4:5], v[10:11], v[14:15], v[12:13]
	v_cvt_f32_f16_e32 v6, v123
	v_cvt_f32_f16_sdwa v9, v104 dst_sel:DWORD dst_unused:UNUSED_PAD src0_sel:WORD_1
	v_cvt_f32_f16_sdwa v8, v123 dst_sel:DWORD dst_unused:UNUSED_PAD src0_sel:WORD_1
	v_cvt_f32_i32_e32 v11, v131
	v_cvt_f32_i32_e32 v10, v122
	v_cvt_f32_f16_e32 v13, v17
	v_cvt_f32_f16_e32 v12, v21
	v_cvt_f32_f16_sdwa v15, v17 dst_sel:DWORD dst_unused:UNUSED_PAD src0_sel:WORD_1
	v_cvt_f32_f16_sdwa v14, v21 dst_sel:DWORD dst_unused:UNUSED_PAD src0_sel:WORD_1
	v_cvt_f32_i32_e32 v17, v16
	v_cvt_f32_i32_e32 v16, v20
	v_pk_add_f32 v[2:3], v[102:103], v[2:3]
	s_nop 0
	v_pk_add_f32 v[2:3], v[2:3], v[4:5]
	v_pk_fma_f32 v[4:5], v[6:7], v[10:11], v[8:9]
	s_barrier
	v_pk_add_f32 v[2:3], v[2:3], v[4:5]
	v_pk_fma_f32 v[4:5], v[12:13], v[16:17], v[14:15]
	s_nop 0
	v_pk_add_f32 v[102:103], v[2:3], v[4:5]
.LBB200_5:                              ;   in Loop: Header=BB200_6 Depth=1
	s_add_i32 s20, s20, 8
	s_addk_i32 s4, 0x100
	v_lshl_add_u64 v[58:59], v[58:59], 0, s[12:13]
	v_lshl_add_u64 v[60:61], v[60:61], 0, s[22:23]
	;; [unrolled: 1-line block ×20, first 2 shown]
	s_cmp_ge_i32 s20, s26
	v_lshl_add_u64 v[98:99], v[98:99], 0, s[22:23]
	s_cbranch_scc1 .LBB200_20
.LBB200_6:                              ; =>This Inner Loop Header: Depth=1
	v_lshl_add_u64 v[2:3], v[60:61], 0, s[18:19]
	global_load_dword v4, v[2:3], off
	v_lshl_add_u64 v[2:3], v[62:63], 0, s[18:19]
	global_load_dword v5, v[2:3], off
	;; [unrolled: 2-line block ×20, first 2 shown]
	s_add_i32 s2, s4, 0xffffff80
	s_cmp_lt_i32 s2, s5
	s_waitcnt vmcnt(19)
	ds_write_b32 v24, v4
	s_waitcnt vmcnt(18)
	ds_write_b32 v26, v5
	;; [unrolled: 2-line block ×20, first 2 shown]
	s_cbranch_scc0 .LBB200_5
; %bb.7:                                ;   in Loop: Header=BB200_6 Depth=1
	v_add_u32_e32 v2, s20, v25
	v_cmp_gt_i32_e64 s[2:3], s8, v2
	s_and_b64 s[24:25], s[0:1], s[2:3]
	s_and_saveexec_b64 s[2:3], s[24:25]
	s_cbranch_execz .LBB200_9
; %bb.8:                                ;   in Loop: Header=BB200_6 Depth=1
	v_add_u32_e32 v2, s20, v49
	v_mad_i64_i32 v[2:3], s[24:25], v2, 36, v[56:57]
	global_load_dword v2, v[2:3], off offset:4
	s_waitcnt vmcnt(0)
	ds_write_b32 v27, v2
.LBB200_9:                              ;   in Loop: Header=BB200_6 Depth=1
	s_or_b64 exec, exec, s[2:3]
	s_and_saveexec_b64 s[24:25], vcc
	s_cbranch_execz .LBB200_12
; %bb.10:                               ;   in Loop: Header=BB200_6 Depth=1
	v_add_u32_e32 v2, s20, v22
	v_cmp_gt_i32_e64 s[2:3], s8, v2
	s_and_b64 s[2:3], s[0:1], s[2:3]
	s_and_b64 exec, exec, s[2:3]
	s_cbranch_execz .LBB200_12
; %bb.11:                               ;   in Loop: Header=BB200_6 Depth=1
	v_add_u32_e32 v2, s20, v23
	v_mad_i64_i32 v[2:3], s[2:3], v2, 36, s[14:15]
	global_load_dword v2, v[2:3], off
	s_waitcnt vmcnt(0)
	ds_write_b32 v29, v2
.LBB200_12:                             ;   in Loop: Header=BB200_6 Depth=1
	s_or_b64 exec, exec, s[24:25]
	s_waitcnt lgkmcnt(0)
	s_barrier
	ds_read_b128 v[2:5], v33
	ds_read2_b32 v[104:105], v35 offset1:1
	ds_read_b128 v[14:17], v31
	ds_read_b128 v[18:21], v31 offset:16
	ds_read_b128 v[6:9], v31 offset:32
	ds_read_b128 v[10:13], v31 offset:48
	ds_read2_b32 v[106:107], v37 offset1:1
	s_waitcnt lgkmcnt(5)
	v_and_b32_e32 v108, 0xf0f0f0f, v104
	v_lshrrev_b32_e32 v104, 4, v104
	v_mov_b32_e32 v110, 0
	v_and_b32_e32 v104, 0xf0f0f0f, v104
	s_waitcnt lgkmcnt(4)
	v_dot4c_i32_i8_e32 v110, v108, v14
	s_waitcnt lgkmcnt(3)
	v_dot4c_i32_i8_e32 v110, v104, v18
	v_and_b32_e32 v104, 0xf0f0f0f, v105
	v_lshrrev_b32_e32 v105, 4, v105
	v_and_b32_e32 v108, 0xf0f0f0f, v105
	v_dot4c_i32_i8_e32 v110, v104, v15
	ds_read2_b32 v[104:105], v35 offset0:2 offset1:3
	v_dot4c_i32_i8_e32 v110, v108, v19
	ds_read2_b32 v[122:123], v35 offset0:4 offset1:5
	ds_read2_b32 v[124:125], v35 offset0:6 offset1:7
	;; [unrolled: 1-line block ×6, first 2 shown]
	s_waitcnt lgkmcnt(7)
	v_pk_mul_f16 v157, v2, v106
	s_waitcnt lgkmcnt(6)
	v_and_b32_e32 v108, 0xf0f0f0f, v104
	v_dot4c_i32_i8_e32 v110, v108, v16
	ds_read2_b32 v[108:109], v133 offset1:1
	v_lshrrev_b32_e32 v104, 4, v104
	v_and_b32_e32 v104, 0xf0f0f0f, v104
	v_dot4c_i32_i8_e32 v110, v104, v20
	v_and_b32_e32 v104, 0xf0f0f0f, v105
	v_lshrrev_b32_e32 v105, 4, v105
	s_waitcnt lgkmcnt(0)
	v_and_b32_e32 v106, 0xf0f0f0f, v108
	v_lshrrev_b32_e32 v108, 4, v108
	v_mov_b32_e32 v115, 0
	v_and_b32_e32 v105, 0xf0f0f0f, v105
	v_dot4c_i32_i8_e32 v110, v104, v17
	v_and_b32_e32 v108, 0xf0f0f0f, v108
	v_dot4c_i32_i8_e32 v115, v106, v14
	v_dot4c_i32_i8_e32 v110, v105, v21
	;; [unrolled: 1-line block ×3, first 2 shown]
	v_lshrrev_b32_e32 v108, 4, v109
	ds_read2_b32 v[158:159], v39 offset1:1
	ds_read2_b32 v[104:105], v43 offset0:2 offset1:3
	v_cvt_f32_i32_e32 v114, v110
	v_and_b32_e32 v106, 0xf0f0f0f, v109
	v_and_b32_e32 v110, 0xf0f0f0f, v108
	ds_read2_b32 v[108:109], v134 offset1:1
	v_dot4c_i32_i8_e32 v115, v106, v15
	v_dot4c_i32_i8_e32 v115, v110, v19
	ds_read2_b32 v[110:111], v135 offset1:1
	ds_read2_b32 v[160:161], v136 offset1:1
	ds_read2_b32 v[162:163], v137 offset1:1
	ds_read2_b32 v[164:165], v41 offset1:1
	ds_read2_b32 v[118:119], v39 offset0:2 offset1:3
	ds_read2_b32 v[126:127], v37 offset0:2 offset1:3
	s_waitcnt lgkmcnt(6)
	v_and_b32_e32 v106, 0xf0f0f0f, v108
	v_lshrrev_b32_e32 v108, 4, v108
	v_and_b32_e32 v108, 0xf0f0f0f, v108
	v_dot4c_i32_i8_e32 v115, v106, v16
	v_dot4c_i32_i8_e32 v115, v108, v20
	v_and_b32_e32 v106, 0xf0f0f0f, v109
	v_lshrrev_b32_e32 v108, 4, v109
	v_and_b32_e32 v108, 0xf0f0f0f, v108
	v_dot4c_i32_i8_e32 v115, v106, v17
	v_dot4c_i32_i8_e32 v115, v108, v21
	s_waitcnt lgkmcnt(5)
	v_and_b32_e32 v106, 0xf0f0f0f, v110
	v_lshrrev_b32_e32 v108, 4, v110
	v_mov_b32_e32 v109, 0
	v_and_b32_e32 v108, 0xf0f0f0f, v108
	v_dot4c_i32_i8_e32 v109, v106, v14
	v_dot4c_i32_i8_e32 v109, v108, v18
	v_and_b32_e32 v106, 0xf0f0f0f, v111
	v_lshrrev_b32_e32 v108, 4, v111
	v_and_b32_e32 v108, 0xf0f0f0f, v108
	v_dot4c_i32_i8_e32 v109, v106, v15
	v_dot4c_i32_i8_e32 v109, v108, v19
	s_waitcnt lgkmcnt(4)
	v_and_b32_e32 v106, 0xf0f0f0f, v160
	v_lshrrev_b32_e32 v108, 4, v160
	v_and_b32_e32 v108, 0xf0f0f0f, v108
	v_dot4c_i32_i8_e32 v109, v106, v16
	v_dot4c_i32_i8_e32 v109, v108, v20
	v_and_b32_e32 v106, 0xf0f0f0f, v161
	v_lshrrev_b32_e32 v108, 4, v161
	v_and_b32_e32 v108, 0xf0f0f0f, v108
	v_dot4c_i32_i8_e32 v109, v106, v17
	v_dot4c_i32_i8_e32 v109, v108, v21
	s_waitcnt lgkmcnt(3)
	v_and_b32_e32 v106, 0xf0f0f0f, v162
	v_mov_b32_e32 v111, 0
	v_dot4c_i32_i8_e32 v111, v106, v14
	v_cvt_f32_i32_e32 v110, v109
	v_lshrrev_b32_e32 v109, 4, v162
	v_and_b32_e32 v109, 0xf0f0f0f, v109
	v_dot4c_i32_i8_e32 v111, v109, v18
	v_and_b32_e32 v14, 0xf0f0f0f, v163
	v_dot4c_i32_i8_e32 v111, v14, v15
	ds_read2_b32 v[14:15], v138 offset1:1
	v_lshrrev_b32_e32 v18, 4, v163
	v_and_b32_e32 v18, 0xf0f0f0f, v18
	v_dot4c_i32_i8_e32 v111, v18, v19
	ds_read2_b32 v[18:19], v139 offset1:1
	ds_read2_b32 v[160:161], v140 offset1:1
	;; [unrolled: 1-line block ×4, first 2 shown]
	s_waitcnt lgkmcnt(4)
	v_and_b32_e32 v106, 0xf0f0f0f, v14
	v_lshrrev_b32_e32 v14, 4, v14
	v_and_b32_e32 v14, 0xf0f0f0f, v14
	v_dot4c_i32_i8_e32 v111, v106, v16
	v_dot4c_i32_i8_e32 v111, v14, v20
	v_and_b32_e32 v14, 0xf0f0f0f, v15
	v_lshrrev_b32_e32 v15, 4, v15
	v_and_b32_e32 v15, 0xf0f0f0f, v15
	v_dot4c_i32_i8_e32 v111, v14, v17
	v_pk_mul_f16 v158, v2, v158
	v_pk_mul_f16 v164, v2, v164
	v_dot4c_i32_i8_e32 v111, v15, v21
	ds_read2_b32 v[14:15], v41 offset0:2 offset1:3
	s_waitcnt lgkmcnt(1)
	v_pk_mul_f16 v166, v2, v166
	v_and_b32_e32 v2, 0xf0f0f0f, v122
	v_lshrrev_b32_e32 v16, 4, v122
	v_mov_b32_e32 v122, 0
	v_and_b32_e32 v16, 0xf0f0f0f, v16
	v_dot4c_i32_i8_e32 v122, v2, v6
	v_dot4c_i32_i8_e32 v122, v16, v10
	v_and_b32_e32 v2, 0xf0f0f0f, v123
	v_lshrrev_b32_e32 v16, 4, v123
	v_and_b32_e32 v16, 0xf0f0f0f, v16
	v_dot4c_i32_i8_e32 v122, v2, v7
	v_dot4c_i32_i8_e32 v122, v16, v11
	v_and_b32_e32 v2, 0xf0f0f0f, v124
	v_lshrrev_b32_e32 v16, 4, v124
	v_and_b32_e32 v16, 0xf0f0f0f, v16
	v_dot4c_i32_i8_e32 v122, v2, v8
	v_dot4c_i32_i8_e32 v122, v16, v12
	v_and_b32_e32 v2, 0xf0f0f0f, v125
	v_lshrrev_b32_e32 v16, 4, v125
	v_and_b32_e32 v16, 0xf0f0f0f, v16
	v_dot4c_i32_i8_e32 v122, v2, v9
	v_dot4c_i32_i8_e32 v122, v16, v13
	v_and_b32_e32 v2, 0xf0f0f0f, v18
	v_lshrrev_b32_e32 v16, 4, v18
	v_mov_b32_e32 v124, 0
	v_and_b32_e32 v16, 0xf0f0f0f, v16
	v_dot4c_i32_i8_e32 v124, v2, v6
	v_dot4c_i32_i8_e32 v124, v16, v10
	v_and_b32_e32 v2, 0xf0f0f0f, v19
	v_lshrrev_b32_e32 v16, 4, v19
	v_and_b32_e32 v16, 0xf0f0f0f, v16
	v_dot4c_i32_i8_e32 v124, v2, v7
	v_dot4c_i32_i8_e32 v124, v16, v11
	v_and_b32_e32 v2, 0xf0f0f0f, v160
	v_lshrrev_b32_e32 v16, 4, v160
	;; [unrolled: 5-line block ×3, first 2 shown]
	v_and_b32_e32 v16, 0xf0f0f0f, v16
	v_dot4c_i32_i8_e32 v124, v2, v9
	v_dot4c_i32_i8_e32 v124, v16, v13
	v_pk_mul_f16 v125, v3, v159
	v_and_b32_e32 v2, 0xf0f0f0f, v162
	v_lshrrev_b32_e32 v16, 4, v162
	v_mov_b32_e32 v159, 0
	v_and_b32_e32 v16, 0xf0f0f0f, v16
	v_dot4c_i32_i8_e32 v159, v2, v6
	v_dot4c_i32_i8_e32 v159, v16, v10
	v_lshrrev_b32_e32 v16, 4, v163
	v_and_b32_e32 v18, 0xf0f0f0f, v16
	ds_read2_b32 v[16:17], v142 offset1:1
	v_and_b32_e32 v2, 0xf0f0f0f, v163
	v_dot4c_i32_i8_e32 v159, v2, v7
	v_dot4c_i32_i8_e32 v159, v18, v11
	v_pk_mul_f16 v123, v3, v107
	s_waitcnt lgkmcnt(0)
	v_and_b32_e32 v2, 0xf0f0f0f, v16
	v_lshrrev_b32_e32 v16, 4, v16
	ds_read2_b32 v[18:19], v143 offset1:1
	ds_read2_b32 v[20:21], v144 offset1:1
	;; [unrolled: 1-line block ×3, first 2 shown]
	v_and_b32_e32 v16, 0xf0f0f0f, v16
	v_dot4c_i32_i8_e32 v159, v2, v8
	v_dot4c_i32_i8_e32 v159, v16, v12
	v_and_b32_e32 v2, 0xf0f0f0f, v17
	v_lshrrev_b32_e32 v16, 4, v17
	v_and_b32_e32 v16, 0xf0f0f0f, v16
	v_dot4c_i32_i8_e32 v159, v2, v9
	v_dot4c_i32_i8_e32 v159, v16, v13
	s_waitcnt lgkmcnt(2)
	v_and_b32_e32 v2, 0xf0f0f0f, v18
	v_lshrrev_b32_e32 v16, 4, v18
	v_mov_b32_e32 v161, 0
	v_and_b32_e32 v16, 0xf0f0f0f, v16
	v_dot4c_i32_i8_e32 v161, v2, v6
	v_dot4c_i32_i8_e32 v161, v16, v10
	v_and_b32_e32 v2, 0xf0f0f0f, v19
	v_lshrrev_b32_e32 v6, 4, v19
	v_and_b32_e32 v6, 0xf0f0f0f, v6
	v_dot4c_i32_i8_e32 v161, v2, v7
	v_dot4c_i32_i8_e32 v161, v6, v11
	s_waitcnt lgkmcnt(1)
	v_and_b32_e32 v2, 0xf0f0f0f, v20
	v_lshrrev_b32_e32 v6, 4, v20
	v_and_b32_e32 v6, 0xf0f0f0f, v6
	v_dot4c_i32_i8_e32 v161, v2, v8
	v_dot4c_i32_i8_e32 v161, v6, v12
	v_and_b32_e32 v2, 0xf0f0f0f, v21
	v_lshrrev_b32_e32 v6, 4, v21
	v_and_b32_e32 v6, 0xf0f0f0f, v6
	v_dot4c_i32_i8_e32 v161, v2, v9
	v_dot4c_i32_i8_e32 v161, v6, v13
	ds_read_b128 v[6:9], v31 offset:64
	ds_read_b128 v[10:13], v31 offset:80
	v_pk_mul_f16 v160, v3, v165
	v_pk_mul_f16 v162, v3, v167
	v_and_b32_e32 v2, 0xf0f0f0f, v128
	v_lshrrev_b32_e32 v3, 4, v128
	v_mov_b32_e32 v128, 0
	v_and_b32_e32 v3, 0xf0f0f0f, v3
	s_waitcnt lgkmcnt(1)
	v_dot4c_i32_i8_e32 v128, v2, v6
	s_waitcnt lgkmcnt(0)
	v_dot4c_i32_i8_e32 v128, v3, v10
	v_and_b32_e32 v2, 0xf0f0f0f, v129
	v_lshrrev_b32_e32 v3, 4, v129
	v_and_b32_e32 v3, 0xf0f0f0f, v3
	v_dot4c_i32_i8_e32 v128, v2, v7
	v_dot4c_i32_i8_e32 v128, v3, v11
	v_and_b32_e32 v2, 0xf0f0f0f, v130
	v_lshrrev_b32_e32 v3, 4, v130
	v_and_b32_e32 v3, 0xf0f0f0f, v3
	v_dot4c_i32_i8_e32 v128, v2, v8
	;; [unrolled: 5-line block ×3, first 2 shown]
	v_dot4c_i32_i8_e32 v128, v3, v13
	v_and_b32_e32 v2, 0xf0f0f0f, v106
	v_lshrrev_b32_e32 v3, 4, v106
	v_mov_b32_e32 v129, 0
	v_and_b32_e32 v3, 0xf0f0f0f, v3
	v_dot4c_i32_i8_e32 v129, v2, v6
	v_dot4c_i32_i8_e32 v129, v3, v10
	v_and_b32_e32 v2, 0xf0f0f0f, v107
	v_lshrrev_b32_e32 v3, 4, v107
	v_and_b32_e32 v16, 0xf0f0f0f, v3
	v_dot4c_i32_i8_e32 v129, v2, v7
	ds_read2_b32 v[2:3], v146 offset1:1
	v_dot4c_i32_i8_e32 v129, v16, v11
	ds_read2_b32 v[16:17], v147 offset1:1
	ds_read2_b32 v[18:19], v148 offset1:1
	;; [unrolled: 1-line block ×3, first 2 shown]
	v_mov_b32_e32 v130, 0
	v_mov_b32_e32 v131, 0
	s_waitcnt lgkmcnt(3)
	v_and_b32_e32 v106, 0xf0f0f0f, v2
	v_lshrrev_b32_e32 v2, 4, v2
	v_and_b32_e32 v2, 0xf0f0f0f, v2
	v_dot4c_i32_i8_e32 v129, v106, v8
	v_dot4c_i32_i8_e32 v129, v2, v12
	v_and_b32_e32 v2, 0xf0f0f0f, v3
	v_lshrrev_b32_e32 v3, 4, v3
	v_and_b32_e32 v3, 0xf0f0f0f, v3
	v_dot4c_i32_i8_e32 v129, v2, v9
	v_dot4c_i32_i8_e32 v129, v3, v13
	s_waitcnt lgkmcnt(2)
	v_and_b32_e32 v2, 0xf0f0f0f, v16
	v_lshrrev_b32_e32 v3, 4, v16
	v_and_b32_e32 v3, 0xf0f0f0f, v3
	v_dot4c_i32_i8_e32 v130, v2, v6
	v_dot4c_i32_i8_e32 v130, v3, v10
	v_and_b32_e32 v2, 0xf0f0f0f, v17
	v_lshrrev_b32_e32 v3, 4, v17
	v_and_b32_e32 v3, 0xf0f0f0f, v3
	v_dot4c_i32_i8_e32 v130, v2, v7
	v_dot4c_i32_i8_e32 v130, v3, v11
	;; [unrolled: 11-line block ×3, first 2 shown]
	s_waitcnt lgkmcnt(0)
	v_and_b32_e32 v2, 0xf0f0f0f, v20
	v_lshrrev_b32_e32 v3, 4, v20
	v_and_b32_e32 v3, 0xf0f0f0f, v3
	v_dot4c_i32_i8_e32 v131, v2, v6
	v_dot4c_i32_i8_e32 v131, v3, v10
	v_and_b32_e32 v2, 0xf0f0f0f, v21
	v_lshrrev_b32_e32 v3, 4, v21
	v_and_b32_e32 v6, 0xf0f0f0f, v3
	v_dot4c_i32_i8_e32 v131, v2, v7
	ds_read2_b32 v[2:3], v150 offset1:1
	v_dot4c_i32_i8_e32 v131, v6, v11
	ds_read2_b32 v[16:17], v151 offset1:1
	ds_read2_b32 v[18:19], v152 offset1:1
	ds_read2_b32 v[20:21], v153 offset1:1
	v_pk_mul_f16 v126, v4, v126
	v_pk_mul_f16 v118, v4, v118
	s_waitcnt lgkmcnt(3)
	v_and_b32_e32 v6, 0xf0f0f0f, v2
	v_lshrrev_b32_e32 v2, 4, v2
	v_and_b32_e32 v2, 0xf0f0f0f, v2
	v_dot4c_i32_i8_e32 v131, v6, v8
	v_dot4c_i32_i8_e32 v131, v2, v12
	v_and_b32_e32 v2, 0xf0f0f0f, v3
	v_lshrrev_b32_e32 v3, 4, v3
	v_and_b32_e32 v3, 0xf0f0f0f, v3
	v_dot4c_i32_i8_e32 v131, v2, v9
	v_dot4c_i32_i8_e32 v131, v3, v13
	ds_read_b128 v[6:9], v31 offset:96
	ds_read_b128 v[10:13], v31 offset:112
	v_pk_mul_f16 v14, v4, v14
	v_pk_mul_f16 v104, v4, v104
	v_and_b32_e32 v2, 0xf0f0f0f, v116
	v_lshrrev_b32_e32 v3, 4, v116
	v_mov_b32_e32 v4, 0
	v_and_b32_e32 v3, 0xf0f0f0f, v3
	s_waitcnt lgkmcnt(1)
	v_dot4c_i32_i8_e32 v4, v2, v6
	s_waitcnt lgkmcnt(0)
	v_dot4c_i32_i8_e32 v4, v3, v10
	v_and_b32_e32 v2, 0xf0f0f0f, v117
	v_lshrrev_b32_e32 v3, 4, v117
	v_and_b32_e32 v3, 0xf0f0f0f, v3
	v_dot4c_i32_i8_e32 v4, v2, v7
	v_dot4c_i32_i8_e32 v4, v3, v11
	v_and_b32_e32 v2, 0xf0f0f0f, v120
	v_lshrrev_b32_e32 v3, 4, v120
	v_and_b32_e32 v3, 0xf0f0f0f, v3
	v_dot4c_i32_i8_e32 v4, v2, v8
	;; [unrolled: 5-line block ×3, first 2 shown]
	v_dot4c_i32_i8_e32 v4, v3, v13
	v_and_b32_e32 v2, 0xf0f0f0f, v16
	v_lshrrev_b32_e32 v3, 4, v16
	v_mov_b32_e32 v117, 0
	v_and_b32_e32 v3, 0xf0f0f0f, v3
	v_dot4c_i32_i8_e32 v117, v2, v6
	v_dot4c_i32_i8_e32 v117, v3, v10
	v_and_b32_e32 v2, 0xf0f0f0f, v17
	v_lshrrev_b32_e32 v3, 4, v17
	v_and_b32_e32 v3, 0xf0f0f0f, v3
	v_dot4c_i32_i8_e32 v117, v2, v7
	v_dot4c_i32_i8_e32 v117, v3, v11
	v_and_b32_e32 v2, 0xf0f0f0f, v18
	v_lshrrev_b32_e32 v3, 4, v18
	;; [unrolled: 5-line block ×3, first 2 shown]
	v_and_b32_e32 v3, 0xf0f0f0f, v3
	v_dot4c_i32_i8_e32 v117, v2, v9
	v_cvt_f32_f16_e32 v112, v157
	v_cvt_f32_f16_e32 v113, v158
	v_cvt_f32_i32_e32 v115, v115
	v_dot4c_i32_i8_e32 v117, v3, v13
	v_cvt_f32_f16_sdwa v3, v158 dst_sel:DWORD dst_unused:UNUSED_PAD src0_sel:WORD_1
	v_cvt_f32_f16_sdwa v2, v157 dst_sel:DWORD dst_unused:UNUSED_PAD src0_sel:WORD_1
	v_cvt_f32_f16_e32 v17, v125
	v_cvt_f32_f16_e32 v16, v123
	v_cvt_f32_f16_sdwa v19, v125 dst_sel:DWORD dst_unused:UNUSED_PAD src0_sel:WORD_1
	v_cvt_f32_f16_sdwa v18, v123 dst_sel:DWORD dst_unused:UNUSED_PAD src0_sel:WORD_1
	v_cvt_f32_i32_e32 v107, v124
	v_cvt_f32_i32_e32 v106, v122
	v_pk_fma_f32 v[2:3], v[112:113], v[114:115], v[2:3]
	v_pk_mul_f16 v116, v5, v127
	v_pk_mul_f16 v119, v5, v119
	v_pk_add_f32 v[2:3], v[100:101], v[2:3]
	v_pk_fma_f32 v[16:17], v[16:17], v[106:107], v[18:19]
	v_cvt_f32_f16_e32 v19, v118
	v_cvt_f32_f16_e32 v18, v126
	v_cvt_f32_f16_sdwa v101, v118 dst_sel:DWORD dst_unused:UNUSED_PAD src0_sel:WORD_1
	v_cvt_f32_f16_sdwa v100, v126 dst_sel:DWORD dst_unused:UNUSED_PAD src0_sel:WORD_1
	v_cvt_f32_i32_e32 v107, v129
	v_cvt_f32_i32_e32 v106, v128
	v_cvt_f32_f16_e32 v113, v119
	v_cvt_f32_f16_e32 v112, v116
	v_cvt_f32_f16_sdwa v115, v119 dst_sel:DWORD dst_unused:UNUSED_PAD src0_sel:WORD_1
	v_cvt_f32_f16_sdwa v114, v116 dst_sel:DWORD dst_unused:UNUSED_PAD src0_sel:WORD_1
	v_cvt_f32_i32_e32 v117, v117
	v_cvt_f32_i32_e32 v116, v4
	v_pk_add_f32 v[2:3], v[2:3], v[16:17]
	v_pk_fma_f32 v[16:17], v[18:19], v[106:107], v[100:101]
	v_and_b32_e32 v4, 0xf0f0f0f, v21
	v_pk_add_f32 v[2:3], v[2:3], v[16:17]
	v_pk_fma_f32 v[16:17], v[112:113], v[116:117], v[114:115]
	v_cvt_f32_f16_e32 v108, v164
	v_pk_add_f32 v[100:101], v[2:3], v[16:17]
	v_and_b32_e32 v2, 0xf0f0f0f, v20
	v_lshrrev_b32_e32 v3, 4, v20
	v_mov_b32_e32 v20, 0
	v_and_b32_e32 v3, 0xf0f0f0f, v3
	v_dot4c_i32_i8_e32 v20, v2, v6
	v_lshrrev_b32_e32 v2, 4, v21
	v_dot4c_i32_i8_e32 v20, v3, v10
	v_and_b32_e32 v16, 0xf0f0f0f, v2
	ds_read2_b32 v[2:3], v154 offset1:1
	v_dot4c_i32_i8_e32 v20, v4, v7
	v_dot4c_i32_i8_e32 v20, v16, v11
	ds_read2_b32 v[16:17], v155 offset1:1
	ds_read2_b32 v[18:19], v156 offset1:1
	v_cvt_f32_f16_e32 v109, v166
	s_waitcnt lgkmcnt(2)
	v_and_b32_e32 v4, 0xf0f0f0f, v2
	v_lshrrev_b32_e32 v2, 4, v2
	v_and_b32_e32 v2, 0xf0f0f0f, v2
	v_dot4c_i32_i8_e32 v20, v4, v8
	v_dot4c_i32_i8_e32 v20, v2, v12
	v_and_b32_e32 v2, 0xf0f0f0f, v3
	v_lshrrev_b32_e32 v3, 4, v3
	v_and_b32_e32 v3, 0xf0f0f0f, v3
	v_dot4c_i32_i8_e32 v20, v2, v9
	v_dot4c_i32_i8_e32 v20, v3, v13
	s_waitcnt lgkmcnt(1)
	v_and_b32_e32 v2, 0xf0f0f0f, v16
	v_lshrrev_b32_e32 v3, 4, v16
	v_mov_b32_e32 v16, 0
	v_and_b32_e32 v3, 0xf0f0f0f, v3
	v_dot4c_i32_i8_e32 v16, v2, v6
	v_dot4c_i32_i8_e32 v16, v3, v10
	v_and_b32_e32 v2, 0xf0f0f0f, v17
	v_lshrrev_b32_e32 v3, 4, v17
	v_and_b32_e32 v3, 0xf0f0f0f, v3
	v_dot4c_i32_i8_e32 v16, v2, v7
	v_dot4c_i32_i8_e32 v16, v3, v11
	s_waitcnt lgkmcnt(0)
	v_and_b32_e32 v2, 0xf0f0f0f, v18
	v_lshrrev_b32_e32 v3, 4, v18
	v_and_b32_e32 v3, 0xf0f0f0f, v3
	v_dot4c_i32_i8_e32 v16, v2, v8
	v_dot4c_i32_i8_e32 v16, v3, v12
	v_and_b32_e32 v2, 0xf0f0f0f, v19
	v_lshrrev_b32_e32 v3, 4, v19
	v_dot4c_i32_i8_e32 v16, v2, v9
	v_cvt_f32_f16_e32 v7, v162
	v_cvt_f32_f16_e32 v6, v160
	v_cvt_f32_f16_sdwa v9, v162 dst_sel:DWORD dst_unused:UNUSED_PAD src0_sel:WORD_1
	v_cvt_f32_f16_sdwa v8, v160 dst_sel:DWORD dst_unused:UNUSED_PAD src0_sel:WORD_1
	v_cvt_f32_i32_e32 v11, v161
	v_cvt_f32_i32_e32 v10, v159
	v_and_b32_e32 v3, 0xf0f0f0f, v3
	v_cvt_f32_i32_e32 v111, v111
	v_dot4c_i32_i8_e32 v16, v3, v13
	v_cvt_f32_f16_sdwa v3, v166 dst_sel:DWORD dst_unused:UNUSED_PAD src0_sel:WORD_1
	v_cvt_f32_f16_sdwa v2, v164 dst_sel:DWORD dst_unused:UNUSED_PAD src0_sel:WORD_1
	v_pk_mul_f16 v21, v5, v15
	v_pk_mul_f16 v15, v5, v105
	v_pk_fma_f32 v[4:5], v[6:7], v[10:11], v[8:9]
	v_cvt_f32_f16_e32 v7, v104
	v_cvt_f32_f16_e32 v6, v14
	v_cvt_f32_f16_sdwa v9, v104 dst_sel:DWORD dst_unused:UNUSED_PAD src0_sel:WORD_1
	v_cvt_f32_f16_sdwa v8, v14 dst_sel:DWORD dst_unused:UNUSED_PAD src0_sel:WORD_1
	v_cvt_f32_i32_e32 v11, v131
	v_cvt_f32_i32_e32 v10, v130
	v_cvt_f32_f16_e32 v13, v15
	v_cvt_f32_f16_e32 v12, v21
	v_cvt_f32_f16_sdwa v15, v15 dst_sel:DWORD dst_unused:UNUSED_PAD src0_sel:WORD_1
	v_cvt_f32_f16_sdwa v14, v21 dst_sel:DWORD dst_unused:UNUSED_PAD src0_sel:WORD_1
	v_cvt_f32_i32_e32 v17, v16
	v_cvt_f32_i32_e32 v16, v20
	v_pk_fma_f32 v[2:3], v[108:109], v[110:111], v[2:3]
	s_cmp_ge_i32 s4, s5
	v_pk_add_f32 v[2:3], v[102:103], v[2:3]
	s_nop 0
	v_pk_add_f32 v[2:3], v[2:3], v[4:5]
	v_pk_fma_f32 v[4:5], v[6:7], v[10:11], v[8:9]
	s_barrier
	v_pk_add_f32 v[2:3], v[2:3], v[4:5]
	v_pk_fma_f32 v[4:5], v[12:13], v[16:17], v[14:15]
	s_nop 0
	v_pk_add_f32 v[102:103], v[2:3], v[4:5]
	s_cbranch_scc1 .LBB200_5
; %bb.13:                               ;   in Loop: Header=BB200_6 Depth=1
	v_add_u32_e32 v2, s20, v45
	v_cmp_gt_i32_e64 s[2:3], s8, v2
	s_and_b64 s[24:25], s[0:1], s[2:3]
	s_and_saveexec_b64 s[2:3], s[24:25]
	s_cbranch_execz .LBB200_15
; %bb.14:                               ;   in Loop: Header=BB200_6 Depth=1
	v_add_u32_e32 v2, s20, v47
	v_mad_i64_i32 v[2:3], s[24:25], v2, 36, v[56:57]
	global_load_dword v2, v[2:3], off offset:4
	s_waitcnt vmcnt(0)
	ds_write_b32 v27, v2
.LBB200_15:                             ;   in Loop: Header=BB200_6 Depth=1
	s_or_b64 exec, exec, s[2:3]
	s_and_saveexec_b64 s[24:25], vcc
	s_cbranch_execz .LBB200_4
; %bb.16:                               ;   in Loop: Header=BB200_6 Depth=1
	v_add3_u32 v2, v22, s20, 4
	v_cmp_gt_i32_e64 s[2:3], s8, v2
	s_and_b64 s[2:3], s[0:1], s[2:3]
	s_and_b64 exec, exec, s[2:3]
	s_cbranch_execz .LBB200_4
; %bb.17:                               ;   in Loop: Header=BB200_6 Depth=1
	global_load_dword v2, v[58:59], off
	s_waitcnt vmcnt(0)
	ds_write_b32 v29, v2
	s_branch .LBB200_4
.LBB200_18:
	v_mov_b32_e32 v2, 0
	v_mov_b32_e32 v4, 0
	;; [unrolled: 1-line block ×3, first 2 shown]
	s_mul_i32 s0, s10, s7
	s_waitcnt vmcnt(0)
	v_cmp_gt_i32_e32 vcc, s0, v1
	s_and_saveexec_b64 s[0:1], vcc
	s_cbranch_execnz .LBB200_21
.LBB200_19:
	s_endpgm
.LBB200_20:
	v_cvt_f16_f32_e32 v6, v100
	v_cvt_f16_f32_e32 v4, v101
	;; [unrolled: 1-line block ×4, first 2 shown]
	s_mul_i32 s0, s10, s7
	v_cmp_gt_i32_e32 vcc, s0, v1
	s_and_saveexec_b64 s[0:1], vcc
	s_cbranch_execz .LBB200_19
.LBB200_21:
	v_and_b32_e32 v0, 0x3ff, v0
	v_add_u32_e32 v5, s11, v0
	v_mul_lo_u32 v0, v1, s9
	v_cmp_gt_u32_e32 vcc, s9, v5
	s_and_saveexec_b64 s[0:1], vcc
	s_cbranch_execz .LBB200_23
; %bb.22:
	v_add_u32_e32 v8, v0, v5
	v_mov_b32_e32 v9, 0
	v_lshl_add_u64 v[8:9], v[8:9], 1, s[16:17]
	global_store_short v[8:9], v6, off
.LBB200_23:
	s_or_b64 exec, exec, s[0:1]
	v_add_u32_e32 v1, 32, v5
	v_cmp_gt_u32_e32 vcc, s9, v1
	s_and_saveexec_b64 s[0:1], vcc
	s_cbranch_execz .LBB200_25
; %bb.24:
	v_add_u32_e32 v6, v0, v1
	v_mov_b32_e32 v7, 0
	v_lshl_add_u64 v[6:7], v[6:7], 1, s[16:17]
	global_store_short v[6:7], v4, off
.LBB200_25:
	s_or_b64 exec, exec, s[0:1]
	v_add_u32_e32 v1, 64, v5
	;; [unrolled: 11-line block ×3, first 2 shown]
	v_cmp_gt_u32_e32 vcc, s9, v1
	s_and_b64 exec, exec, vcc
	s_cbranch_execz .LBB200_19
; %bb.28:
	v_add_u32_e32 v0, v0, v1
	v_mov_b32_e32 v1, 0
	v_lshl_add_u64 v[0:1], v[0:1], 1, s[16:17]
	global_store_short v[0:1], v3, off
	s_endpgm
	.section	.rodata,"a",@progbits
	.p2align	6, 0x0
	.amdhsa_kernel _ZL8moe_q4_1IN3c104HalfELb1EEvPKvS3_PT_PKiS7_S7_iiiiiii
		.amdhsa_group_segment_fixed_size 22272
		.amdhsa_private_segment_fixed_size 0
		.amdhsa_kernarg_size 76
		.amdhsa_user_sgpr_count 2
		.amdhsa_user_sgpr_dispatch_ptr 0
		.amdhsa_user_sgpr_queue_ptr 0
		.amdhsa_user_sgpr_kernarg_segment_ptr 1
		.amdhsa_user_sgpr_dispatch_id 0
		.amdhsa_user_sgpr_kernarg_preload_length 0
		.amdhsa_user_sgpr_kernarg_preload_offset 0
		.amdhsa_user_sgpr_private_segment_size 0
		.amdhsa_uses_dynamic_stack 0
		.amdhsa_enable_private_segment 0
		.amdhsa_system_sgpr_workgroup_id_x 1
		.amdhsa_system_sgpr_workgroup_id_y 1
		.amdhsa_system_sgpr_workgroup_id_z 0
		.amdhsa_system_sgpr_workgroup_info 0
		.amdhsa_system_vgpr_workitem_id 1
		.amdhsa_next_free_vgpr 168
		.amdhsa_next_free_sgpr 27
		.amdhsa_accum_offset 168
		.amdhsa_reserve_vcc 1
		.amdhsa_float_round_mode_32 0
		.amdhsa_float_round_mode_16_64 0
		.amdhsa_float_denorm_mode_32 3
		.amdhsa_float_denorm_mode_16_64 3
		.amdhsa_dx10_clamp 1
		.amdhsa_ieee_mode 1
		.amdhsa_fp16_overflow 0
		.amdhsa_tg_split 0
		.amdhsa_exception_fp_ieee_invalid_op 0
		.amdhsa_exception_fp_denorm_src 0
		.amdhsa_exception_fp_ieee_div_zero 0
		.amdhsa_exception_fp_ieee_overflow 0
		.amdhsa_exception_fp_ieee_underflow 0
		.amdhsa_exception_fp_ieee_inexact 0
		.amdhsa_exception_int_div_zero 0
	.end_amdhsa_kernel
	.section	.text._ZL8moe_q4_1IN3c104HalfELb1EEvPKvS3_PT_PKiS7_S7_iiiiiii,"axG",@progbits,_ZL8moe_q4_1IN3c104HalfELb1EEvPKvS3_PT_PKiS7_S7_iiiiiii,comdat
.Lfunc_end200:
	.size	_ZL8moe_q4_1IN3c104HalfELb1EEvPKvS3_PT_PKiS7_S7_iiiiiii, .Lfunc_end200-_ZL8moe_q4_1IN3c104HalfELb1EEvPKvS3_PT_PKiS7_S7_iiiiiii
                                        ; -- End function
	.section	.AMDGPU.csdata,"",@progbits
; Kernel info:
; codeLenInByte = 9436
; NumSgprs: 33
; NumVgprs: 168
; NumAgprs: 0
; TotalNumVgprs: 168
; ScratchSize: 0
; MemoryBound: 0
; FloatMode: 240
; IeeeMode: 1
; LDSByteSize: 22272 bytes/workgroup (compile time only)
; SGPRBlocks: 4
; VGPRBlocks: 20
; NumSGPRsForWavesPerEU: 33
; NumVGPRsForWavesPerEU: 168
; AccumOffset: 168
; Occupancy: 2
; WaveLimiterHint : 1
; COMPUTE_PGM_RSRC2:SCRATCH_EN: 0
; COMPUTE_PGM_RSRC2:USER_SGPR: 2
; COMPUTE_PGM_RSRC2:TRAP_HANDLER: 0
; COMPUTE_PGM_RSRC2:TGID_X_EN: 1
; COMPUTE_PGM_RSRC2:TGID_Y_EN: 1
; COMPUTE_PGM_RSRC2:TGID_Z_EN: 0
; COMPUTE_PGM_RSRC2:TIDIG_COMP_CNT: 1
; COMPUTE_PGM_RSRC3_GFX90A:ACCUM_OFFSET: 41
; COMPUTE_PGM_RSRC3_GFX90A:TG_SPLIT: 0
	.section	.text._ZL8moe_q5_0IN3c104HalfELb0EEvPKvS3_PT_PKiS7_S7_iiiiiii,"axG",@progbits,_ZL8moe_q5_0IN3c104HalfELb0EEvPKvS3_PT_PKiS7_S7_iiiiiii,comdat
	.globl	_ZL8moe_q5_0IN3c104HalfELb0EEvPKvS3_PT_PKiS7_S7_iiiiiii ; -- Begin function _ZL8moe_q5_0IN3c104HalfELb0EEvPKvS3_PT_PKiS7_S7_iiiiiii
	.p2align	8
	.type	_ZL8moe_q5_0IN3c104HalfELb0EEvPKvS3_PT_PKiS7_S7_iiiiiii,@function
_ZL8moe_q5_0IN3c104HalfELb0EEvPKvS3_PT_PKiS7_S7_iiiiiii: ; @_ZL8moe_q5_0IN3c104HalfELb0EEvPKvS3_PT_PKiS7_S7_iiiiiii
; %bb.0:
	s_load_dwordx4 s[4:7], s[0:1], 0x18
	s_mov_b32 s8, s3
	s_mov_b32 s9, 0
	s_lshl_b64 s[10:11], s[8:9], 2
	s_waitcnt lgkmcnt(0)
	s_add_u32 s6, s6, s10
	s_addc_u32 s7, s7, s11
	s_load_dword s3, s[6:7], 0x0
	s_waitcnt lgkmcnt(0)
	s_cmpk_gt_u32 s3, 0xff
	s_cbranch_scc1 .LBB201_19
; %bb.1:
	s_load_dwordx2 s[6:7], s[0:1], 0x28
	s_waitcnt lgkmcnt(0)
	s_load_dword s7, s[6:7], 0x0
	s_lshl_b32 s6, s8, 3
	s_waitcnt lgkmcnt(0)
	s_cmp_gt_u32 s6, s7
	s_cbranch_scc1 .LBB201_19
; %bb.2:
	v_bfe_u32 v4, v0, 10, 10
	v_mov_b32_e32 v6, s4
	v_mov_b32_e32 v7, s5
	v_add_u32_e32 v2, s6, v4
	v_mov_b32_e32 v3, 0
	v_lshl_add_u64 v[6:7], v[2:3], 2, v[6:7]
	global_load_dword v1, v[6:7], off
	s_load_dwordx2 s[14:15], s[0:1], 0x30
	s_load_dwordx2 s[12:13], s[0:1], 0x10
	s_load_dwordx4 s[4:7], s[0:1], 0x3c
	s_lshl_b32 s24, s2, 7
	s_waitcnt lgkmcnt(0)
	s_cmp_lt_i32 s15, 32
	s_cbranch_scc1 .LBB201_18
; %bb.3:
	s_load_dwordx4 s[8:11], s[0:1], 0x0
	s_ashr_i32 s0, s15, 31
	s_ashr_i32 s1, s5, 31
	s_lshr_b32 s0, s0, 27
	s_lshr_b32 s1, s1, 27
	s_add_i32 s0, s15, s0
	s_add_i32 s1, s5, s1
	v_and_b32_e32 v22, 0x3ff, v0
	s_ashr_i32 s25, s0, 5
	s_ashr_i32 s5, s1, 5
	v_lshlrev_b32_e32 v3, 3, v22
	s_movk_i32 s1, 0x104
	v_mul_lo_u32 v9, s25, v4
	v_mad_u32_u24 v120, v4, s1, v3
	s_lshl_b32 s1, s25, 3
	v_add_u32_e32 v10, s1, v9
	v_add_u32_e32 v11, s1, v10
	;; [unrolled: 1-line block ×13, first 2 shown]
	v_lshlrev_b32_e32 v5, 2, v4
	v_lshrrev_b32_e32 v136, 3, v22
	v_add_u32_e32 v86, s1, v82
	v_and_b32_e32 v100, 7, v22
	v_add_u32_e32 v3, v136, v5
	v_add_u32_e32 v90, s1, v86
	v_and_b32_e32 v6, 0x1ffc, v3
	v_lshlrev_b32_e32 v7, 2, v100
	s_mov_b32 s1, 0x8200
	v_add3_u32 v104, v6, v7, s1
	v_add_u32_e32 v6, 32, v3
	v_lshlrev_b32_e32 v2, 2, v22
	v_mov_b32_e32 v25, 0
	v_mul_lo_u32 v94, s25, v3
	v_lshlrev_b32_e32 v105, 5, v3
	v_and_b32_e32 v23, 0x3ffc, v6
	v_lshlrev_b32_e32 v107, 5, v6
	v_add_u32_e32 v6, 64, v3
	v_add_u32_e32 v3, 0x60, v3
	v_and_b32_e32 v24, 12, v2
	v_add3_u32 v106, v23, v7, s1
	v_and_b32_e32 v23, 0x3ffc, v6
	v_lshlrev_b32_e32 v109, 5, v6
	v_and_b32_e32 v6, 0x3ffc, v3
	v_lshlrev_b32_e32 v111, 5, v3
	v_and_b32_e32 v2, 28, v2
	v_mov_b32_e32 v3, v25
	v_add3_u32 v110, v6, v7, s1
	v_and_b32_e32 v6, 31, v22
	s_waitcnt lgkmcnt(0)
	v_lshl_add_u64 v[26:27], s[10:11], 0, v[2:3]
	v_lshlrev_b32_e32 v2, 7, v4
	v_lshl_or_b32 v3, v6, 2, v2
	v_add_u32_e32 v137, 0x9280, v3
	v_or_b32_e32 v3, v5, v22
	v_mov_b32_e32 v5, 0x9680
	v_lshl_add_u32 v138, v3, 2, v5
	v_add_u32_e32 v139, 0x9280, v2
	v_and_b32_e32 v2, 0xfc, v22
	v_lshlrev_b32_e32 v3, 5, v22
	v_add3_u32 v142, v3, v2, s1
	v_add_u32_e32 v2, 32, v22
	v_lshl_add_u32 v140, v4, 4, v5
	v_and_b32_e32 v3, 0x1fc, v2
	v_lshlrev_b32_e32 v4, 5, v2
	v_add3_u32 v143, v4, v3, s1
	v_add_u32_e32 v3, 64, v22
	s_mul_i32 s16, s3, s14
	v_and_b32_e32 v4, 0x1fc, v3
	v_lshlrev_b32_e32 v3, 5, v3
	s_abs_i32 s3, s7
	v_add3_u32 v144, v3, v4, s1
	v_cvt_f32_u32_e32 v4, s3
	v_add_u32_e32 v3, 0x60, v22
	v_and_b32_e32 v5, 0x1fc, v3
	v_lshlrev_b32_e32 v3, 5, v3
	v_add3_u32 v145, v3, v5, s1
	v_rcp_iflag_f32_e32 v3, v4
	s_andn2_b32 s0, s0, 31
	v_add_u32_e32 v96, s0, v94
	v_add_u32_e32 v98, s0, v96
	v_mul_f32_e32 v3, 0x4f7ffffe, v3
	v_cvt_u32_f32_e32 v3, v3
	v_add_u32_e32 v101, s0, v98
	s_sub_i32 s0, 0, s3
	s_waitcnt vmcnt(0)
	v_sub_u32_e32 v4, 0, v1
	v_mul_lo_u32 v5, s0, v3
	v_mul_hi_u32 v5, v3, v5
	v_max_i32_e32 v4, v1, v4
	v_add_u32_e32 v3, v3, v5
	v_mul_hi_u32 v3, v4, v3
	v_mul_lo_u32 v5, v3, s3
	v_sub_u32_e32 v4, v4, v5
	v_add3_u32 v108, v23, v7, s1
	v_add_u32_e32 v5, 1, v3
	v_cmp_le_u32_e64 s[0:1], s3, v4
	v_lshrrev_b32_e32 v146, 3, v2
	v_xor_b32_e32 v2, s7, v1
	v_cndmask_b32_e64 v3, v3, v5, s[0:1]
	v_subrev_u32_e32 v5, s3, v4
	v_cndmask_b32_e64 v4, v4, v5, s[0:1]
	v_add_u32_e32 v5, 1, v3
	v_cmp_le_u32_e64 s[0:1], s3, v4
	v_ashrrev_i32_e32 v2, 31, v2
	v_mov_b32_e32 v23, v25
	v_cndmask_b32_e64 v3, v3, v5, s[0:1]
	v_xor_b32_e32 v3, v3, v2
	v_sub_u32_e32 v2, v3, v2
	v_cmp_gt_i32_e64 s[0:1], s4, v2
	v_mul_lo_u32 v2, v2, s5
	v_ashrrev_i32_e32 v3, 31, v2
	s_mul_i32 s2, s25, s24
	v_lshl_add_u64 v[4:5], v[2:3], 0, v[22:23]
	v_mad_u64_u32 v[6:7], s[20:21], v4, 36, s[10:11]
	s_mul_hi_i32 s3, s2, 22
	s_mul_i32 s14, s2, 22
	v_lshrrev_b32_e32 v8, 2, v22
	v_mad_i32_i24 v7, v5, 36, v7
	s_mov_b64 s[20:21], 0x90
	v_add_u32_e32 v23, v22, v2
	v_add_u32_e32 v147, v146, v2
	;; [unrolled: 1-line block ×3, first 2 shown]
	v_mov_b32_e32 v2, s14
	v_mov_b32_e32 v3, s3
	v_lshl_add_u64 v[28:29], v[6:7], 0, s[20:21]
	v_mad_u64_u32 v[2:3], s[20:21], v8, 22, v[2:3]
	v_mad_u64_u32 v[4:5], s[20:21], v9, 22, v[2:3]
	v_lshl_add_u64 v[6:7], v[4:5], 0, v[24:25]
	v_lshl_add_u64 v[32:33], s[8:9], 0, v[4:5]
	v_mad_u64_u32 v[4:5], s[20:21], v10, 22, v[2:3]
	v_lshl_add_u64 v[4:5], v[4:5], 0, s[8:9]
	v_lshl_add_u64 v[34:35], v[4:5], 0, v[24:25]
	v_lshl_add_u64 v[36:37], v[4:5], 0, 2
	v_mad_u64_u32 v[4:5], s[20:21], v11, 22, v[2:3]
	v_lshl_add_u64 v[4:5], v[4:5], 0, s[8:9]
	;; [unrolled: 4-line block ×13, first 2 shown]
	v_lshl_add_u64 v[82:83], v[4:5], 0, v[24:25]
	v_lshl_add_u64 v[84:85], v[4:5], 0, 2
	v_mad_u64_u32 v[4:5], s[20:21], v86, 22, v[2:3]
	v_mad_u64_u32 v[2:3], s[20:21], v90, 22, v[2:3]
	v_lshl_add_u64 v[2:3], v[2:3], 0, s[8:9]
	v_lshl_add_u64 v[90:91], v[2:3], 0, v[24:25]
	;; [unrolled: 1-line block ×3, first 2 shown]
	v_mad_u64_u32 v[2:3], s[20:21], v94, 22, 0
	v_mad_i64_i32 v[2:3], s[20:21], s2, 22, v[2:3]
	v_mad_u64_u32 v[2:3], s[20:21], v100, 22, v[2:3]
	v_lshl_add_u64 v[94:95], s[8:9], 0, v[2:3]
	v_mad_u64_u32 v[2:3], s[20:21], v96, 22, 0
	v_mad_i64_i32 v[2:3], s[20:21], s2, 22, v[2:3]
	v_mad_u64_u32 v[2:3], s[20:21], v100, 22, v[2:3]
	v_lshl_add_u64 v[96:97], s[8:9], 0, v[2:3]
	v_mad_u64_u32 v[2:3], s[20:21], v98, 22, 0
	v_mad_i64_i32 v[2:3], s[20:21], s2, 22, v[2:3]
	v_mad_u64_u32 v[2:3], s[20:21], v100, 22, v[2:3]
	s_mov_b32 s18, 0
	v_lshl_add_u64 v[98:99], s[8:9], 0, v[2:3]
	v_mad_u64_u32 v[2:3], s[20:21], v101, 22, 0
	v_mad_i64_i32 v[2:3], s[2:3], s2, 22, v[2:3]
	s_mov_b32 s19, s18
	v_lshl_add_u64 v[4:5], v[4:5], 0, s[8:9]
	v_mad_u64_u32 v[2:3], s[2:3], v100, 22, v[2:3]
	v_mov_b64_e32 v[102:103], s[18:19]
	s_ashr_i32 s17, s16, 31
	v_add_u32_e32 v121, 0x820, v120
	v_add_u32_e32 v122, 0x1040, v120
	;; [unrolled: 1-line block ×15, first 2 shown]
	v_cmp_gt_u32_e32 vcc, 4, v22
	v_mul_u32_u24_e32 v141, 0x104, v22
	v_lshl_add_u64 v[30:31], s[8:9], 0, v[6:7]
	v_lshl_add_u64 v[86:87], v[4:5], 0, v[24:25]
	;; [unrolled: 1-line block ×4, first 2 shown]
	s_movk_i32 s14, 0x80
	s_movk_i32 s19, 0x1f00
	;; [unrolled: 1-line block ×4, first 2 shown]
	v_add_u32_e32 v25, v104, v105
	v_add_u32_e32 v149, v106, v107
	;; [unrolled: 1-line block ×4, first 2 shown]
	s_mov_b64 s[8:9], 0x120
	s_mov_b64 s[20:21], 0xb0
	v_mov_b32_e32 v152, 8
	v_mov_b64_e32 v[104:105], v[102:103]
	s_branch .LBB201_6
.LBB201_4:                              ;   in Loop: Header=BB201_6 Depth=1
	s_or_b64 exec, exec, s[22:23]
	s_waitcnt lgkmcnt(0)
	s_barrier
	ds_read_b128 v[2:5], v140
	ds_read2_b32 v[106:107], v141 offset0:32 offset1:33
	ds_read_b128 v[14:17], v139
	ds_read_b128 v[18:21], v139 offset:16
	ds_read_b128 v[6:9], v139 offset:32
	;; [unrolled: 1-line block ×3, first 2 shown]
	ds_read2_b32 v[110:111], v141 offset0:34 offset1:35
	v_mov_b32_e32 v108, 0
	s_waitcnt lgkmcnt(4)
	v_dot4c_i32_i8_e32 v108, v106, v14
	s_waitcnt lgkmcnt(3)
	v_dot4c_i32_i8_e32 v108, v107, v18
	ds_read2_b32 v[106:107], v141 offset0:36 offset1:37
	ds_read2_b32 v[112:113], v141 offset0:38 offset1:39
	;; [unrolled: 1-line block ×3, first 2 shown]
	s_waitcnt lgkmcnt(3)
	v_dot4c_i32_i8_e32 v108, v110, v15
	v_dot4c_i32_i8_e32 v108, v111, v19
	s_waitcnt lgkmcnt(2)
	v_dot4c_i32_i8_e32 v108, v106, v16
	v_add_u32_e32 v106, 0x2100, v141
	ds_read2_b32 v[110:111], v106 offset1:1
	v_mov_b32_e32 v109, 0
	v_dot4c_i32_i8_e32 v108, v107, v20
	ds_read2_b32 v[106:107], v145 offset0:6 offset1:7
	s_waitcnt lgkmcnt(3)
	v_dot4c_i32_i8_e32 v108, v112, v17
	s_waitcnt lgkmcnt(1)
	v_dot4c_i32_i8_e32 v109, v110, v14
	v_add_u32_e32 v110, 0x2108, v141
	v_dot4c_i32_i8_e32 v109, v111, v18
	ds_read2_b32 v[110:111], v110 offset1:1
	v_add_u32_e32 v112, 0x2110, v141
	v_add_u32_e32 v116, 0x2118, v141
	v_add_u32_e32 v118, 0x4180, v141
	v_dot4c_i32_i8_e32 v108, v113, v21
	ds_read2_b32 v[112:113], v112 offset1:1
	ds_read2_b32 v[116:117], v116 offset1:1
	;; [unrolled: 1-line block ×3, first 2 shown]
	s_waitcnt lgkmcnt(3)
	v_dot4c_i32_i8_e32 v109, v110, v15
	v_dot4c_i32_i8_e32 v109, v111, v19
	s_waitcnt lgkmcnt(2)
	v_dot4c_i32_i8_e32 v109, v112, v16
	v_dot4c_i32_i8_e32 v109, v113, v20
	v_mov_b32_e32 v153, 0
	s_waitcnt lgkmcnt(1)
	v_dot4c_i32_i8_e32 v109, v116, v17
	s_waitcnt lgkmcnt(0)
	v_dot4c_i32_i8_e32 v153, v118, v14
	v_add_u32_e32 v110, 0x4188, v141
	v_add_u32_e32 v112, 0x4190, v141
	;; [unrolled: 1-line block ×4, first 2 shown]
	v_dot4c_i32_i8_e32 v109, v117, v21
	v_dot4c_i32_i8_e32 v153, v119, v18
	ds_read2_b32 v[110:111], v110 offset1:1
	ds_read2_b32 v[112:113], v112 offset1:1
	;; [unrolled: 1-line block ×4, first 2 shown]
	v_mov_b32_e32 v158, 0
	v_mov_b32_e32 v159, 0
	v_dot4c_i32_i8_e32 v159, v114, v6
	s_waitcnt lgkmcnt(3)
	v_dot4c_i32_i8_e32 v153, v110, v15
	s_waitcnt lgkmcnt(0)
	v_dot4c_i32_i8_e32 v158, v118, v14
	v_add_u32_e32 v14, 0x6208, v141
	v_dot4c_i32_i8_e32 v153, v111, v19
	ds_read2_b32 v[110:111], v14 offset1:1
	v_dot4c_i32_i8_e32 v153, v112, v16
	v_dot4c_i32_i8_e32 v153, v113, v20
	;; [unrolled: 1-line block ×4, first 2 shown]
	v_add_u32_e32 v18, 0x6210, v141
	v_add_u32_e32 v116, 0x6218, v141
	v_dot4c_i32_i8_e32 v153, v117, v21
	v_add_u32_e32 v14, 0x2120, v141
	ds_read2_b32 v[112:113], v18 offset1:1
	ds_read2_b32 v[116:117], v116 offset1:1
	ds_read2_b32 v[118:119], v14 offset1:1
	s_waitcnt lgkmcnt(3)
	v_dot4c_i32_i8_e32 v158, v110, v15
	v_dot4c_i32_i8_e32 v158, v111, v19
	ds_read2_b32 v[14:15], v141 offset0:42 offset1:43
	s_waitcnt lgkmcnt(3)
	v_dot4c_i32_i8_e32 v158, v112, v16
	v_dot4c_i32_i8_e32 v158, v113, v20
	s_waitcnt lgkmcnt(2)
	v_dot4c_i32_i8_e32 v158, v116, v17
	v_dot4c_i32_i8_e32 v158, v117, v21
	;; [unrolled: 1-line block ×3, first 2 shown]
	ds_read2_b32 v[16:17], v141 offset0:44 offset1:45
	ds_read2_b32 v[18:19], v141 offset0:46 offset1:47
	;; [unrolled: 1-line block ×3, first 2 shown]
	s_waitcnt lgkmcnt(3)
	v_dot4c_i32_i8_e32 v159, v14, v7
	v_add_u32_e32 v14, 0x2128, v141
	v_dot4c_i32_i8_e32 v159, v15, v11
	ds_read2_b32 v[14:15], v14 offset1:1
	s_waitcnt lgkmcnt(3)
	v_dot4c_i32_i8_e32 v159, v16, v8
	v_dot4c_i32_i8_e32 v159, v17, v12
	v_mov_b32_e32 v160, 0
	s_waitcnt lgkmcnt(2)
	v_dot4c_i32_i8_e32 v159, v18, v9
	v_dot4c_i32_i8_e32 v160, v118, v6
	v_add_u32_e32 v16, 0x2130, v141
	v_add_u32_e32 v18, 0x2138, v141
	;; [unrolled: 1-line block ×3, first 2 shown]
	v_dot4c_i32_i8_e32 v159, v19, v13
	v_dot4c_i32_i8_e32 v160, v119, v10
	ds_read2_b32 v[16:17], v16 offset1:1
	ds_read2_b32 v[18:19], v18 offset1:1
	;; [unrolled: 1-line block ×3, first 2 shown]
	s_waitcnt lgkmcnt(3)
	v_dot4c_i32_i8_e32 v160, v14, v7
	v_dot4c_i32_i8_e32 v160, v15, v11
	s_waitcnt lgkmcnt(2)
	v_dot4c_i32_i8_e32 v160, v16, v8
	v_dot4c_i32_i8_e32 v160, v17, v12
	v_mov_b32_e32 v161, 0
	s_waitcnt lgkmcnt(1)
	v_dot4c_i32_i8_e32 v160, v18, v9
	s_waitcnt lgkmcnt(0)
	v_dot4c_i32_i8_e32 v161, v110, v6
	v_add_u32_e32 v14, 0x41a8, v141
	v_add_u32_e32 v16, 0x41b0, v141
	;; [unrolled: 1-line block ×4, first 2 shown]
	v_dot4c_i32_i8_e32 v160, v19, v13
	v_dot4c_i32_i8_e32 v161, v111, v10
	ds_read2_b32 v[14:15], v14 offset1:1
	ds_read2_b32 v[16:17], v16 offset1:1
	;; [unrolled: 1-line block ×4, first 2 shown]
	v_mov_b32_e32 v162, 0
	v_mov_b32_e32 v163, 0
	;; [unrolled: 1-line block ×3, first 2 shown]
	s_waitcnt lgkmcnt(3)
	v_dot4c_i32_i8_e32 v161, v14, v7
	s_waitcnt lgkmcnt(0)
	v_dot4c_i32_i8_e32 v162, v110, v6
	v_add_u32_e32 v6, 0x6228, v141
	v_dot4c_i32_i8_e32 v161, v15, v11
	ds_read2_b32 v[14:15], v6 offset1:1
	v_dot4c_i32_i8_e32 v161, v16, v8
	v_dot4c_i32_i8_e32 v161, v17, v12
	;; [unrolled: 1-line block ×4, first 2 shown]
	v_add_u32_e32 v10, 0x6230, v141
	v_add_u32_e32 v18, 0x6238, v141
	v_dot4c_i32_i8_e32 v161, v19, v13
	v_add_u32_e32 v6, 0x2140, v141
	ds_read2_b32 v[16:17], v10 offset1:1
	ds_read2_b32 v[18:19], v18 offset1:1
	;; [unrolled: 1-line block ×3, first 2 shown]
	s_waitcnt lgkmcnt(3)
	v_dot4c_i32_i8_e32 v162, v14, v7
	v_dot4c_i32_i8_e32 v162, v15, v11
	s_waitcnt lgkmcnt(2)
	v_dot4c_i32_i8_e32 v162, v16, v8
	v_dot4c_i32_i8_e32 v162, v17, v12
	;; [unrolled: 3-line block ×3, first 2 shown]
	ds_read_b128 v[8:11], v139 offset:64
	ds_read_b128 v[12:15], v139 offset:80
	ds_read2_b32 v[6:7], v144 offset0:4 offset1:5
	ds_read2_b32 v[112:113], v143 offset0:6 offset1:7
	;; [unrolled: 1-line block ×5, first 2 shown]
	s_waitcnt lgkmcnt(6)
	v_dot4c_i32_i8_e32 v163, v20, v8
	s_waitcnt lgkmcnt(5)
	v_dot4c_i32_i8_e32 v163, v21, v12
	ds_read2_b32 v[18:19], v141 offset0:52 offset1:53
	ds_read2_b32 v[20:21], v141 offset0:54 offset1:55
	ds_read2_b32 v[118:119], v141 offset0:56 offset1:57
	v_dot4c_i32_i8_e32 v164, v110, v8
	s_waitcnt lgkmcnt(3)
	v_dot4c_i32_i8_e32 v163, v16, v9
	v_add_u32_e32 v16, 0x2148, v141
	v_dot4c_i32_i8_e32 v163, v17, v13
	ds_read2_b32 v[16:17], v16 offset1:1
	s_waitcnt lgkmcnt(3)
	v_dot4c_i32_i8_e32 v163, v18, v10
	v_dot4c_i32_i8_e32 v163, v19, v14
	s_waitcnt lgkmcnt(2)
	v_dot4c_i32_i8_e32 v163, v20, v11
	v_add_u32_e32 v18, 0x2150, v141
	v_add_u32_e32 v20, 0x2158, v141
	;; [unrolled: 1-line block ×3, first 2 shown]
	v_dot4c_i32_i8_e32 v163, v21, v15
	v_dot4c_i32_i8_e32 v164, v111, v12
	ds_read2_b32 v[18:19], v18 offset1:1
	ds_read2_b32 v[20:21], v20 offset1:1
	;; [unrolled: 1-line block ×3, first 2 shown]
	s_waitcnt lgkmcnt(3)
	v_dot4c_i32_i8_e32 v164, v16, v9
	v_dot4c_i32_i8_e32 v164, v17, v13
	s_waitcnt lgkmcnt(2)
	v_dot4c_i32_i8_e32 v164, v18, v10
	v_dot4c_i32_i8_e32 v164, v19, v14
	v_mov_b32_e32 v165, 0
	s_waitcnt lgkmcnt(1)
	v_dot4c_i32_i8_e32 v164, v20, v11
	s_waitcnt lgkmcnt(0)
	v_dot4c_i32_i8_e32 v165, v110, v8
	v_add_u32_e32 v16, 0x41c8, v141
	v_add_u32_e32 v18, 0x41d0, v141
	;; [unrolled: 1-line block ×4, first 2 shown]
	v_dot4c_i32_i8_e32 v164, v21, v15
	ds_read2_b32 v[20:21], v145 offset0:4 offset1:5
	ds_read2_b32 v[154:155], v144 offset0:6 offset1:7
	v_dot4c_i32_i8_e32 v165, v111, v12
	ds_read2_b32 v[16:17], v16 offset1:1
	ds_read2_b32 v[18:19], v18 offset1:1
	ds_read2_b32 v[110:111], v110 offset1:1
	ds_read2_b32 v[156:157], v156 offset1:1
	v_mov_b32_e32 v166, 0
	v_mov_b32_e32 v167, 0
	;; [unrolled: 1-line block ×3, first 2 shown]
	s_waitcnt lgkmcnt(3)
	v_dot4c_i32_i8_e32 v165, v16, v9
	s_waitcnt lgkmcnt(0)
	v_dot4c_i32_i8_e32 v166, v156, v8
	v_add_u32_e32 v8, 0x6248, v141
	v_dot4c_i32_i8_e32 v165, v17, v13
	ds_read2_b32 v[16:17], v8 offset1:1
	v_dot4c_i32_i8_e32 v165, v18, v10
	v_dot4c_i32_i8_e32 v165, v19, v14
	;; [unrolled: 1-line block ×4, first 2 shown]
	v_add_u32_e32 v12, 0x6250, v141
	v_add_u32_e32 v110, 0x6258, v141
	v_dot4c_i32_i8_e32 v165, v111, v15
	v_add_u32_e32 v8, 0x2160, v141
	ds_read2_b32 v[18:19], v12 offset1:1
	ds_read2_b32 v[110:111], v110 offset1:1
	;; [unrolled: 1-line block ×3, first 2 shown]
	s_waitcnt lgkmcnt(3)
	v_dot4c_i32_i8_e32 v166, v16, v9
	v_dot4c_i32_i8_e32 v166, v17, v13
	s_waitcnt lgkmcnt(2)
	v_dot4c_i32_i8_e32 v166, v18, v10
	v_dot4c_i32_i8_e32 v166, v19, v14
	ds_read_b128 v[16:19], v139 offset:96
	s_waitcnt lgkmcnt(2)
	v_dot4c_i32_i8_e32 v166, v110, v11
	ds_read_b128 v[8:11], v139 offset:112
	ds_read2_b32 v[12:13], v141 offset0:58 offset1:59
	v_dot4c_i32_i8_e32 v166, v111, v15
	s_waitcnt lgkmcnt(2)
	v_dot4c_i32_i8_e32 v167, v118, v16
	v_dot4c_i32_i8_e32 v168, v156, v16
	s_waitcnt lgkmcnt(1)
	v_dot4c_i32_i8_e32 v167, v119, v8
	ds_read2_b32 v[14:15], v141 offset0:60 offset1:61
	ds_read2_b32 v[110:111], v142 offset0:4 offset1:5
	;; [unrolled: 1-line block ×3, first 2 shown]
	s_waitcnt lgkmcnt(3)
	v_dot4c_i32_i8_e32 v167, v12, v17
	v_add_u32_e32 v12, 0x2168, v141
	v_dot4c_i32_i8_e32 v167, v13, v9
	ds_read2_b32 v[12:13], v12 offset1:1
	s_waitcnt lgkmcnt(3)
	v_dot4c_i32_i8_e32 v167, v14, v18
	v_dot4c_i32_i8_e32 v167, v15, v10
	s_waitcnt lgkmcnt(1)
	v_dot4c_i32_i8_e32 v167, v118, v19
	v_add_u32_e32 v14, 0x2170, v141
	v_add_u32_e32 v118, 0x2178, v141
	;; [unrolled: 1-line block ×3, first 2 shown]
	v_dot4c_i32_i8_e32 v167, v119, v11
	v_dot4c_i32_i8_e32 v168, v157, v8
	ds_read2_b32 v[14:15], v14 offset1:1
	ds_read2_b32 v[118:119], v118 offset1:1
	;; [unrolled: 1-line block ×3, first 2 shown]
	s_waitcnt lgkmcnt(3)
	v_dot4c_i32_i8_e32 v168, v12, v17
	v_dot4c_i32_i8_e32 v168, v13, v9
	s_waitcnt lgkmcnt(2)
	v_dot4c_i32_i8_e32 v168, v14, v18
	v_dot4c_i32_i8_e32 v168, v15, v10
	v_cvt_f32_i32_e32 v15, v109
	v_cvt_f32_i32_e32 v14, v108
	;; [unrolled: 1-line block ×4, first 2 shown]
	v_mov_b32_e32 v12, v110
	v_mov_b32_e32 v13, v114
	v_pk_mul_f32 v[12:13], v[2:3], v[12:13] op_sel_hi:[0,1]
	v_mov_b32_e32 v114, v111
	v_pk_fma_f32 v[12:13], v[12:13], v[14:15], v[102:103]
	v_pk_mul_f32 v[14:15], v[2:3], v[114:115] op_sel:[1,0]
	s_waitcnt lgkmcnt(1)
	v_dot4c_i32_i8_e32 v168, v118, v19
	v_pk_fma_f32 v[12:13], v[14:15], v[108:109], v[12:13]
	v_cvt_f32_i32_e32 v15, v164
	v_cvt_f32_i32_e32 v14, v163
	v_mov_b32_e32 v102, v116
	v_mov_b32_e32 v103, v112
	v_dot4c_i32_i8_e32 v168, v119, v11
	v_pk_mul_f32 v[102:103], v[4:5], v[102:103] op_sel_hi:[0,1]
	v_pk_fma_f32 v[12:13], v[102:103], v[14:15], v[12:13]
	v_cvt_f32_i32_e32 v14, v167
	v_cvt_f32_i32_e32 v15, v168
	v_mov_b32_e32 v108, v5
	v_mov_b32_e32 v112, v117
	v_pk_mul_f32 v[102:103], v[108:109], v[112:113] op_sel_hi:[0,1]
	v_add_u32_e32 v5, 0x41e8, v141
	v_pk_fma_f32 v[102:103], v[102:103], v[14:15], v[12:13]
	ds_read2_b32 v[12:13], v5 offset1:1
	v_mov_b32_e32 v109, 0
	s_waitcnt lgkmcnt(1)
	v_dot4c_i32_i8_e32 v109, v156, v16
	v_add_u32_e32 v14, 0x41f0, v141
	v_add_u32_e32 v110, 0x41f8, v141
	v_dot4c_i32_i8_e32 v109, v157, v8
	v_add_u32_e32 v5, 0x6260, v141
	ds_read2_b32 v[14:15], v14 offset1:1
	ds_read2_b32 v[110:111], v110 offset1:1
	;; [unrolled: 1-line block ×3, first 2 shown]
	s_waitcnt lgkmcnt(3)
	v_dot4c_i32_i8_e32 v109, v12, v17
	v_add_u32_e32 v5, 0x6268, v141
	v_dot4c_i32_i8_e32 v109, v13, v9
	ds_read2_b32 v[12:13], v5 offset1:1
	s_waitcnt lgkmcnt(3)
	v_dot4c_i32_i8_e32 v109, v14, v18
	v_add_u32_e32 v5, 0x6270, v141
	v_dot4c_i32_i8_e32 v109, v15, v10
	v_mov_b32_e32 v114, 0
	ds_read2_b32 v[14:15], v5 offset1:1
	s_waitcnt lgkmcnt(3)
	v_dot4c_i32_i8_e32 v109, v110, v19
	s_waitcnt lgkmcnt(2)
	v_dot4c_i32_i8_e32 v114, v112, v16
	v_add_u32_e32 v5, 0x6278, v141
	v_dot4c_i32_i8_e32 v109, v111, v11
	v_dot4c_i32_i8_e32 v114, v113, v8
	ds_read2_b32 v[110:111], v5 offset1:1
	s_waitcnt lgkmcnt(2)
	v_dot4c_i32_i8_e32 v114, v12, v17
	v_dot4c_i32_i8_e32 v114, v13, v9
	s_waitcnt lgkmcnt(1)
	v_dot4c_i32_i8_e32 v114, v14, v18
	v_dot4c_i32_i8_e32 v114, v15, v10
	s_waitcnt lgkmcnt(0)
	v_dot4c_i32_i8_e32 v114, v110, v19
	v_dot4c_i32_i8_e32 v114, v111, v11
	v_cvt_f32_i32_e32 v11, v158
	v_cvt_f32_i32_e32 v10, v153
	;; [unrolled: 1-line block ×4, first 2 shown]
	v_mov_b32_e32 v8, v6
	v_mov_b32_e32 v9, v20
	v_pk_mul_f32 v[8:9], v[2:3], v[8:9] op_sel_hi:[0,1]
	v_mov_b32_e32 v20, v7
	v_pk_fma_f32 v[8:9], v[8:9], v[10:11], v[104:105]
	v_pk_mul_f32 v[2:3], v[2:3], v[20:21] op_sel:[1,0]
	v_mov_b32_e32 v6, v154
	v_pk_fma_f32 v[2:3], v[2:3], v[12:13], v[8:9]
	v_mov_b32_e32 v7, v106
	v_cvt_f32_i32_e32 v9, v166
	v_cvt_f32_i32_e32 v8, v165
	v_pk_mul_f32 v[4:5], v[4:5], v[6:7] op_sel_hi:[0,1]
	v_cvt_f32_i32_e32 v7, v114
	v_cvt_f32_i32_e32 v6, v109
	v_mov_b32_e32 v106, v155
	v_pk_fma_f32 v[2:3], v[4:5], v[8:9], v[2:3]
	v_pk_mul_f32 v[4:5], v[108:109], v[106:107] op_sel_hi:[0,1]
	v_pk_fma_f32 v[104:105], v[4:5], v[6:7], v[2:3]
	s_barrier
.LBB201_5:                              ;   in Loop: Header=BB201_6 Depth=1
	s_add_i32 s18, s18, 8
	s_addk_i32 s14, 0x100
	v_lshl_add_u64 v[28:29], v[28:29], 0, s[8:9]
	v_lshl_add_u64 v[30:31], v[30:31], 0, s[20:21]
	v_lshl_add_u64 v[32:33], v[32:33], 0, s[20:21]
	v_lshl_add_u64 v[34:35], v[34:35], 0, s[20:21]
	v_lshl_add_u64 v[36:37], v[36:37], 0, s[20:21]
	v_lshl_add_u64 v[38:39], v[38:39], 0, s[20:21]
	v_lshl_add_u64 v[40:41], v[40:41], 0, s[20:21]
	v_lshl_add_u64 v[42:43], v[42:43], 0, s[20:21]
	v_lshl_add_u64 v[44:45], v[44:45], 0, s[20:21]
	v_lshl_add_u64 v[46:47], v[46:47], 0, s[20:21]
	v_lshl_add_u64 v[48:49], v[48:49], 0, s[20:21]
	v_lshl_add_u64 v[50:51], v[50:51], 0, s[20:21]
	v_lshl_add_u64 v[52:53], v[52:53], 0, s[20:21]
	v_lshl_add_u64 v[54:55], v[54:55], 0, s[20:21]
	v_lshl_add_u64 v[56:57], v[56:57], 0, s[20:21]
	v_lshl_add_u64 v[58:59], v[58:59], 0, s[20:21]
	v_lshl_add_u64 v[60:61], v[60:61], 0, s[20:21]
	v_lshl_add_u64 v[62:63], v[62:63], 0, s[20:21]
	v_lshl_add_u64 v[64:65], v[64:65], 0, s[20:21]
	v_lshl_add_u64 v[66:67], v[66:67], 0, s[20:21]
	v_lshl_add_u64 v[68:69], v[68:69], 0, s[20:21]
	v_lshl_add_u64 v[70:71], v[70:71], 0, s[20:21]
	v_lshl_add_u64 v[72:73], v[72:73], 0, s[20:21]
	v_lshl_add_u64 v[74:75], v[74:75], 0, s[20:21]
	v_lshl_add_u64 v[76:77], v[76:77], 0, s[20:21]
	v_lshl_add_u64 v[78:79], v[78:79], 0, s[20:21]
	v_lshl_add_u64 v[80:81], v[80:81], 0, s[20:21]
	v_lshl_add_u64 v[82:83], v[82:83], 0, s[20:21]
	v_lshl_add_u64 v[84:85], v[84:85], 0, s[20:21]
	v_lshl_add_u64 v[86:87], v[86:87], 0, s[20:21]
	v_lshl_add_u64 v[88:89], v[88:89], 0, s[20:21]
	v_lshl_add_u64 v[90:91], v[90:91], 0, s[20:21]
	v_lshl_add_u64 v[92:93], v[92:93], 0, s[20:21]
	v_lshl_add_u64 v[94:95], v[94:95], 0, s[20:21]
	v_lshl_add_u64 v[96:97], v[96:97], 0, s[20:21]
	v_lshl_add_u64 v[98:99], v[98:99], 0, s[20:21]
	s_cmp_ge_i32 s18, s25
	v_lshl_add_u64 v[100:101], v[100:101], 0, s[20:21]
	s_cbranch_scc1 .LBB201_20
.LBB201_6:                              ; =>This Inner Loop Header: Depth=1
	v_lshl_add_u64 v[2:3], v[30:31], 0, s[16:17]
	global_load_dword v10, v[2:3], off offset:6
	v_lshl_add_u64 v[2:3], v[32:33], 0, s[16:17]
	global_load_dword v11, v[2:3], off offset:2
	v_lshl_add_u64 v[4:5], v[36:37], 0, s[16:17]
	v_lshl_add_u64 v[2:3], v[34:35], 0, s[16:17]
	global_load_dword v12, v[4:5], off
	global_load_dword v13, v[2:3], off offset:6
	v_lshl_add_u64 v[2:3], v[38:39], 0, s[16:17]
	v_lshl_add_u64 v[6:7], v[42:43], 0, s[16:17]
	;; [unrolled: 1-line block ×4, first 2 shown]
	global_load_dword v14, v[2:3], off offset:6
	s_nop 0
	global_load_dword v2, v[4:5], off
	s_nop 0
	global_load_dword v6, v[6:7], off offset:6
	s_nop 0
	global_load_dword v7, v[8:9], off
	s_add_i32 s2, s14, 0xffffff80
	s_cmp_lt_i32 s2, s15
	s_waitcnt vmcnt(7)
	v_and_b32_e32 v4, 0xf0f0f0f, v10
	v_lshrrev_b32_e32 v5, 4, v10
	s_waitcnt vmcnt(6)
	v_ashrrev_i32_e32 v3, v24, v11
	v_lshlrev_b32_e32 v11, 4, v3
	s_waitcnt vmcnt(5)
	v_ashrrev_i32_e32 v8, v24, v12
	s_waitcnt vmcnt(4)
	v_and_b32_e32 v9, 0xf0f0f0f, v13
	v_lshrrev_b32_e32 v10, 4, v13
	v_lshlrev_b32_e32 v12, 11, v3
	v_lshlrev_b32_e32 v13, 18, v3
	;; [unrolled: 1-line block ×3, first 2 shown]
	v_lshrrev_b32_e32 v16, 12, v3
	v_lshrrev_b32_e32 v17, 5, v3
	v_lshlrev_b32_e32 v18, 2, v3
	v_lshlrev_b32_e32 v3, 9, v3
	;; [unrolled: 1-line block ×6, first 2 shown]
	v_and_b32_e32 v11, 16, v11
	v_and_b32_e32 v12, 0x1000, v12
	;; [unrolled: 1-line block ×13, first 2 shown]
	v_or3_b32 v11, v11, v4, v12
	v_or3_b32 v4, v4, v13, v15
	;; [unrolled: 1-line block ×5, first 2 shown]
	v_and_b32_e32 v15, 0x1f00, v11
	v_lshlrev_b16_e32 v11, 8, v11
	v_and_b32_sdwa v16, v4, s19 dst_sel:DWORD dst_unused:UNUSED_PAD src0_sel:WORD_1 src1_sel:DWORD
	v_lshlrev_b16_sdwa v4, v152, v4 dst_sel:DWORD dst_unused:UNUSED_PAD src0_sel:DWORD src1_sel:WORD_1
	v_or3_b32 v3, v12, v3, v5
	v_and_b32_e32 v5, 0x1f00, v13
	v_lshlrev_b16_e32 v12, 8, v13
	v_and_b32_sdwa v13, v9, s19 dst_sel:DWORD dst_unused:UNUSED_PAD src0_sel:WORD_1 src1_sel:DWORD
	v_lshlrev_b16_sdwa v9, v152, v9 dst_sel:DWORD dst_unused:UNUSED_PAD src0_sel:DWORD src1_sel:WORD_1
	v_add_u16_e32 v11, 0xf000, v11
	v_add_u16_e32 v4, 0xf000, v4
	v_lshlrev_b16_e32 v18, 8, v3
	v_and_b32_sdwa v19, v3, s27 dst_sel:DWORD dst_unused:UNUSED_PAD src0_sel:WORD_1 src1_sel:DWORD
	v_and_b32_e32 v17, 0x1f00, v3
	v_lshlrev_b16_sdwa v3, v152, v3 dst_sel:DWORD dst_unused:UNUSED_PAD src0_sel:DWORD src1_sel:WORD_1
	v_add_u16_e32 v12, 0xf000, v12
	v_add_u16_e32 v9, 0xf000, v9
	v_or_b32_sdwa v11, v15, v11 dst_sel:DWORD dst_unused:UNUSED_PAD src0_sel:DWORD src1_sel:BYTE_1
	v_or_b32_sdwa v4, v16, v4 dst_sel:DWORD dst_unused:UNUSED_PAD src0_sel:DWORD src1_sel:BYTE_1
	v_add_i16 v15, v18, s26 clamp
	v_add_i16 v16, v19, s26 clamp
	;; [unrolled: 1-line block ×3, first 2 shown]
	v_or_b32_sdwa v5, v5, v12 dst_sel:DWORD dst_unused:UNUSED_PAD src0_sel:DWORD src1_sel:BYTE_1
	v_or_b32_sdwa v9, v13, v9 dst_sel:DWORD dst_unused:UNUSED_PAD src0_sel:DWORD src1_sel:BYTE_1
	v_add_u16_e32 v11, 0xf000, v11
	v_add_u16_sdwa v4, v4, s26 dst_sel:WORD_1 dst_unused:UNUSED_PAD src0_sel:DWORD src1_sel:DWORD
	v_or_b32_sdwa v12, v17, v15 dst_sel:DWORD dst_unused:UNUSED_PAD src0_sel:DWORD src1_sel:BYTE_1
	v_and_b32_e32 v13, 0xffffff00, v16
	v_or_b32_e32 v4, v11, v4
	v_add_u16_e32 v11, 0xf000, v12
	v_or_b32_sdwa v3, v3, v13 dst_sel:WORD_1 dst_unused:UNUSED_PAD src0_sel:BYTE_1 src1_sel:DWORD
	v_lshrrev_b32_e32 v107, 12, v8
	v_or_b32_e32 v3, v11, v3
	v_lshrrev_b32_e32 v108, 5, v8
	ds_write2_b32 v120, v4, v3 offset1:1
	v_lshlrev_b32_e32 v4, 2, v8
	v_and_b32_e32 v107, 16, v107
	v_and_b32_e32 v3, 0x1000, v108
	;; [unrolled: 1-line block ×3, first 2 shown]
	v_lshlrev_b32_e32 v8, 9, v8
	v_and_b32_e32 v10, 0xf0f0f0f, v10
	v_and_b32_e32 v8, 0x10000000, v8
	v_or3_b32 v3, v3, v107, v4
	v_or3_b32 v3, v3, v8, v10
	v_lshlrev_b16_e32 v8, 8, v3
	v_and_b32_e32 v4, 0x1f00, v3
	v_add_i16 v8, v8, s26 clamp
	v_or_b32_sdwa v4, v4, v8 dst_sel:DWORD dst_unused:UNUSED_PAD src0_sel:DWORD src1_sel:BYTE_1
	v_and_b32_sdwa v8, v3, s27 dst_sel:DWORD dst_unused:UNUSED_PAD src0_sel:WORD_1 src1_sel:DWORD
	v_add_i16 v8, v8, s26 clamp
	v_lshlrev_b16_sdwa v3, v152, v3 dst_sel:DWORD dst_unused:UNUSED_PAD src0_sel:DWORD src1_sel:WORD_1
	v_and_b32_e32 v8, 0xffffff00, v8
	v_add_i16 v3, v3, s26 clamp
	v_add_u16_e32 v5, 0xf000, v5
	v_add_u16_sdwa v9, v9, s26 dst_sel:WORD_1 dst_unused:UNUSED_PAD src0_sel:DWORD src1_sel:DWORD
	v_add_u16_e32 v4, 0xf000, v4
	v_or_b32_sdwa v3, v3, v8 dst_sel:WORD_1 dst_unused:UNUSED_PAD src0_sel:BYTE_1 src1_sel:DWORD
	v_or_b32_e32 v5, v5, v9
	v_or_b32_e32 v3, v4, v3
	s_waitcnt vmcnt(2)
	v_ashrrev_i32_e32 v8, v24, v2
	ds_write2_b32 v121, v5, v3 offset1:1
	v_lshlrev_b32_e32 v3, 4, v8
	v_lshlrev_b32_e32 v4, 11, v8
	v_and_b32_e32 v2, 0xf0f0f0f, v14
	v_and_b32_e32 v3, 16, v3
	;; [unrolled: 1-line block ×3, first 2 shown]
	v_or3_b32 v3, v3, v2, v4
	v_lshlrev_b32_e32 v4, 18, v8
	v_lshlrev_b32_e32 v5, 25, v8
	v_and_b32_e32 v4, 0x100000, v4
	v_and_b32_e32 v5, 0x10000000, v5
	v_or3_b32 v2, v2, v4, v5
	v_and_b32_e32 v4, 0x1f00, v3
	v_lshlrev_b16_e32 v3, 8, v3
	v_add_u16_e32 v3, 0xf000, v3
	v_or_b32_sdwa v3, v4, v3 dst_sel:DWORD dst_unused:UNUSED_PAD src0_sel:DWORD src1_sel:BYTE_1
	v_add_u16_e32 v9, 0xf000, v3
	v_and_b32_sdwa v3, v2, s19 dst_sel:DWORD dst_unused:UNUSED_PAD src0_sel:WORD_1 src1_sel:DWORD
	v_lshlrev_b16_sdwa v2, v152, v2 dst_sel:DWORD dst_unused:UNUSED_PAD src0_sel:DWORD src1_sel:WORD_1
	v_add_u16_e32 v2, 0xf000, v2
	v_or_b32_sdwa v2, v3, v2 dst_sel:DWORD dst_unused:UNUSED_PAD src0_sel:DWORD src1_sel:BYTE_1
	v_lshl_add_u64 v[4:5], v[48:49], 0, s[16:17]
	v_add_u16_sdwa v10, v2, s26 dst_sel:WORD_1 dst_unused:UNUSED_PAD src0_sel:DWORD src1_sel:DWORD
	v_lshl_add_u64 v[2:3], v[46:47], 0, s[16:17]
	global_load_dword v11, v[4:5], off
	global_load_dword v12, v[2:3], off offset:6
	v_or_b32_e32 v2, v9, v10
	v_lshrrev_b32_e32 v4, 12, v8
	v_lshrrev_b32_e32 v5, 5, v8
	v_lshlrev_b32_e32 v9, 2, v8
	v_lshrrev_b32_e32 v3, 4, v14
	v_and_b32_e32 v4, 16, v4
	v_and_b32_e32 v5, 0x1000, v5
	;; [unrolled: 1-line block ×3, first 2 shown]
	v_lshlrev_b32_e32 v8, 9, v8
	v_and_b32_e32 v3, 0xf0f0f0f, v3
	v_and_b32_e32 v8, 0x10000000, v8
	v_or3_b32 v4, v5, v4, v9
	v_or3_b32 v3, v4, v8, v3
	v_lshlrev_b16_e32 v5, 8, v3
	v_and_b32_e32 v4, 0x1f00, v3
	v_add_i16 v5, v5, s26 clamp
	v_or_b32_sdwa v4, v4, v5 dst_sel:DWORD dst_unused:UNUSED_PAD src0_sel:DWORD src1_sel:BYTE_1
	v_and_b32_sdwa v5, v3, s27 dst_sel:DWORD dst_unused:UNUSED_PAD src0_sel:WORD_1 src1_sel:DWORD
	v_add_i16 v5, v5, s26 clamp
	v_lshlrev_b16_sdwa v3, v152, v3 dst_sel:DWORD dst_unused:UNUSED_PAD src0_sel:DWORD src1_sel:WORD_1
	v_and_b32_e32 v5, 0xffffff00, v5
	v_add_i16 v3, v3, s26 clamp
	v_add_u16_e32 v4, 0xf000, v4
	v_or_b32_sdwa v3, v3, v5 dst_sel:WORD_1 dst_unused:UNUSED_PAD src0_sel:BYTE_1 src1_sel:DWORD
	s_waitcnt vmcnt(2)
	v_ashrrev_i32_e32 v7, v24, v7
	v_or_b32_e32 v3, v4, v3
	ds_write2_b32 v122, v2, v3 offset1:1
	v_lshlrev_b32_e32 v3, 4, v7
	v_lshlrev_b32_e32 v4, 11, v7
	v_and_b32_e32 v2, 0xf0f0f0f, v6
	v_and_b32_e32 v3, 16, v3
	;; [unrolled: 1-line block ×3, first 2 shown]
	v_or3_b32 v3, v3, v2, v4
	v_lshlrev_b32_e32 v4, 18, v7
	v_lshlrev_b32_e32 v5, 25, v7
	v_and_b32_e32 v4, 0x100000, v4
	v_and_b32_e32 v5, 0x10000000, v5
	v_or3_b32 v2, v2, v4, v5
	v_and_b32_e32 v4, 0x1f00, v3
	v_lshlrev_b16_e32 v3, 8, v3
	v_add_u16_e32 v3, 0xf000, v3
	v_or_b32_sdwa v3, v4, v3 dst_sel:DWORD dst_unused:UNUSED_PAD src0_sel:DWORD src1_sel:BYTE_1
	v_add_u16_e32 v8, 0xf000, v3
	v_and_b32_sdwa v3, v2, s19 dst_sel:DWORD dst_unused:UNUSED_PAD src0_sel:WORD_1 src1_sel:DWORD
	v_lshlrev_b16_sdwa v2, v152, v2 dst_sel:DWORD dst_unused:UNUSED_PAD src0_sel:DWORD src1_sel:WORD_1
	v_add_u16_e32 v2, 0xf000, v2
	v_or_b32_sdwa v2, v3, v2 dst_sel:DWORD dst_unused:UNUSED_PAD src0_sel:DWORD src1_sel:BYTE_1
	v_lshl_add_u64 v[4:5], v[52:53], 0, s[16:17]
	v_add_u16_sdwa v9, v2, s26 dst_sel:WORD_1 dst_unused:UNUSED_PAD src0_sel:DWORD src1_sel:DWORD
	v_lshl_add_u64 v[2:3], v[50:51], 0, s[16:17]
	global_load_dword v10, v[4:5], off
	global_load_dword v13, v[2:3], off offset:6
	v_lshrrev_b32_e32 v3, 4, v6
	v_lshrrev_b32_e32 v4, 12, v7
	;; [unrolled: 1-line block ×3, first 2 shown]
	v_lshlrev_b32_e32 v6, 2, v7
	v_and_b32_e32 v4, 16, v4
	v_and_b32_e32 v5, 0x1000, v5
	;; [unrolled: 1-line block ×3, first 2 shown]
	v_lshlrev_b32_e32 v7, 9, v7
	v_and_b32_e32 v3, 0xf0f0f0f, v3
	v_and_b32_e32 v7, 0x10000000, v7
	v_or3_b32 v4, v5, v4, v6
	v_or3_b32 v3, v4, v7, v3
	v_lshlrev_b16_e32 v5, 8, v3
	v_and_b32_e32 v4, 0x1f00, v3
	v_add_i16 v5, v5, s26 clamp
	v_or_b32_sdwa v4, v4, v5 dst_sel:DWORD dst_unused:UNUSED_PAD src0_sel:DWORD src1_sel:BYTE_1
	v_and_b32_sdwa v5, v3, s27 dst_sel:DWORD dst_unused:UNUSED_PAD src0_sel:WORD_1 src1_sel:DWORD
	v_add_i16 v5, v5, s26 clamp
	v_lshlrev_b16_sdwa v3, v152, v3 dst_sel:DWORD dst_unused:UNUSED_PAD src0_sel:DWORD src1_sel:WORD_1
	v_and_b32_e32 v5, 0xffffff00, v5
	v_add_i16 v3, v3, s26 clamp
	v_add_u16_e32 v4, 0xf000, v4
	v_or_b32_sdwa v3, v3, v5 dst_sel:WORD_1 dst_unused:UNUSED_PAD src0_sel:BYTE_1 src1_sel:DWORD
	v_or_b32_e32 v2, v8, v9
	v_or_b32_e32 v3, v4, v3
	ds_write2_b32 v123, v2, v3 offset1:1
	s_waitcnt vmcnt(3)
	v_ashrrev_i32_e32 v6, v24, v11
	v_lshlrev_b32_e32 v3, 4, v6
	v_lshlrev_b32_e32 v4, 11, v6
	s_waitcnt vmcnt(2)
	v_and_b32_e32 v2, 0xf0f0f0f, v12
	v_and_b32_e32 v3, 16, v3
	v_and_b32_e32 v4, 0x1000, v4
	v_or3_b32 v3, v3, v2, v4
	v_lshlrev_b32_e32 v4, 18, v6
	v_lshlrev_b32_e32 v5, 25, v6
	v_and_b32_e32 v4, 0x100000, v4
	v_and_b32_e32 v5, 0x10000000, v5
	v_or3_b32 v2, v2, v4, v5
	v_and_b32_e32 v4, 0x1f00, v3
	v_lshlrev_b16_e32 v3, 8, v3
	v_add_u16_e32 v3, 0xf000, v3
	v_or_b32_sdwa v3, v4, v3 dst_sel:DWORD dst_unused:UNUSED_PAD src0_sel:DWORD src1_sel:BYTE_1
	v_add_u16_e32 v7, 0xf000, v3
	v_and_b32_sdwa v3, v2, s19 dst_sel:DWORD dst_unused:UNUSED_PAD src0_sel:WORD_1 src1_sel:DWORD
	v_lshlrev_b16_sdwa v2, v152, v2 dst_sel:DWORD dst_unused:UNUSED_PAD src0_sel:DWORD src1_sel:WORD_1
	v_add_u16_e32 v2, 0xf000, v2
	v_or_b32_sdwa v2, v3, v2 dst_sel:DWORD dst_unused:UNUSED_PAD src0_sel:DWORD src1_sel:BYTE_1
	v_lshl_add_u64 v[4:5], v[56:57], 0, s[16:17]
	v_add_u16_sdwa v8, v2, s26 dst_sel:WORD_1 dst_unused:UNUSED_PAD src0_sel:DWORD src1_sel:DWORD
	v_lshl_add_u64 v[2:3], v[54:55], 0, s[16:17]
	global_load_dword v9, v[4:5], off
	global_load_dword v11, v[2:3], off offset:6
	v_or_b32_e32 v2, v7, v8
	v_lshrrev_b32_e32 v4, 12, v6
	v_lshrrev_b32_e32 v5, 5, v6
	v_lshlrev_b32_e32 v7, 2, v6
	v_lshrrev_b32_e32 v3, 4, v12
	v_and_b32_e32 v4, 16, v4
	v_and_b32_e32 v5, 0x1000, v5
	v_and_b32_e32 v7, 0x100000, v7
	v_lshlrev_b32_e32 v6, 9, v6
	v_and_b32_e32 v3, 0xf0f0f0f, v3
	v_and_b32_e32 v6, 0x10000000, v6
	v_or3_b32 v4, v5, v4, v7
	v_or3_b32 v3, v4, v6, v3
	v_lshlrev_b16_e32 v5, 8, v3
	v_and_b32_e32 v4, 0x1f00, v3
	v_add_i16 v5, v5, s26 clamp
	v_or_b32_sdwa v4, v4, v5 dst_sel:DWORD dst_unused:UNUSED_PAD src0_sel:DWORD src1_sel:BYTE_1
	v_and_b32_sdwa v5, v3, s27 dst_sel:DWORD dst_unused:UNUSED_PAD src0_sel:WORD_1 src1_sel:DWORD
	v_add_i16 v5, v5, s26 clamp
	v_lshlrev_b16_sdwa v3, v152, v3 dst_sel:DWORD dst_unused:UNUSED_PAD src0_sel:DWORD src1_sel:WORD_1
	v_and_b32_e32 v5, 0xffffff00, v5
	v_add_i16 v3, v3, s26 clamp
	v_add_u16_e32 v4, 0xf000, v4
	v_or_b32_sdwa v3, v3, v5 dst_sel:WORD_1 dst_unused:UNUSED_PAD src0_sel:BYTE_1 src1_sel:DWORD
	s_waitcnt vmcnt(3)
	v_ashrrev_i32_e32 v6, v24, v10
	v_or_b32_e32 v3, v4, v3
	ds_write2_b32 v124, v2, v3 offset1:1
	v_lshlrev_b32_e32 v3, 4, v6
	v_lshlrev_b32_e32 v4, 11, v6
	s_waitcnt vmcnt(2)
	v_and_b32_e32 v2, 0xf0f0f0f, v13
	v_and_b32_e32 v3, 16, v3
	v_and_b32_e32 v4, 0x1000, v4
	v_or3_b32 v3, v3, v2, v4
	v_lshlrev_b32_e32 v4, 18, v6
	v_lshlrev_b32_e32 v5, 25, v6
	v_and_b32_e32 v4, 0x100000, v4
	v_and_b32_e32 v5, 0x10000000, v5
	v_or3_b32 v2, v2, v4, v5
	v_and_b32_e32 v4, 0x1f00, v3
	v_lshlrev_b16_e32 v3, 8, v3
	v_add_u16_e32 v3, 0xf000, v3
	v_or_b32_sdwa v3, v4, v3 dst_sel:DWORD dst_unused:UNUSED_PAD src0_sel:DWORD src1_sel:BYTE_1
	v_add_u16_e32 v7, 0xf000, v3
	v_and_b32_sdwa v3, v2, s19 dst_sel:DWORD dst_unused:UNUSED_PAD src0_sel:WORD_1 src1_sel:DWORD
	v_lshlrev_b16_sdwa v2, v152, v2 dst_sel:DWORD dst_unused:UNUSED_PAD src0_sel:DWORD src1_sel:WORD_1
	v_add_u16_e32 v2, 0xf000, v2
	v_or_b32_sdwa v2, v3, v2 dst_sel:DWORD dst_unused:UNUSED_PAD src0_sel:DWORD src1_sel:BYTE_1
	v_lshl_add_u64 v[4:5], v[60:61], 0, s[16:17]
	v_add_u16_sdwa v8, v2, s26 dst_sel:WORD_1 dst_unused:UNUSED_PAD src0_sel:DWORD src1_sel:DWORD
	v_lshl_add_u64 v[2:3], v[58:59], 0, s[16:17]
	global_load_dword v10, v[4:5], off
	global_load_dword v12, v[2:3], off offset:6
	v_or_b32_e32 v2, v7, v8
	v_lshrrev_b32_e32 v4, 12, v6
	v_lshrrev_b32_e32 v5, 5, v6
	v_lshlrev_b32_e32 v7, 2, v6
	v_lshrrev_b32_e32 v3, 4, v13
	v_and_b32_e32 v4, 16, v4
	v_and_b32_e32 v5, 0x1000, v5
	v_and_b32_e32 v7, 0x100000, v7
	v_lshlrev_b32_e32 v6, 9, v6
	v_and_b32_e32 v3, 0xf0f0f0f, v3
	v_and_b32_e32 v6, 0x10000000, v6
	v_or3_b32 v4, v5, v4, v7
	v_or3_b32 v3, v4, v6, v3
	v_lshlrev_b16_e32 v5, 8, v3
	v_and_b32_e32 v4, 0x1f00, v3
	v_add_i16 v5, v5, s26 clamp
	v_or_b32_sdwa v4, v4, v5 dst_sel:DWORD dst_unused:UNUSED_PAD src0_sel:DWORD src1_sel:BYTE_1
	v_and_b32_sdwa v5, v3, s27 dst_sel:DWORD dst_unused:UNUSED_PAD src0_sel:WORD_1 src1_sel:DWORD
	v_add_i16 v5, v5, s26 clamp
	v_lshlrev_b16_sdwa v3, v152, v3 dst_sel:DWORD dst_unused:UNUSED_PAD src0_sel:DWORD src1_sel:WORD_1
	v_and_b32_e32 v5, 0xffffff00, v5
	v_add_i16 v3, v3, s26 clamp
	v_add_u16_e32 v4, 0xf000, v4
	v_or_b32_sdwa v3, v3, v5 dst_sel:WORD_1 dst_unused:UNUSED_PAD src0_sel:BYTE_1 src1_sel:DWORD
	s_waitcnt vmcnt(3)
	v_ashrrev_i32_e32 v6, v24, v9
	v_or_b32_e32 v3, v4, v3
	ds_write2_b32 v125, v2, v3 offset1:1
	;; [unrolled: 54-line block ×9, first 2 shown]
	v_lshlrev_b32_e32 v3, 4, v6
	v_lshlrev_b32_e32 v4, 11, v6
	s_waitcnt vmcnt(2)
	v_and_b32_e32 v2, 0xf0f0f0f, v12
	v_and_b32_e32 v3, 16, v3
	;; [unrolled: 1-line block ×3, first 2 shown]
	v_or3_b32 v3, v3, v2, v4
	v_lshlrev_b32_e32 v4, 18, v6
	v_lshlrev_b32_e32 v5, 25, v6
	v_and_b32_e32 v4, 0x100000, v4
	v_and_b32_e32 v5, 0x10000000, v5
	v_or3_b32 v2, v2, v4, v5
	v_and_b32_e32 v4, 0x1f00, v3
	v_lshlrev_b16_e32 v3, 8, v3
	v_add_u16_e32 v3, 0xf000, v3
	v_or_b32_sdwa v3, v4, v3 dst_sel:DWORD dst_unused:UNUSED_PAD src0_sel:DWORD src1_sel:BYTE_1
	v_and_b32_sdwa v4, v2, s19 dst_sel:DWORD dst_unused:UNUSED_PAD src0_sel:WORD_1 src1_sel:DWORD
	v_lshlrev_b16_sdwa v2, v152, v2 dst_sel:DWORD dst_unused:UNUSED_PAD src0_sel:DWORD src1_sel:WORD_1
	v_add_u16_e32 v2, 0xf000, v2
	v_or_b32_sdwa v2, v4, v2 dst_sel:DWORD dst_unused:UNUSED_PAD src0_sel:DWORD src1_sel:BYTE_1
	v_add_u16_e32 v3, 0xf000, v3
	v_add_u16_sdwa v2, v2, s26 dst_sel:WORD_1 dst_unused:UNUSED_PAD src0_sel:DWORD src1_sel:DWORD
	v_lshrrev_b32_e32 v10, 12, v6
	v_or_b32_e32 v7, v3, v2
	v_lshrrev_b32_e32 v2, 4, v12
	v_and_b32_e32 v8, 0xf0f0f0f, v2
	v_lshl_add_u64 v[2:3], v[90:91], 0, s[16:17]
	v_lshl_add_u64 v[4:5], v[92:93], 0, s[16:17]
	global_load_dword v4, v[4:5], off
	s_nop 0
	global_load_dword v5, v[2:3], off offset:6
	v_and_b32_e32 v2, 16, v10
	v_lshrrev_b32_e32 v3, 5, v6
	v_lshlrev_b32_e32 v10, 2, v6
	v_and_b32_e32 v3, 0x1000, v3
	v_and_b32_e32 v10, 0x100000, v10
	v_lshlrev_b32_e32 v6, 9, v6
	v_and_b32_e32 v6, 0x10000000, v6
	v_or3_b32 v2, v3, v2, v10
	v_or3_b32 v2, v2, v6, v8
	v_lshlrev_b16_e32 v6, 8, v2
	v_and_b32_e32 v3, 0x1f00, v2
	v_add_i16 v6, v6, s26 clamp
	v_or_b32_sdwa v3, v3, v6 dst_sel:DWORD dst_unused:UNUSED_PAD src0_sel:DWORD src1_sel:BYTE_1
	v_and_b32_sdwa v6, v2, s27 dst_sel:DWORD dst_unused:UNUSED_PAD src0_sel:WORD_1 src1_sel:DWORD
	v_add_i16 v6, v6, s26 clamp
	v_lshlrev_b16_sdwa v2, v152, v2 dst_sel:DWORD dst_unused:UNUSED_PAD src0_sel:DWORD src1_sel:WORD_1
	v_and_b32_e32 v6, 0xffffff00, v6
	v_add_i16 v2, v2, s26 clamp
	v_add_u16_e32 v3, 0xf000, v3
	v_or_b32_sdwa v2, v2, v6 dst_sel:WORD_1 dst_unused:UNUSED_PAD src0_sel:BYTE_1 src1_sel:DWORD
	s_waitcnt vmcnt(3)
	v_ashrrev_i32_e32 v6, v24, v9
	v_or_b32_e32 v2, v3, v2
	ds_write2_b32 v133, v7, v2 offset1:1
	v_lshlrev_b32_e32 v3, 4, v6
	v_lshlrev_b32_e32 v7, 11, v6
	s_waitcnt vmcnt(2)
	v_and_b32_e32 v2, 0xf0f0f0f, v13
	v_and_b32_e32 v3, 16, v3
	v_and_b32_e32 v7, 0x1000, v7
	v_or3_b32 v3, v3, v2, v7
	v_lshlrev_b32_e32 v7, 18, v6
	v_lshlrev_b32_e32 v8, 25, v6
	v_and_b32_e32 v7, 0x100000, v7
	v_and_b32_e32 v8, 0x10000000, v8
	v_or3_b32 v2, v2, v7, v8
	v_and_b32_e32 v7, 0x1f00, v3
	v_lshlrev_b16_e32 v3, 8, v3
	v_add_u16_e32 v3, 0xf000, v3
	v_or_b32_sdwa v3, v7, v3 dst_sel:DWORD dst_unused:UNUSED_PAD src0_sel:DWORD src1_sel:BYTE_1
	v_add_u16_e32 v7, 0xf000, v3
	v_and_b32_sdwa v3, v2, s19 dst_sel:DWORD dst_unused:UNUSED_PAD src0_sel:WORD_1 src1_sel:DWORD
	v_lshlrev_b16_sdwa v2, v152, v2 dst_sel:DWORD dst_unused:UNUSED_PAD src0_sel:DWORD src1_sel:WORD_1
	v_add_u16_e32 v2, 0xf000, v2
	v_or_b32_sdwa v8, v3, v2 dst_sel:DWORD dst_unused:UNUSED_PAD src0_sel:DWORD src1_sel:BYTE_1
	v_lshl_add_u64 v[2:3], v[94:95], 0, s[16:17]
	global_load_ushort v9, v[2:3], off
	v_lshl_add_u64 v[2:3], v[96:97], 0, s[16:17]
	global_load_ushort v10, v[2:3], off
	;; [unrolled: 2-line block ×4, first 2 shown]
	v_add_u16_sdwa v8, v8, s26 dst_sel:WORD_1 dst_unused:UNUSED_PAD src0_sel:DWORD src1_sel:DWORD
	v_lshrrev_b32_e32 v12, 5, v6
	v_or_b32_e32 v3, v7, v8
	v_lshrrev_b32_e32 v7, 4, v13
	v_lshrrev_b32_e32 v8, 12, v6
	v_lshlrev_b32_e32 v13, 2, v6
	v_and_b32_e32 v8, 16, v8
	v_and_b32_e32 v12, 0x1000, v12
	;; [unrolled: 1-line block ×3, first 2 shown]
	v_lshlrev_b32_e32 v6, 9, v6
	v_and_b32_e32 v7, 0xf0f0f0f, v7
	v_and_b32_e32 v6, 0x10000000, v6
	v_or3_b32 v8, v12, v8, v13
	v_or3_b32 v6, v8, v6, v7
	v_lshlrev_b16_e32 v8, 8, v6
	v_and_b32_e32 v7, 0x1f00, v6
	v_add_i16 v8, v8, s26 clamp
	v_or_b32_sdwa v7, v7, v8 dst_sel:DWORD dst_unused:UNUSED_PAD src0_sel:DWORD src1_sel:BYTE_1
	v_and_b32_sdwa v8, v6, s27 dst_sel:DWORD dst_unused:UNUSED_PAD src0_sel:WORD_1 src1_sel:DWORD
	v_add_i16 v8, v8, s26 clamp
	v_lshlrev_b16_sdwa v6, v152, v6 dst_sel:DWORD dst_unused:UNUSED_PAD src0_sel:DWORD src1_sel:WORD_1
	v_and_b32_e32 v8, 0xffffff00, v8
	v_add_i16 v6, v6, s26 clamp
	v_add_u16_e32 v7, 0xf000, v7
	v_or_b32_sdwa v6, v6, v8 dst_sel:WORD_1 dst_unused:UNUSED_PAD src0_sel:BYTE_1 src1_sel:DWORD
	s_waitcnt vmcnt(0)
	v_cvt_f32_f16_e32 v2, v2
	v_or_b32_e32 v6, v7, v6
	ds_write2_b32 v134, v3, v6 offset1:1
	v_ashrrev_i32_e32 v3, v24, v4
	v_lshlrev_b32_e32 v6, 4, v3
	v_lshlrev_b32_e32 v7, 11, v3
	v_and_b32_e32 v4, 0xf0f0f0f, v5
	v_and_b32_e32 v6, 16, v6
	;; [unrolled: 1-line block ×3, first 2 shown]
	v_or3_b32 v6, v6, v4, v7
	v_lshlrev_b32_e32 v7, 18, v3
	v_lshlrev_b32_e32 v8, 25, v3
	v_and_b32_e32 v7, 0x100000, v7
	v_and_b32_e32 v8, 0x10000000, v8
	v_or3_b32 v4, v4, v7, v8
	v_and_b32_e32 v7, 0x1f00, v6
	v_lshlrev_b16_e32 v6, 8, v6
	v_add_u16_e32 v6, 0xf000, v6
	v_or_b32_sdwa v6, v7, v6 dst_sel:DWORD dst_unused:UNUSED_PAD src0_sel:DWORD src1_sel:BYTE_1
	v_and_b32_sdwa v7, v4, s19 dst_sel:DWORD dst_unused:UNUSED_PAD src0_sel:WORD_1 src1_sel:DWORD
	v_lshlrev_b16_sdwa v4, v152, v4 dst_sel:DWORD dst_unused:UNUSED_PAD src0_sel:DWORD src1_sel:WORD_1
	v_add_u16_e32 v4, 0xf000, v4
	v_or_b32_sdwa v4, v7, v4 dst_sel:DWORD dst_unused:UNUSED_PAD src0_sel:DWORD src1_sel:BYTE_1
	v_add_u16_e32 v6, 0xf000, v6
	v_add_u16_sdwa v4, v4, s26 dst_sel:WORD_1 dst_unused:UNUSED_PAD src0_sel:DWORD src1_sel:DWORD
	v_lshrrev_b32_e32 v7, 5, v3
	v_or_b32_e32 v4, v6, v4
	v_lshrrev_b32_e32 v6, 12, v3
	v_lshlrev_b32_e32 v8, 2, v3
	v_lshrrev_b32_e32 v5, 4, v5
	v_and_b32_e32 v6, 16, v6
	v_and_b32_e32 v7, 0x1000, v7
	;; [unrolled: 1-line block ×3, first 2 shown]
	v_lshlrev_b32_e32 v3, 9, v3
	v_and_b32_e32 v5, 0xf0f0f0f, v5
	v_and_b32_e32 v3, 0x10000000, v3
	v_or3_b32 v6, v7, v6, v8
	v_or3_b32 v3, v6, v3, v5
	v_lshlrev_b16_e32 v6, 8, v3
	v_and_b32_e32 v5, 0x1f00, v3
	v_add_i16 v6, v6, s26 clamp
	v_or_b32_sdwa v5, v5, v6 dst_sel:DWORD dst_unused:UNUSED_PAD src0_sel:DWORD src1_sel:BYTE_1
	v_and_b32_sdwa v6, v3, s27 dst_sel:DWORD dst_unused:UNUSED_PAD src0_sel:WORD_1 src1_sel:DWORD
	v_add_i16 v6, v6, s26 clamp
	v_lshlrev_b16_sdwa v3, v152, v3 dst_sel:DWORD dst_unused:UNUSED_PAD src0_sel:DWORD src1_sel:WORD_1
	v_and_b32_e32 v6, 0xffffff00, v6
	v_add_i16 v3, v3, s26 clamp
	v_add_u16_e32 v5, 0xf000, v5
	v_or_b32_sdwa v3, v3, v6 dst_sel:WORD_1 dst_unused:UNUSED_PAD src0_sel:BYTE_1 src1_sel:DWORD
	v_cvt_f32_f16_e32 v6, v10
	v_or_b32_e32 v3, v5, v3
	v_cvt_f32_f16_e32 v5, v9
	ds_write2_b32 v135, v4, v3 offset1:1
	v_cvt_f32_f16_e32 v3, v11
	ds_write_b32 v25, v5
	ds_write_b32 v149, v6
	ds_write_b32 v150, v3
	ds_write_b32 v151, v2
	s_cbranch_scc0 .LBB201_5
; %bb.7:                                ;   in Loop: Header=BB201_6 Depth=1
	v_add_u32_e32 v2, s18, v136
	v_cmp_gt_i32_e64 s[2:3], s5, v2
	s_and_b64 s[22:23], s[0:1], s[2:3]
	s_and_saveexec_b64 s[2:3], s[22:23]
	s_cbranch_execz .LBB201_9
; %bb.8:                                ;   in Loop: Header=BB201_6 Depth=1
	v_add_u32_e32 v2, s18, v148
	v_mad_i64_i32 v[2:3], s[22:23], v2, 36, v[26:27]
	global_load_dword v2, v[2:3], off offset:4
	s_waitcnt vmcnt(0)
	ds_write_b32 v137, v2
.LBB201_9:                              ;   in Loop: Header=BB201_6 Depth=1
	s_or_b64 exec, exec, s[2:3]
	s_and_saveexec_b64 s[22:23], vcc
	s_cbranch_execz .LBB201_12
; %bb.10:                               ;   in Loop: Header=BB201_6 Depth=1
	v_add_u32_e32 v2, s18, v22
	v_cmp_gt_i32_e64 s[2:3], s5, v2
	s_and_b64 s[2:3], s[0:1], s[2:3]
	s_and_b64 exec, exec, s[2:3]
	s_cbranch_execz .LBB201_12
; %bb.11:                               ;   in Loop: Header=BB201_6 Depth=1
	v_add_u32_e32 v2, s18, v23
	v_mad_i64_i32 v[2:3], s[2:3], v2, 36, s[10:11]
	global_load_dword v2, v[2:3], off
	s_waitcnt vmcnt(0)
	v_cvt_f32_f16_e32 v2, v2
	ds_write_b32 v138, v2
.LBB201_12:                             ;   in Loop: Header=BB201_6 Depth=1
	s_or_b64 exec, exec, s[22:23]
	s_waitcnt lgkmcnt(0)
	s_barrier
	ds_read_b128 v[14:17], v139
	ds_read_b128 v[18:21], v139 offset:16
	ds_read_b128 v[2:5], v140
	ds_read2_b32 v[108:109], v141 offset1:1
	ds_read_b128 v[10:13], v139 offset:32
	ds_read_b128 v[6:9], v139 offset:48
	ds_read2_b32 v[106:107], v142 offset1:1
	ds_read2_b32 v[110:111], v141 offset0:2 offset1:3
	v_mov_b32_e32 v153, 0
	s_waitcnt lgkmcnt(4)
	v_dot4c_i32_i8_e32 v153, v108, v14
	v_dot4c_i32_i8_e32 v153, v109, v18
	ds_read2_b32 v[108:109], v141 offset0:4 offset1:5
	ds_read2_b32 v[112:113], v141 offset0:6 offset1:7
	;; [unrolled: 1-line block ×3, first 2 shown]
	s_waitcnt lgkmcnt(3)
	v_dot4c_i32_i8_e32 v153, v110, v15
	v_dot4c_i32_i8_e32 v153, v111, v19
	s_waitcnt lgkmcnt(2)
	v_dot4c_i32_i8_e32 v153, v108, v16
	v_add_u32_e32 v108, 0x2080, v141
	v_dot4c_i32_i8_e32 v153, v109, v20
	ds_read2_b32 v[116:117], v108 offset1:1
	s_waitcnt lgkmcnt(2)
	v_dot4c_i32_i8_e32 v153, v112, v17
	v_add_u32_e32 v112, 0x2088, v141
	v_dot4c_i32_i8_e32 v153, v113, v21
	ds_read2_b32 v[112:113], v112 offset1:1
	ds_read2_b32 v[110:111], v145 offset0:2 offset1:3
	v_mov_b32_e32 v158, 0
	s_waitcnt lgkmcnt(2)
	v_dot4c_i32_i8_e32 v158, v116, v14
	v_add_u32_e32 v116, 0x2090, v141
	v_add_u32_e32 v118, 0x2098, v141
	;; [unrolled: 1-line block ×3, first 2 shown]
	ds_read2_b32 v[108:109], v143 offset1:1
	v_dot4c_i32_i8_e32 v158, v117, v18
	ds_read2_b32 v[116:117], v116 offset1:1
	ds_read2_b32 v[118:119], v118 offset1:1
	;; [unrolled: 1-line block ×3, first 2 shown]
	s_waitcnt lgkmcnt(5)
	v_dot4c_i32_i8_e32 v158, v112, v15
	v_dot4c_i32_i8_e32 v158, v113, v19
	s_waitcnt lgkmcnt(2)
	v_dot4c_i32_i8_e32 v158, v116, v16
	v_dot4c_i32_i8_e32 v158, v117, v20
	s_waitcnt lgkmcnt(1)
	v_dot4c_i32_i8_e32 v158, v118, v17
	v_dot4c_i32_i8_e32 v158, v119, v21
	v_mov_b32_e32 v156, v106
	v_mov_b32_e32 v106, 0
	;; [unrolled: 1-line block ×3, first 2 shown]
	v_cvt_f32_i32_e32 v171, v158
	v_cvt_f32_i32_e32 v170, v153
	s_waitcnt lgkmcnt(0)
	v_dot4c_i32_i8_e32 v106, v154, v14
	v_add_u32_e32 v108, 0x4108, v141
	v_add_u32_e32 v153, 0x4110, v141
	;; [unrolled: 1-line block ×3, first 2 shown]
	ds_read2_b32 v[162:163], v141 offset0:26 offset1:27
	ds_read2_b32 v[164:165], v141 offset0:28 offset1:29
	ds_read2_b32 v[166:167], v141 offset0:30 offset1:31
	ds_read2_b32 v[112:113], v144 offset1:1
	ds_read2_b32 v[116:117], v143 offset0:2 offset1:3
	ds_read2_b32 v[118:119], v142 offset0:2 offset1:3
	v_pk_mul_f32 v[168:169], v[2:3], v[156:157] op_sel_hi:[0,1]
	v_dot4c_i32_i8_e32 v106, v155, v18
	ds_read2_b32 v[154:155], v108 offset1:1
	v_add_u32_e32 v108, 0x6180, v141
	ds_read2_b32 v[156:157], v153 offset1:1
	ds_read2_b32 v[158:159], v158 offset1:1
	;; [unrolled: 1-line block ×3, first 2 shown]
	v_mov_b32_e32 v108, 0
	v_add_u32_e32 v153, 0x6198, v141
	s_waitcnt lgkmcnt(3)
	v_dot4c_i32_i8_e32 v106, v154, v15
	v_dot4c_i32_i8_e32 v106, v155, v19
	s_waitcnt lgkmcnt(0)
	v_dot4c_i32_i8_e32 v108, v160, v14
	v_add_u32_e32 v14, 0x6188, v141
	ds_read2_b32 v[154:155], v14 offset1:1
	v_dot4c_i32_i8_e32 v106, v156, v16
	v_dot4c_i32_i8_e32 v106, v157, v20
	;; [unrolled: 1-line block ×4, first 2 shown]
	v_add_u32_e32 v18, 0x6190, v141
	s_waitcnt lgkmcnt(0)
	v_dot4c_i32_i8_e32 v108, v154, v15
	v_dot4c_i32_i8_e32 v106, v159, v21
	v_add_u32_e32 v14, 0x20a0, v141
	ds_read2_b32 v[156:157], v18 offset1:1
	ds_read2_b32 v[158:159], v153 offset1:1
	;; [unrolled: 1-line block ×3, first 2 shown]
	v_dot4c_i32_i8_e32 v108, v155, v19
	ds_read2_b32 v[18:19], v145 offset1:1
	ds_read2_b32 v[14:15], v144 offset0:2 offset1:3
	ds_read2_b32 v[154:155], v141 offset0:10 offset1:11
	s_waitcnt lgkmcnt(5)
	v_dot4c_i32_i8_e32 v108, v156, v16
	v_dot4c_i32_i8_e32 v108, v157, v20
	s_waitcnt lgkmcnt(4)
	v_dot4c_i32_i8_e32 v108, v158, v17
	s_waitcnt lgkmcnt(2)
	v_mov_b32_e32 v17, v18
	v_mov_b32_e32 v18, 0
	v_dot4c_i32_i8_e32 v18, v114, v10
	v_dot4c_i32_i8_e32 v108, v159, v21
	;; [unrolled: 1-line block ×3, first 2 shown]
	ds_read2_b32 v[114:115], v141 offset0:12 offset1:13
	ds_read2_b32 v[156:157], v141 offset0:14 offset1:15
	;; [unrolled: 1-line block ×3, first 2 shown]
	s_waitcnt lgkmcnt(3)
	v_dot4c_i32_i8_e32 v18, v154, v11
	v_dot4c_i32_i8_e32 v18, v155, v7
	v_cvt_f32_i32_e32 v21, v108
	s_waitcnt lgkmcnt(2)
	v_dot4c_i32_i8_e32 v18, v114, v12
	v_add_u32_e32 v108, 0x20a8, v141
	v_dot4c_i32_i8_e32 v18, v115, v8
	ds_read2_b32 v[114:115], v108 offset1:1
	v_cvt_f32_i32_e32 v20, v106
	v_mov_b32_e32 v106, 0
	v_mov_b32_e32 v16, v112
	s_waitcnt lgkmcnt(2)
	v_dot4c_i32_i8_e32 v18, v156, v13
	v_dot4c_i32_i8_e32 v106, v160, v10
	v_add_u32_e32 v112, 0x20b0, v141
	v_dot4c_i32_i8_e32 v18, v157, v9
	v_dot4c_i32_i8_e32 v106, v161, v6
	v_add_u32_e32 v153, 0x20b8, v141
	v_add_u32_e32 v108, 0x4120, v141
	ds_read2_b32 v[154:155], v112 offset1:1
	ds_read2_b32 v[156:157], v153 offset1:1
	;; [unrolled: 1-line block ×3, first 2 shown]
	s_waitcnt lgkmcnt(3)
	v_dot4c_i32_i8_e32 v106, v114, v11
	v_dot4c_i32_i8_e32 v106, v115, v7
	s_waitcnt lgkmcnt(2)
	v_dot4c_i32_i8_e32 v106, v154, v12
	v_dot4c_i32_i8_e32 v106, v155, v8
	v_mov_b32_e32 v112, 0
	s_waitcnt lgkmcnt(1)
	v_dot4c_i32_i8_e32 v106, v156, v13
	s_waitcnt lgkmcnt(0)
	v_dot4c_i32_i8_e32 v112, v160, v10
	v_add_u32_e32 v108, 0x4128, v141
	v_add_u32_e32 v153, 0x4130, v141
	;; [unrolled: 1-line block ×3, first 2 shown]
	v_dot4c_i32_i8_e32 v106, v157, v9
	v_dot4c_i32_i8_e32 v112, v161, v6
	ds_read2_b32 v[114:115], v108 offset1:1
	v_add_u32_e32 v108, 0x61a0, v141
	ds_read2_b32 v[154:155], v153 offset1:1
	ds_read2_b32 v[156:157], v156 offset1:1
	ds_read2_b32 v[160:161], v108 offset1:1
	v_mov_b32_e32 v153, 0
	v_add_u32_e32 v108, 0x61b8, v141
	s_waitcnt lgkmcnt(3)
	v_dot4c_i32_i8_e32 v112, v114, v11
	v_dot4c_i32_i8_e32 v112, v115, v7
	s_waitcnt lgkmcnt(0)
	v_dot4c_i32_i8_e32 v153, v160, v10
	v_dot4c_i32_i8_e32 v153, v161, v6
	v_add_u32_e32 v6, 0x61a8, v141
	ds_read2_b32 v[114:115], v6 offset1:1
	v_dot4c_i32_i8_e32 v112, v154, v12
	v_add_u32_e32 v10, 0x61b0, v141
	v_dot4c_i32_i8_e32 v112, v155, v8
	v_add_u32_e32 v6, 0x20c0, v141
	ds_read2_b32 v[154:155], v10 offset1:1
	ds_read2_b32 v[160:161], v108 offset1:1
	;; [unrolled: 1-line block ×3, first 2 shown]
	s_waitcnt lgkmcnt(3)
	v_dot4c_i32_i8_e32 v153, v114, v11
	v_dot4c_i32_i8_e32 v153, v115, v7
	;; [unrolled: 1-line block ×3, first 2 shown]
	s_waitcnt lgkmcnt(2)
	v_dot4c_i32_i8_e32 v153, v154, v12
	v_dot4c_i32_i8_e32 v112, v157, v9
	;; [unrolled: 1-line block ×3, first 2 shown]
	ds_read_b128 v[154:157], v139 offset:64
	s_waitcnt lgkmcnt(2)
	v_dot4c_i32_i8_e32 v153, v160, v13
	ds_read_b128 v[10:13], v139 offset:80
	ds_read2_b32 v[6:7], v141 offset0:18 offset1:19
	v_mov_b32_e32 v176, 0
	s_waitcnt lgkmcnt(2)
	v_dot4c_i32_i8_e32 v176, v158, v154
	v_dot4c_i32_i8_e32 v153, v161, v9
	s_waitcnt lgkmcnt(1)
	v_dot4c_i32_i8_e32 v176, v159, v10
	ds_read2_b32 v[8:9], v141 offset0:20 offset1:21
	ds_read2_b32 v[114:115], v141 offset0:22 offset1:23
	;; [unrolled: 1-line block ×3, first 2 shown]
	s_waitcnt lgkmcnt(3)
	v_dot4c_i32_i8_e32 v176, v6, v155
	v_add_u32_e32 v6, 0x20c8, v141
	v_dot4c_i32_i8_e32 v176, v7, v11
	ds_read2_b32 v[6:7], v6 offset1:1
	s_waitcnt lgkmcnt(3)
	v_dot4c_i32_i8_e32 v176, v8, v156
	v_dot4c_i32_i8_e32 v176, v9, v12
	v_mov_b32_e32 v177, 0
	s_waitcnt lgkmcnt(2)
	v_dot4c_i32_i8_e32 v176, v114, v157
	v_dot4c_i32_i8_e32 v177, v172, v154
	v_add_u32_e32 v8, 0x20d0, v141
	v_add_u32_e32 v158, 0x4140, v141
	v_dot4c_i32_i8_e32 v176, v115, v13
	v_dot4c_i32_i8_e32 v177, v173, v10
	v_add_u32_e32 v108, 0x20d8, v141
	ds_read2_b32 v[8:9], v8 offset1:1
	ds_read2_b32 v[114:115], v108 offset1:1
	;; [unrolled: 1-line block ×3, first 2 shown]
	s_waitcnt lgkmcnt(3)
	v_dot4c_i32_i8_e32 v177, v6, v155
	v_add_u32_e32 v6, 0x4148, v141
	v_dot4c_i32_i8_e32 v177, v7, v11
	ds_read2_b32 v[6:7], v6 offset1:1
	s_waitcnt lgkmcnt(3)
	v_dot4c_i32_i8_e32 v177, v8, v156
	v_dot4c_i32_i8_e32 v177, v9, v12
	v_mov_b32_e32 v178, 0
	s_waitcnt lgkmcnt(2)
	v_dot4c_i32_i8_e32 v177, v114, v157
	s_waitcnt lgkmcnt(1)
	v_dot4c_i32_i8_e32 v178, v158, v154
	v_add_u32_e32 v8, 0x4150, v141
	v_add_u32_e32 v158, 0x61c0, v141
	v_dot4c_i32_i8_e32 v177, v115, v13
	v_dot4c_i32_i8_e32 v178, v159, v10
	v_add_u32_e32 v108, 0x4158, v141
	ds_read2_b32 v[8:9], v8 offset1:1
	ds_read2_b32 v[114:115], v108 offset1:1
	;; [unrolled: 1-line block ×3, first 2 shown]
	s_waitcnt lgkmcnt(3)
	v_dot4c_i32_i8_e32 v178, v6, v155
	v_add_u32_e32 v6, 0x61c8, v141
	v_dot4c_i32_i8_e32 v178, v7, v11
	ds_read2_b32 v[6:7], v6 offset1:1
	s_waitcnt lgkmcnt(3)
	v_dot4c_i32_i8_e32 v178, v8, v156
	v_dot4c_i32_i8_e32 v178, v9, v12
	v_mov_b32_e32 v179, 0
	s_waitcnt lgkmcnt(2)
	v_dot4c_i32_i8_e32 v178, v114, v157
	s_waitcnt lgkmcnt(1)
	v_dot4c_i32_i8_e32 v179, v158, v154
	v_add_u32_e32 v8, 0x61d0, v141
	v_dot4c_i32_i8_e32 v178, v115, v13
	v_dot4c_i32_i8_e32 v179, v159, v10
	v_add_u32_e32 v10, 0x61d8, v141
	v_add_u32_e32 v108, 0x20e0, v141
	ds_read2_b32 v[8:9], v8 offset1:1
	ds_read2_b32 v[114:115], v10 offset1:1
	;; [unrolled: 1-line block ×3, first 2 shown]
	s_waitcnt lgkmcnt(3)
	v_dot4c_i32_i8_e32 v179, v6, v155
	v_dot4c_i32_i8_e32 v179, v7, v11
	s_waitcnt lgkmcnt(2)
	v_dot4c_i32_i8_e32 v179, v8, v156
	v_dot4c_i32_i8_e32 v179, v9, v12
	ds_read_b128 v[6:9], v139 offset:96
	ds_read_b128 v[158:161], v139 offset:112
	v_add_u32_e32 v10, 0x20e8, v141
	ds_read2_b32 v[10:11], v10 offset1:1
	s_waitcnt lgkmcnt(4)
	v_dot4c_i32_i8_e32 v179, v114, v157
	v_mov_b32_e32 v157, 0
	s_waitcnt lgkmcnt(2)
	v_dot4c_i32_i8_e32 v157, v172, v6
	s_waitcnt lgkmcnt(1)
	v_dot4c_i32_i8_e32 v157, v173, v158
	v_add_u32_e32 v12, 0x20f0, v141
	v_add_u32_e32 v154, 0x4160, v141
	v_dot4c_i32_i8_e32 v179, v115, v13
	v_mov_b32_e32 v156, 0
	v_add_u32_e32 v108, 0x20f8, v141
	ds_read2_b32 v[12:13], v12 offset1:1
	ds_read2_b32 v[114:115], v108 offset1:1
	;; [unrolled: 1-line block ×3, first 2 shown]
	s_waitcnt lgkmcnt(3)
	v_dot4c_i32_i8_e32 v157, v10, v7
	v_dot4c_i32_i8_e32 v156, v174, v6
	;; [unrolled: 1-line block ×3, first 2 shown]
	v_cvt_f32_i32_e32 v11, v106
	v_cvt_f32_i32_e32 v10, v18
	v_dot4c_i32_i8_e32 v156, v175, v158
	v_dot4c_i32_i8_e32 v156, v162, v7
	s_waitcnt lgkmcnt(2)
	v_dot4c_i32_i8_e32 v157, v12, v8
	v_mov_b32_e32 v108, v107
	v_dot4c_i32_i8_e32 v156, v163, v159
	v_dot4c_i32_i8_e32 v157, v13, v160
	v_pk_fma_f32 v[12:13], v[168:169], v[170:171], v[102:103]
	v_pk_mul_f32 v[102:103], v[2:3], v[108:109] op_sel:[1,0]
	v_dot4c_i32_i8_e32 v156, v164, v8
	v_pk_fma_f32 v[10:11], v[102:103], v[10:11], v[12:13]
	v_cvt_f32_i32_e32 v13, v177
	v_cvt_f32_i32_e32 v12, v176
	v_dot4c_i32_i8_e32 v156, v165, v160
	v_dot4c_i32_i8_e32 v156, v166, v9
	s_waitcnt lgkmcnt(1)
	v_dot4c_i32_i8_e32 v157, v114, v9
	v_mov_b32_e32 v102, v118
	v_mov_b32_e32 v103, v116
	v_dot4c_i32_i8_e32 v156, v167, v161
	v_dot4c_i32_i8_e32 v157, v115, v161
	v_pk_mul_f32 v[102:103], v[4:5], v[102:103] op_sel_hi:[0,1]
	v_pk_fma_f32 v[10:11], v[102:103], v[12:13], v[10:11]
	v_cvt_f32_i32_e32 v12, v156
	v_cvt_f32_i32_e32 v13, v157
	v_mov_b32_e32 v106, v5
	v_mov_b32_e32 v116, v119
	v_pk_mul_f32 v[102:103], v[106:107], v[116:117] op_sel_hi:[0,1]
	v_add_u32_e32 v5, 0x4168, v141
	v_pk_fma_f32 v[102:103], v[102:103], v[12:13], v[10:11]
	ds_read2_b32 v[10:11], v5 offset1:1
	v_mov_b32_e32 v107, 0
	s_waitcnt lgkmcnt(1)
	v_dot4c_i32_i8_e32 v107, v154, v6
	v_add_u32_e32 v12, 0x4170, v141
	v_dot4c_i32_i8_e32 v107, v155, v158
	v_add_u32_e32 v18, 0x4178, v141
	v_add_u32_e32 v5, 0x61e0, v141
	ds_read2_b32 v[12:13], v12 offset1:1
	ds_read2_b32 v[108:109], v18 offset1:1
	;; [unrolled: 1-line block ×3, first 2 shown]
	s_waitcnt lgkmcnt(3)
	v_dot4c_i32_i8_e32 v107, v10, v7
	v_add_u32_e32 v5, 0x61e8, v141
	v_dot4c_i32_i8_e32 v107, v11, v159
	ds_read2_b32 v[10:11], v5 offset1:1
	s_waitcnt lgkmcnt(3)
	v_dot4c_i32_i8_e32 v107, v12, v8
	v_add_u32_e32 v5, 0x61f0, v141
	v_dot4c_i32_i8_e32 v107, v13, v160
	v_mov_b32_e32 v116, 0
	ds_read2_b32 v[12:13], v5 offset1:1
	s_waitcnt lgkmcnt(3)
	v_dot4c_i32_i8_e32 v107, v108, v9
	s_waitcnt lgkmcnt(2)
	v_dot4c_i32_i8_e32 v116, v114, v6
	v_add_u32_e32 v5, 0x61f8, v141
	v_dot4c_i32_i8_e32 v107, v109, v161
	v_dot4c_i32_i8_e32 v116, v115, v158
	ds_read2_b32 v[108:109], v5 offset1:1
	s_waitcnt lgkmcnt(2)
	v_dot4c_i32_i8_e32 v116, v10, v7
	v_dot4c_i32_i8_e32 v116, v11, v159
	v_cvt_f32_i32_e32 v7, v153
	v_cvt_f32_i32_e32 v6, v112
	s_waitcnt lgkmcnt(1)
	v_dot4c_i32_i8_e32 v116, v12, v8
	v_pk_mul_f32 v[16:17], v[2:3], v[16:17] op_sel_hi:[0,1]
	v_dot4c_i32_i8_e32 v116, v13, v160
	v_mov_b32_e32 v18, v113
	s_waitcnt lgkmcnt(0)
	v_dot4c_i32_i8_e32 v116, v108, v9
	v_pk_fma_f32 v[8:9], v[16:17], v[20:21], v[104:105]
	v_pk_mul_f32 v[2:3], v[2:3], v[18:19] op_sel:[1,0]
	v_dot4c_i32_i8_e32 v116, v109, v161
	v_pk_fma_f32 v[2:3], v[2:3], v[6:7], v[8:9]
	v_mov_b32_e32 v6, v14
	v_mov_b32_e32 v7, v110
	v_cvt_f32_i32_e32 v9, v179
	v_cvt_f32_i32_e32 v8, v178
	v_pk_mul_f32 v[4:5], v[4:5], v[6:7] op_sel_hi:[0,1]
	v_cvt_f32_i32_e32 v7, v116
	v_cvt_f32_i32_e32 v6, v107
	v_mov_b32_e32 v110, v15
	v_pk_fma_f32 v[2:3], v[4:5], v[8:9], v[2:3]
	v_pk_mul_f32 v[4:5], v[106:107], v[110:111] op_sel_hi:[0,1]
	v_pk_fma_f32 v[104:105], v[4:5], v[6:7], v[2:3]
	s_cmp_ge_i32 s14, s15
	s_barrier
	s_cbranch_scc1 .LBB201_5
; %bb.13:                               ;   in Loop: Header=BB201_6 Depth=1
	v_add_u32_e32 v2, s18, v146
	v_cmp_gt_i32_e64 s[2:3], s5, v2
	s_and_b64 s[22:23], s[0:1], s[2:3]
	s_and_saveexec_b64 s[2:3], s[22:23]
	s_cbranch_execz .LBB201_15
; %bb.14:                               ;   in Loop: Header=BB201_6 Depth=1
	v_add_u32_e32 v2, s18, v147
	v_mad_i64_i32 v[2:3], s[22:23], v2, 36, v[26:27]
	global_load_dword v2, v[2:3], off offset:4
	s_waitcnt vmcnt(0)
	ds_write_b32 v137, v2
.LBB201_15:                             ;   in Loop: Header=BB201_6 Depth=1
	s_or_b64 exec, exec, s[2:3]
	s_and_saveexec_b64 s[22:23], vcc
	s_cbranch_execz .LBB201_4
; %bb.16:                               ;   in Loop: Header=BB201_6 Depth=1
	v_add3_u32 v2, v22, s18, 4
	v_cmp_gt_i32_e64 s[2:3], s5, v2
	s_and_b64 s[2:3], s[0:1], s[2:3]
	s_and_b64 exec, exec, s[2:3]
	s_cbranch_execz .LBB201_4
; %bb.17:                               ;   in Loop: Header=BB201_6 Depth=1
	global_load_dword v2, v[28:29], off
	s_waitcnt vmcnt(0)
	v_cvt_f32_f16_e32 v2, v2
	ds_write_b32 v138, v2
	s_branch .LBB201_4
.LBB201_18:
	v_mov_b32_e32 v2, 0
	s_mul_i32 s0, s7, s4
	s_waitcnt vmcnt(0)
	v_cmp_gt_i32_e32 vcc, s0, v1
	s_and_saveexec_b64 s[0:1], vcc
	s_cbranch_execnz .LBB201_21
.LBB201_19:
	s_endpgm
.LBB201_20:
	v_cvt_f16_f32_e32 v2, v103
	v_cvt_f16_f32_e32 v3, v102
	;; [unrolled: 1-line block ×4, first 2 shown]
	v_pack_b32_f16 v2, v3, v2
	v_pack_b32_f16 v3, v5, v4
	s_mul_i32 s0, s7, s4
	v_cmp_gt_i32_e32 vcc, s0, v1
	s_and_saveexec_b64 s[0:1], vcc
	s_cbranch_execz .LBB201_19
.LBB201_21:
	v_and_b32_e32 v0, 0x3ff, v0
	v_add_u32_e32 v4, s24, v0
	v_mul_lo_u32 v0, v1, s6
	v_cmp_gt_u32_e32 vcc, s6, v4
	s_and_saveexec_b64 s[0:1], vcc
	s_cbranch_execz .LBB201_23
; %bb.22:
	v_add_u32_e32 v6, v0, v4
	v_mov_b32_e32 v7, 0
	v_lshl_add_u64 v[6:7], v[6:7], 1, s[12:13]
	global_store_short v[6:7], v2, off
.LBB201_23:
	s_or_b64 exec, exec, s[0:1]
	v_add_u32_e32 v1, 32, v4
	v_cmp_gt_u32_e32 vcc, s6, v1
	s_and_saveexec_b64 s[0:1], vcc
	s_cbranch_execz .LBB201_25
; %bb.24:
	v_add_u32_e32 v6, v0, v1
	v_mov_b32_e32 v7, 0
	v_lshl_add_u64 v[6:7], v[6:7], 1, s[12:13]
	global_store_short_d16_hi v[6:7], v2, off
.LBB201_25:
	s_or_b64 exec, exec, s[0:1]
	v_add_u32_e32 v1, 64, v4
	v_cmp_gt_u32_e32 vcc, s6, v1
	s_and_saveexec_b64 s[0:1], vcc
	s_cbranch_execz .LBB201_27
; %bb.26:
	v_add_u32_e32 v6, v0, v1
	v_mov_b32_e32 v7, 0
	v_lshl_add_u64 v[6:7], v[6:7], 1, s[12:13]
	global_store_short v[6:7], v3, off
.LBB201_27:
	s_or_b64 exec, exec, s[0:1]
	v_add_u32_e32 v1, 0x60, v4
	v_cmp_gt_u32_e32 vcc, s6, v1
	s_and_b64 exec, exec, vcc
	s_cbranch_execz .LBB201_19
; %bb.28:
	v_add_u32_e32 v0, v0, v1
	v_mov_b32_e32 v1, 0
	v_lshl_add_u64 v[0:1], v[0:1], 1, s[12:13]
	global_store_short_d16_hi v[0:1], v3, off
	s_endpgm
	.section	.rodata,"a",@progbits
	.p2align	6, 0x0
	.amdhsa_kernel _ZL8moe_q5_0IN3c104HalfELb0EEvPKvS3_PT_PKiS7_S7_iiiiiii
		.amdhsa_group_segment_fixed_size 38656
		.amdhsa_private_segment_fixed_size 0
		.amdhsa_kernarg_size 76
		.amdhsa_user_sgpr_count 2
		.amdhsa_user_sgpr_dispatch_ptr 0
		.amdhsa_user_sgpr_queue_ptr 0
		.amdhsa_user_sgpr_kernarg_segment_ptr 1
		.amdhsa_user_sgpr_dispatch_id 0
		.amdhsa_user_sgpr_kernarg_preload_length 0
		.amdhsa_user_sgpr_kernarg_preload_offset 0
		.amdhsa_user_sgpr_private_segment_size 0
		.amdhsa_uses_dynamic_stack 0
		.amdhsa_enable_private_segment 0
		.amdhsa_system_sgpr_workgroup_id_x 1
		.amdhsa_system_sgpr_workgroup_id_y 1
		.amdhsa_system_sgpr_workgroup_id_z 0
		.amdhsa_system_sgpr_workgroup_info 0
		.amdhsa_system_vgpr_workitem_id 1
		.amdhsa_next_free_vgpr 180
		.amdhsa_next_free_sgpr 28
		.amdhsa_accum_offset 180
		.amdhsa_reserve_vcc 1
		.amdhsa_float_round_mode_32 0
		.amdhsa_float_round_mode_16_64 0
		.amdhsa_float_denorm_mode_32 3
		.amdhsa_float_denorm_mode_16_64 3
		.amdhsa_dx10_clamp 1
		.amdhsa_ieee_mode 1
		.amdhsa_fp16_overflow 0
		.amdhsa_tg_split 0
		.amdhsa_exception_fp_ieee_invalid_op 0
		.amdhsa_exception_fp_denorm_src 0
		.amdhsa_exception_fp_ieee_div_zero 0
		.amdhsa_exception_fp_ieee_overflow 0
		.amdhsa_exception_fp_ieee_underflow 0
		.amdhsa_exception_fp_ieee_inexact 0
		.amdhsa_exception_int_div_zero 0
	.end_amdhsa_kernel
	.section	.text._ZL8moe_q5_0IN3c104HalfELb0EEvPKvS3_PT_PKiS7_S7_iiiiiii,"axG",@progbits,_ZL8moe_q5_0IN3c104HalfELb0EEvPKvS3_PT_PKiS7_S7_iiiiiii,comdat
.Lfunc_end201:
	.size	_ZL8moe_q5_0IN3c104HalfELb0EEvPKvS3_PT_PKiS7_S7_iiiiiii, .Lfunc_end201-_ZL8moe_q5_0IN3c104HalfELb0EEvPKvS3_PT_PKiS7_S7_iiiiiii
                                        ; -- End function
	.section	.AMDGPU.csdata,"",@progbits
; Kernel info:
; codeLenInByte = 12676
; NumSgprs: 34
; NumVgprs: 180
; NumAgprs: 0
; TotalNumVgprs: 180
; ScratchSize: 0
; MemoryBound: 0
; FloatMode: 240
; IeeeMode: 1
; LDSByteSize: 38656 bytes/workgroup (compile time only)
; SGPRBlocks: 4
; VGPRBlocks: 22
; NumSGPRsForWavesPerEU: 34
; NumVGPRsForWavesPerEU: 180
; AccumOffset: 180
; Occupancy: 1
; WaveLimiterHint : 1
; COMPUTE_PGM_RSRC2:SCRATCH_EN: 0
; COMPUTE_PGM_RSRC2:USER_SGPR: 2
; COMPUTE_PGM_RSRC2:TRAP_HANDLER: 0
; COMPUTE_PGM_RSRC2:TGID_X_EN: 1
; COMPUTE_PGM_RSRC2:TGID_Y_EN: 1
; COMPUTE_PGM_RSRC2:TGID_Z_EN: 0
; COMPUTE_PGM_RSRC2:TIDIG_COMP_CNT: 1
; COMPUTE_PGM_RSRC3_GFX90A:ACCUM_OFFSET: 44
; COMPUTE_PGM_RSRC3_GFX90A:TG_SPLIT: 0
	.section	.text._ZL8moe_q5_0IN3c104HalfELb1EEvPKvS3_PT_PKiS7_S7_iiiiiii,"axG",@progbits,_ZL8moe_q5_0IN3c104HalfELb1EEvPKvS3_PT_PKiS7_S7_iiiiiii,comdat
	.globl	_ZL8moe_q5_0IN3c104HalfELb1EEvPKvS3_PT_PKiS7_S7_iiiiiii ; -- Begin function _ZL8moe_q5_0IN3c104HalfELb1EEvPKvS3_PT_PKiS7_S7_iiiiiii
	.p2align	8
	.type	_ZL8moe_q5_0IN3c104HalfELb1EEvPKvS3_PT_PKiS7_S7_iiiiiii,@function
_ZL8moe_q5_0IN3c104HalfELb1EEvPKvS3_PT_PKiS7_S7_iiiiiii: ; @_ZL8moe_q5_0IN3c104HalfELb1EEvPKvS3_PT_PKiS7_S7_iiiiiii
; %bb.0:
	s_load_dwordx4 s[4:7], s[0:1], 0x18
	s_mov_b32 s8, s3
	s_mov_b32 s9, 0
	s_lshl_b64 s[10:11], s[8:9], 2
	s_waitcnt lgkmcnt(0)
	s_add_u32 s6, s6, s10
	s_addc_u32 s7, s7, s11
	s_load_dword s3, s[6:7], 0x0
	s_waitcnt lgkmcnt(0)
	s_cmpk_gt_u32 s3, 0xff
	s_cbranch_scc1 .LBB202_19
; %bb.1:
	s_load_dwordx2 s[6:7], s[0:1], 0x28
	s_waitcnt lgkmcnt(0)
	s_load_dword s7, s[6:7], 0x0
	s_lshl_b32 s6, s8, 3
	s_waitcnt lgkmcnt(0)
	s_cmp_gt_u32 s6, s7
	s_cbranch_scc1 .LBB202_19
; %bb.2:
	v_bfe_u32 v4, v0, 10, 10
	v_mov_b32_e32 v6, s4
	v_mov_b32_e32 v7, s5
	v_add_u32_e32 v2, s6, v4
	v_mov_b32_e32 v3, 0
	v_lshl_add_u64 v[6:7], v[2:3], 2, v[6:7]
	global_load_dword v1, v[6:7], off
	s_load_dwordx8 s[4:11], s[0:1], 0x30
	s_load_dwordx2 s[16:17], s[0:1], 0x10
	s_waitcnt lgkmcnt(0)
	s_lshl_b32 s11, s2, 7
	s_cmp_lt_i32 s5, 32
	s_cbranch_scc1 .LBB202_18
; %bb.3:
	s_load_dwordx4 s[12:15], s[0:1], 0x0
	s_ashr_i32 s0, s5, 31
	s_lshr_b32 s0, s0, 27
	s_add_i32 s0, s5, s0
	s_ashr_i32 s26, s0, 5
	s_ashr_i32 s0, s8, 31
	s_lshr_b32 s0, s0, 27
	s_add_i32 s0, s8, s0
	s_ashr_i32 s8, s0, 5
	s_not_b32 s0, s11
	s_mul_i32 s18, s3, s4
	s_add_i32 s3, s0, s6
	v_and_b32_e32 v22, 0x3ff, v0
	v_lshlrev_b32_e32 v3, 2, v22
	v_min_i32_e32 v5, s3, v4
	v_lshlrev_b32_e32 v2, 3, v22
	s_movk_i32 s4, 0x104
	v_mul_lo_u32 v9, v5, s26
	v_mad_u64_u32 v[26:27], s[0:1], v5, s4, v[2:3]
	v_add_u32_e32 v5, 8, v4
	v_min_i32_e32 v5, s3, v5
	v_mul_lo_u32 v10, v5, s26
	v_mad_u64_u32 v[28:29], s[0:1], v5, s4, v[2:3]
	v_add_u32_e32 v5, 16, v4
	v_min_i32_e32 v5, s3, v5
	;; [unrolled: 4-line block ×15, first 2 shown]
	v_mul_lo_u32 v55, v5, s26
	v_mad_u64_u32 v[56:57], s[0:1], v5, s4, v[2:3]
	v_lshlrev_b32_e32 v5, 2, v4
	v_lshrrev_b32_e32 v27, 3, v22
	v_add_u32_e32 v2, v27, v5
	v_min_i32_e32 v6, s3, v2
	v_ashrrev_i32_e32 v7, 31, v6
	v_lshrrev_b32_e32 v7, 30, v7
	v_and_b32_e32 v57, 7, v22
	v_mul_lo_u32 v126, v6, s26
	v_add_u32_e32 v7, v6, v7
	v_lshlrev_b32_e32 v137, 5, v6
	v_add_u32_e32 v6, 32, v2
	v_and_b32_e32 v7, -4, v7
	v_lshlrev_b32_e32 v23, 2, v57
	s_mov_b32 s0, 0x8200
	v_min_i32_e32 v6, s3, v6
	v_add3_u32 v136, v7, v23, s0
	v_ashrrev_i32_e32 v7, 31, v6
	v_lshrrev_b32_e32 v7, 30, v7
	v_mul_lo_u32 v128, v6, s26
	v_add_u32_e32 v7, v6, v7
	v_lshlrev_b32_e32 v139, 5, v6
	v_add_u32_e32 v6, 64, v2
	v_and_b32_e32 v7, -4, v7
	v_min_i32_e32 v6, s3, v6
	v_add3_u32 v138, v7, v23, s0
	v_ashrrev_i32_e32 v7, 31, v6
	v_add_u32_e32 v2, 0x60, v2
	v_lshrrev_b32_e32 v7, 30, v7
	v_min_i32_e32 v2, s3, v2
	v_mul_lo_u32 v130, v6, s26
	v_add_u32_e32 v7, v6, v7
	v_lshlrev_b32_e32 v141, 5, v6
	v_ashrrev_i32_e32 v6, 31, v2
	v_lshrrev_b32_e32 v6, 30, v6
	v_mov_b32_e32 v25, 0
	v_add_u32_e32 v6, v2, v6
	v_and_b32_e32 v24, 12, v3
	v_mul_lo_u32 v132, v2, s26
	v_and_b32_e32 v6, -4, v6
	v_lshlrev_b32_e32 v143, 5, v2
	v_and_b32_e32 v2, 28, v3
	v_mov_b32_e32 v3, v25
	v_add3_u32 v142, v6, v23, s0
	v_and_b32_e32 v6, 31, v22
	s_waitcnt lgkmcnt(0)
	v_lshl_add_u64 v[58:59], s[14:15], 0, v[2:3]
	v_lshlrev_b32_e32 v2, 7, v4
	v_lshl_or_b32 v3, v6, 2, v2
	v_add_u32_e32 v29, 0x9280, v3
	v_or_b32_e32 v3, v5, v22
	v_mov_b32_e32 v5, 0x9680
	v_lshl_add_u32 v31, v3, 2, v5
	v_add_u32_e32 v33, 0x9280, v2
	v_and_b32_e32 v2, 0xfc, v22
	v_lshlrev_b32_e32 v3, 5, v22
	v_add3_u32 v39, v3, v2, s0
	v_add_u32_e32 v2, 32, v22
	v_lshl_add_u32 v35, v4, 4, v5
	v_and_b32_e32 v3, 0x1fc, v2
	v_lshlrev_b32_e32 v4, 5, v2
	v_add3_u32 v41, v4, v3, s0
	v_add_u32_e32 v3, 64, v22
	v_and_b32_e32 v4, 0x1fc, v3
	v_lshlrev_b32_e32 v3, 5, v3
	s_abs_i32 s3, s10
	v_add3_u32 v43, v3, v4, s0
	v_cvt_f32_u32_e32 v4, s3
	v_add_u32_e32 v3, 0x60, v22
	v_and_b32_e32 v5, 0x1fc, v3
	v_lshlrev_b32_e32 v3, 5, v3
	v_add3_u32 v45, v3, v5, s0
	v_rcp_iflag_f32_e32 v3, v4
	v_and_b32_e32 v7, -4, v7
	v_add3_u32 v140, v7, v23, s0
	s_sub_i32 s0, 0, s3
	v_mul_f32_e32 v3, 0x4f7ffffe, v3
	v_cvt_u32_f32_e32 v3, v3
	s_waitcnt vmcnt(0)
	v_sub_u32_e32 v4, 0, v1
	v_max_i32_e32 v4, v1, v4
	v_lshrrev_b32_e32 v47, 3, v2
	v_mul_lo_u32 v5, s0, v3
	v_mul_hi_u32 v5, v3, v5
	v_add_u32_e32 v3, v3, v5
	v_mul_hi_u32 v3, v4, v3
	v_mul_lo_u32 v5, v3, s3
	v_sub_u32_e32 v4, v4, v5
	v_add_u32_e32 v5, 1, v3
	v_cmp_le_u32_e64 s[0:1], s3, v4
	v_xor_b32_e32 v2, s10, v1
	v_ashrrev_i32_e32 v2, 31, v2
	v_cndmask_b32_e64 v3, v3, v5, s[0:1]
	v_subrev_u32_e32 v5, s3, v4
	v_cndmask_b32_e64 v4, v4, v5, s[0:1]
	v_add_u32_e32 v5, 1, v3
	v_cmp_le_u32_e64 s[0:1], s3, v4
	v_mov_b32_e32 v23, v25
	s_mul_i32 s2, s26, s11
	v_cndmask_b32_e64 v3, v3, v5, s[0:1]
	v_xor_b32_e32 v3, v3, v2
	v_sub_u32_e32 v2, v3, v2
	v_cmp_gt_i32_e64 s[0:1], s7, v2
	v_mul_lo_u32 v2, v2, s8
	v_ashrrev_i32_e32 v3, 31, v2
	v_lshl_add_u64 v[4:5], v[2:3], 0, v[22:23]
	v_mad_u64_u32 v[6:7], s[22:23], v4, 36, s[14:15]
	s_mul_hi_i32 s3, s2, 22
	s_mul_i32 s4, s2, 22
	v_lshrrev_b32_e32 v8, 2, v22
	v_mad_i32_i24 v7, v5, 36, v7
	s_mov_b64 s[22:23], 0x90
	v_add_u32_e32 v23, v22, v2
	v_add_u32_e32 v49, v47, v2
	;; [unrolled: 1-line block ×3, first 2 shown]
	v_mov_b32_e32 v2, s4
	v_mov_b32_e32 v3, s3
	v_lshl_add_u64 v[60:61], v[6:7], 0, s[22:23]
	v_mad_u64_u32 v[2:3], s[22:23], v8, 22, v[2:3]
	v_mad_i64_i32 v[4:5], s[22:23], v9, 22, v[2:3]
	v_lshl_add_u64 v[6:7], v[4:5], 0, v[24:25]
	v_lshl_add_u64 v[64:65], s[12:13], 0, v[4:5]
	v_mad_i64_i32 v[4:5], s[22:23], v10, 22, v[2:3]
	v_lshl_add_u64 v[4:5], v[4:5], 0, s[12:13]
	v_lshl_add_u64 v[66:67], v[4:5], 0, v[24:25]
	v_lshl_add_u64 v[68:69], v[4:5], 0, 2
	v_mad_i64_i32 v[4:5], s[22:23], v11, 22, v[2:3]
	v_lshl_add_u64 v[4:5], v[4:5], 0, s[12:13]
	;; [unrolled: 4-line block ×13, first 2 shown]
	v_lshl_add_u64 v[114:115], v[4:5], 0, v[24:25]
	v_lshl_add_u64 v[116:117], v[4:5], 0, 2
	v_mad_i64_i32 v[4:5], s[22:23], v53, 22, v[2:3]
	v_mad_i64_i32 v[2:3], s[22:23], v55, 22, v[2:3]
	v_lshl_add_u64 v[2:3], v[2:3], 0, s[12:13]
	v_lshl_add_u64 v[122:123], v[2:3], 0, v[24:25]
	;; [unrolled: 1-line block ×3, first 2 shown]
	v_mad_i64_i32 v[2:3], s[22:23], v126, 22, 0
	v_mad_i64_i32 v[2:3], s[22:23], s2, 22, v[2:3]
	v_mad_u64_u32 v[2:3], s[22:23], v57, 22, v[2:3]
	v_lshl_add_u64 v[126:127], s[12:13], 0, v[2:3]
	v_mad_i64_i32 v[2:3], s[22:23], v128, 22, 0
	v_mad_i64_i32 v[2:3], s[22:23], s2, 22, v[2:3]
	v_mad_u64_u32 v[2:3], s[22:23], v57, 22, v[2:3]
	v_lshl_add_u64 v[128:129], s[12:13], 0, v[2:3]
	v_mad_i64_i32 v[2:3], s[22:23], v130, 22, 0
	v_mad_i64_i32 v[2:3], s[22:23], s2, 22, v[2:3]
	v_mad_u64_u32 v[2:3], s[22:23], v57, 22, v[2:3]
	s_mov_b32 s20, 0
	v_lshl_add_u64 v[130:131], s[12:13], 0, v[2:3]
	v_mad_i64_i32 v[2:3], s[22:23], v132, 22, 0
	v_mad_i64_i32 v[2:3], s[2:3], s2, 22, v[2:3]
	s_mov_b32 s21, s20
	v_lshl_add_u64 v[4:5], v[4:5], 0, s[12:13]
	v_mad_u64_u32 v[2:3], s[2:3], v57, 22, v[2:3]
	v_mov_b64_e32 v[134:135], s[20:21]
	s_ashr_i32 s19, s18, 31
	v_cmp_gt_u32_e32 vcc, 4, v22
	v_mul_u32_u24_e32 v37, 0x104, v22
	v_lshl_add_u64 v[62:63], s[12:13], 0, v[6:7]
	v_lshl_add_u64 v[118:119], v[4:5], 0, v[24:25]
	;; [unrolled: 1-line block ×4, first 2 shown]
	s_movk_i32 s4, 0x80
	s_movk_i32 s6, 0x1f00
	;; [unrolled: 1-line block ×4, first 2 shown]
	v_add_u32_e32 v25, v136, v137
	v_add_u32_e32 v53, v138, v139
	;; [unrolled: 1-line block ×4, first 2 shown]
	s_mov_b64 s[12:13], 0x120
	s_mov_b64 s[22:23], 0xb0
	v_mov_b32_e32 v152, 8
	v_mov_b64_e32 v[136:137], v[134:135]
	s_branch .LBB202_6
.LBB202_4:                              ;   in Loop: Header=BB202_6 Depth=1
	s_or_b64 exec, exec, s[24:25]
	s_waitcnt lgkmcnt(0)
	s_barrier
	ds_read_b128 v[2:5], v35
	ds_read2_b32 v[138:139], v37 offset0:32 offset1:33
	ds_read_b128 v[14:17], v33
	ds_read_b128 v[18:21], v33 offset:16
	ds_read_b128 v[6:9], v33 offset:32
	;; [unrolled: 1-line block ×3, first 2 shown]
	ds_read2_b32 v[142:143], v37 offset0:34 offset1:35
	v_mov_b32_e32 v140, 0
	s_waitcnt lgkmcnt(4)
	v_dot4c_i32_i8_e32 v140, v138, v14
	s_waitcnt lgkmcnt(3)
	v_dot4c_i32_i8_e32 v140, v139, v18
	ds_read2_b32 v[138:139], v37 offset0:36 offset1:37
	ds_read2_b32 v[144:145], v37 offset0:38 offset1:39
	;; [unrolled: 1-line block ×3, first 2 shown]
	s_waitcnt lgkmcnt(3)
	v_dot4c_i32_i8_e32 v140, v142, v15
	v_dot4c_i32_i8_e32 v140, v143, v19
	s_waitcnt lgkmcnt(2)
	v_dot4c_i32_i8_e32 v140, v138, v16
	v_add_u32_e32 v138, 0x2100, v37
	ds_read2_b32 v[142:143], v138 offset1:1
	v_mov_b32_e32 v141, 0
	v_dot4c_i32_i8_e32 v140, v139, v20
	ds_read2_b32 v[138:139], v45 offset0:6 offset1:7
	s_waitcnt lgkmcnt(3)
	v_dot4c_i32_i8_e32 v140, v144, v17
	s_waitcnt lgkmcnt(1)
	v_dot4c_i32_i8_e32 v141, v142, v14
	v_add_u32_e32 v142, 0x2108, v37
	v_dot4c_i32_i8_e32 v141, v143, v18
	ds_read2_b32 v[142:143], v142 offset1:1
	v_add_u32_e32 v144, 0x2110, v37
	v_add_u32_e32 v148, 0x2118, v37
	;; [unrolled: 1-line block ×3, first 2 shown]
	v_dot4c_i32_i8_e32 v140, v145, v21
	ds_read2_b32 v[144:145], v144 offset1:1
	ds_read2_b32 v[148:149], v148 offset1:1
	;; [unrolled: 1-line block ×3, first 2 shown]
	s_waitcnt lgkmcnt(3)
	v_dot4c_i32_i8_e32 v141, v142, v15
	v_dot4c_i32_i8_e32 v141, v143, v19
	s_waitcnt lgkmcnt(2)
	v_dot4c_i32_i8_e32 v141, v144, v16
	v_dot4c_i32_i8_e32 v141, v145, v20
	v_mov_b32_e32 v153, 0
	s_waitcnt lgkmcnt(1)
	v_dot4c_i32_i8_e32 v141, v148, v17
	s_waitcnt lgkmcnt(0)
	v_dot4c_i32_i8_e32 v153, v150, v14
	v_add_u32_e32 v142, 0x4188, v37
	v_add_u32_e32 v144, 0x4190, v37
	;; [unrolled: 1-line block ×4, first 2 shown]
	v_dot4c_i32_i8_e32 v141, v149, v21
	v_dot4c_i32_i8_e32 v153, v151, v18
	ds_read2_b32 v[142:143], v142 offset1:1
	ds_read2_b32 v[144:145], v144 offset1:1
	;; [unrolled: 1-line block ×4, first 2 shown]
	v_mov_b32_e32 v158, 0
	v_mov_b32_e32 v159, 0
	v_dot4c_i32_i8_e32 v159, v146, v6
	s_waitcnt lgkmcnt(3)
	v_dot4c_i32_i8_e32 v153, v142, v15
	s_waitcnt lgkmcnt(0)
	v_dot4c_i32_i8_e32 v158, v150, v14
	v_add_u32_e32 v14, 0x6208, v37
	v_dot4c_i32_i8_e32 v153, v143, v19
	ds_read2_b32 v[142:143], v14 offset1:1
	v_dot4c_i32_i8_e32 v153, v144, v16
	v_dot4c_i32_i8_e32 v153, v145, v20
	;; [unrolled: 1-line block ×4, first 2 shown]
	v_add_u32_e32 v18, 0x6210, v37
	v_add_u32_e32 v148, 0x6218, v37
	v_dot4c_i32_i8_e32 v153, v149, v21
	v_add_u32_e32 v14, 0x2120, v37
	ds_read2_b32 v[144:145], v18 offset1:1
	ds_read2_b32 v[148:149], v148 offset1:1
	;; [unrolled: 1-line block ×3, first 2 shown]
	s_waitcnt lgkmcnt(3)
	v_dot4c_i32_i8_e32 v158, v142, v15
	v_dot4c_i32_i8_e32 v158, v143, v19
	ds_read2_b32 v[14:15], v37 offset0:42 offset1:43
	s_waitcnt lgkmcnt(3)
	v_dot4c_i32_i8_e32 v158, v144, v16
	v_dot4c_i32_i8_e32 v158, v145, v20
	s_waitcnt lgkmcnt(2)
	v_dot4c_i32_i8_e32 v158, v148, v17
	v_dot4c_i32_i8_e32 v158, v149, v21
	;; [unrolled: 1-line block ×3, first 2 shown]
	ds_read2_b32 v[16:17], v37 offset0:44 offset1:45
	ds_read2_b32 v[18:19], v37 offset0:46 offset1:47
	;; [unrolled: 1-line block ×3, first 2 shown]
	s_waitcnt lgkmcnt(3)
	v_dot4c_i32_i8_e32 v159, v14, v7
	v_add_u32_e32 v14, 0x2128, v37
	v_dot4c_i32_i8_e32 v159, v15, v11
	ds_read2_b32 v[14:15], v14 offset1:1
	s_waitcnt lgkmcnt(3)
	v_dot4c_i32_i8_e32 v159, v16, v8
	v_dot4c_i32_i8_e32 v159, v17, v12
	v_mov_b32_e32 v160, 0
	s_waitcnt lgkmcnt(2)
	v_dot4c_i32_i8_e32 v159, v18, v9
	v_dot4c_i32_i8_e32 v160, v150, v6
	v_add_u32_e32 v16, 0x2130, v37
	v_add_u32_e32 v18, 0x2138, v37
	v_add_u32_e32 v142, 0x41a0, v37
	v_dot4c_i32_i8_e32 v159, v19, v13
	v_dot4c_i32_i8_e32 v160, v151, v10
	ds_read2_b32 v[16:17], v16 offset1:1
	ds_read2_b32 v[18:19], v18 offset1:1
	;; [unrolled: 1-line block ×3, first 2 shown]
	s_waitcnt lgkmcnt(3)
	v_dot4c_i32_i8_e32 v160, v14, v7
	v_dot4c_i32_i8_e32 v160, v15, v11
	s_waitcnt lgkmcnt(2)
	v_dot4c_i32_i8_e32 v160, v16, v8
	v_dot4c_i32_i8_e32 v160, v17, v12
	v_mov_b32_e32 v161, 0
	s_waitcnt lgkmcnt(1)
	v_dot4c_i32_i8_e32 v160, v18, v9
	s_waitcnt lgkmcnt(0)
	v_dot4c_i32_i8_e32 v161, v142, v6
	v_add_u32_e32 v14, 0x41a8, v37
	v_add_u32_e32 v16, 0x41b0, v37
	;; [unrolled: 1-line block ×4, first 2 shown]
	v_dot4c_i32_i8_e32 v160, v19, v13
	v_dot4c_i32_i8_e32 v161, v143, v10
	ds_read2_b32 v[14:15], v14 offset1:1
	ds_read2_b32 v[16:17], v16 offset1:1
	;; [unrolled: 1-line block ×4, first 2 shown]
	v_mov_b32_e32 v162, 0
	v_mov_b32_e32 v163, 0
	;; [unrolled: 1-line block ×3, first 2 shown]
	s_waitcnt lgkmcnt(3)
	v_dot4c_i32_i8_e32 v161, v14, v7
	s_waitcnt lgkmcnt(0)
	v_dot4c_i32_i8_e32 v162, v142, v6
	v_add_u32_e32 v6, 0x6228, v37
	v_dot4c_i32_i8_e32 v161, v15, v11
	ds_read2_b32 v[14:15], v6 offset1:1
	v_dot4c_i32_i8_e32 v161, v16, v8
	v_dot4c_i32_i8_e32 v161, v17, v12
	;; [unrolled: 1-line block ×4, first 2 shown]
	v_add_u32_e32 v10, 0x6230, v37
	v_add_u32_e32 v18, 0x6238, v37
	v_dot4c_i32_i8_e32 v161, v19, v13
	v_add_u32_e32 v6, 0x2140, v37
	ds_read2_b32 v[16:17], v10 offset1:1
	ds_read2_b32 v[18:19], v18 offset1:1
	;; [unrolled: 1-line block ×3, first 2 shown]
	s_waitcnt lgkmcnt(3)
	v_dot4c_i32_i8_e32 v162, v14, v7
	v_dot4c_i32_i8_e32 v162, v15, v11
	s_waitcnt lgkmcnt(2)
	v_dot4c_i32_i8_e32 v162, v16, v8
	v_dot4c_i32_i8_e32 v162, v17, v12
	;; [unrolled: 3-line block ×3, first 2 shown]
	ds_read_b128 v[8:11], v33 offset:64
	ds_read_b128 v[12:15], v33 offset:80
	ds_read2_b32 v[6:7], v43 offset0:4 offset1:5
	ds_read2_b32 v[144:145], v41 offset0:6 offset1:7
	;; [unrolled: 1-line block ×5, first 2 shown]
	s_waitcnt lgkmcnt(6)
	v_dot4c_i32_i8_e32 v163, v20, v8
	s_waitcnt lgkmcnt(5)
	v_dot4c_i32_i8_e32 v163, v21, v12
	ds_read2_b32 v[18:19], v37 offset0:52 offset1:53
	ds_read2_b32 v[20:21], v37 offset0:54 offset1:55
	;; [unrolled: 1-line block ×3, first 2 shown]
	v_dot4c_i32_i8_e32 v164, v142, v8
	s_waitcnt lgkmcnt(3)
	v_dot4c_i32_i8_e32 v163, v16, v9
	v_add_u32_e32 v16, 0x2148, v37
	v_dot4c_i32_i8_e32 v163, v17, v13
	ds_read2_b32 v[16:17], v16 offset1:1
	s_waitcnt lgkmcnt(3)
	v_dot4c_i32_i8_e32 v163, v18, v10
	v_dot4c_i32_i8_e32 v163, v19, v14
	s_waitcnt lgkmcnt(2)
	v_dot4c_i32_i8_e32 v163, v20, v11
	v_add_u32_e32 v18, 0x2150, v37
	v_add_u32_e32 v20, 0x2158, v37
	;; [unrolled: 1-line block ×3, first 2 shown]
	v_dot4c_i32_i8_e32 v163, v21, v15
	v_dot4c_i32_i8_e32 v164, v143, v12
	ds_read2_b32 v[18:19], v18 offset1:1
	ds_read2_b32 v[20:21], v20 offset1:1
	ds_read2_b32 v[142:143], v142 offset1:1
	s_waitcnt lgkmcnt(3)
	v_dot4c_i32_i8_e32 v164, v16, v9
	v_dot4c_i32_i8_e32 v164, v17, v13
	s_waitcnt lgkmcnt(2)
	v_dot4c_i32_i8_e32 v164, v18, v10
	v_dot4c_i32_i8_e32 v164, v19, v14
	v_mov_b32_e32 v165, 0
	s_waitcnt lgkmcnt(1)
	v_dot4c_i32_i8_e32 v164, v20, v11
	s_waitcnt lgkmcnt(0)
	v_dot4c_i32_i8_e32 v165, v142, v8
	v_add_u32_e32 v16, 0x41c8, v37
	v_add_u32_e32 v18, 0x41d0, v37
	;; [unrolled: 1-line block ×4, first 2 shown]
	v_dot4c_i32_i8_e32 v164, v21, v15
	ds_read2_b32 v[20:21], v45 offset0:4 offset1:5
	ds_read2_b32 v[154:155], v43 offset0:6 offset1:7
	v_dot4c_i32_i8_e32 v165, v143, v12
	ds_read2_b32 v[16:17], v16 offset1:1
	ds_read2_b32 v[18:19], v18 offset1:1
	;; [unrolled: 1-line block ×4, first 2 shown]
	v_mov_b32_e32 v166, 0
	v_mov_b32_e32 v167, 0
	v_mov_b32_e32 v168, 0
	s_waitcnt lgkmcnt(3)
	v_dot4c_i32_i8_e32 v165, v16, v9
	s_waitcnt lgkmcnt(0)
	v_dot4c_i32_i8_e32 v166, v156, v8
	v_add_u32_e32 v8, 0x6248, v37
	v_dot4c_i32_i8_e32 v165, v17, v13
	ds_read2_b32 v[16:17], v8 offset1:1
	v_dot4c_i32_i8_e32 v165, v18, v10
	v_dot4c_i32_i8_e32 v165, v19, v14
	;; [unrolled: 1-line block ×4, first 2 shown]
	v_add_u32_e32 v12, 0x6250, v37
	v_add_u32_e32 v142, 0x6258, v37
	v_dot4c_i32_i8_e32 v165, v143, v15
	v_add_u32_e32 v8, 0x2160, v37
	ds_read2_b32 v[18:19], v12 offset1:1
	ds_read2_b32 v[142:143], v142 offset1:1
	;; [unrolled: 1-line block ×3, first 2 shown]
	s_waitcnt lgkmcnt(3)
	v_dot4c_i32_i8_e32 v166, v16, v9
	v_dot4c_i32_i8_e32 v166, v17, v13
	s_waitcnt lgkmcnt(2)
	v_dot4c_i32_i8_e32 v166, v18, v10
	v_dot4c_i32_i8_e32 v166, v19, v14
	ds_read_b128 v[16:19], v33 offset:96
	s_waitcnt lgkmcnt(2)
	v_dot4c_i32_i8_e32 v166, v142, v11
	ds_read_b128 v[8:11], v33 offset:112
	ds_read2_b32 v[12:13], v37 offset0:58 offset1:59
	v_dot4c_i32_i8_e32 v166, v143, v15
	s_waitcnt lgkmcnt(2)
	v_dot4c_i32_i8_e32 v167, v150, v16
	v_dot4c_i32_i8_e32 v168, v156, v16
	s_waitcnt lgkmcnt(1)
	v_dot4c_i32_i8_e32 v167, v151, v8
	ds_read2_b32 v[14:15], v37 offset0:60 offset1:61
	ds_read2_b32 v[142:143], v39 offset0:4 offset1:5
	;; [unrolled: 1-line block ×3, first 2 shown]
	s_waitcnt lgkmcnt(3)
	v_dot4c_i32_i8_e32 v167, v12, v17
	v_add_u32_e32 v12, 0x2168, v37
	v_dot4c_i32_i8_e32 v167, v13, v9
	ds_read2_b32 v[12:13], v12 offset1:1
	s_waitcnt lgkmcnt(3)
	v_dot4c_i32_i8_e32 v167, v14, v18
	v_dot4c_i32_i8_e32 v167, v15, v10
	s_waitcnt lgkmcnt(1)
	v_dot4c_i32_i8_e32 v167, v150, v19
	v_add_u32_e32 v14, 0x2170, v37
	v_add_u32_e32 v150, 0x2178, v37
	;; [unrolled: 1-line block ×3, first 2 shown]
	v_dot4c_i32_i8_e32 v167, v151, v11
	v_dot4c_i32_i8_e32 v168, v157, v8
	ds_read2_b32 v[14:15], v14 offset1:1
	ds_read2_b32 v[150:151], v150 offset1:1
	;; [unrolled: 1-line block ×3, first 2 shown]
	s_waitcnt lgkmcnt(3)
	v_dot4c_i32_i8_e32 v168, v12, v17
	v_dot4c_i32_i8_e32 v168, v13, v9
	s_waitcnt lgkmcnt(2)
	v_dot4c_i32_i8_e32 v168, v14, v18
	v_dot4c_i32_i8_e32 v168, v15, v10
	v_cvt_f32_i32_e32 v15, v141
	v_cvt_f32_i32_e32 v14, v140
	;; [unrolled: 1-line block ×4, first 2 shown]
	v_mov_b32_e32 v12, v142
	v_mov_b32_e32 v13, v146
	v_pk_mul_f32 v[12:13], v[2:3], v[12:13] op_sel_hi:[0,1]
	v_mov_b32_e32 v146, v143
	v_pk_fma_f32 v[12:13], v[12:13], v[14:15], v[134:135]
	v_pk_mul_f32 v[14:15], v[2:3], v[146:147] op_sel:[1,0]
	s_waitcnt lgkmcnt(1)
	v_dot4c_i32_i8_e32 v168, v150, v19
	v_pk_fma_f32 v[12:13], v[14:15], v[140:141], v[12:13]
	v_cvt_f32_i32_e32 v15, v164
	v_cvt_f32_i32_e32 v14, v163
	v_mov_b32_e32 v134, v148
	v_mov_b32_e32 v135, v144
	v_dot4c_i32_i8_e32 v168, v151, v11
	v_pk_mul_f32 v[134:135], v[4:5], v[134:135] op_sel_hi:[0,1]
	v_pk_fma_f32 v[12:13], v[134:135], v[14:15], v[12:13]
	v_cvt_f32_i32_e32 v14, v167
	v_cvt_f32_i32_e32 v15, v168
	v_mov_b32_e32 v140, v5
	v_mov_b32_e32 v144, v149
	v_pk_mul_f32 v[134:135], v[140:141], v[144:145] op_sel_hi:[0,1]
	v_add_u32_e32 v5, 0x41e8, v37
	v_pk_fma_f32 v[134:135], v[134:135], v[14:15], v[12:13]
	ds_read2_b32 v[12:13], v5 offset1:1
	v_mov_b32_e32 v141, 0
	s_waitcnt lgkmcnt(1)
	v_dot4c_i32_i8_e32 v141, v156, v16
	v_add_u32_e32 v14, 0x41f0, v37
	v_add_u32_e32 v142, 0x41f8, v37
	v_dot4c_i32_i8_e32 v141, v157, v8
	v_add_u32_e32 v5, 0x6260, v37
	ds_read2_b32 v[14:15], v14 offset1:1
	ds_read2_b32 v[142:143], v142 offset1:1
	;; [unrolled: 1-line block ×3, first 2 shown]
	s_waitcnt lgkmcnt(3)
	v_dot4c_i32_i8_e32 v141, v12, v17
	v_add_u32_e32 v5, 0x6268, v37
	v_dot4c_i32_i8_e32 v141, v13, v9
	ds_read2_b32 v[12:13], v5 offset1:1
	s_waitcnt lgkmcnt(3)
	v_dot4c_i32_i8_e32 v141, v14, v18
	v_add_u32_e32 v5, 0x6270, v37
	v_dot4c_i32_i8_e32 v141, v15, v10
	v_mov_b32_e32 v146, 0
	ds_read2_b32 v[14:15], v5 offset1:1
	s_waitcnt lgkmcnt(3)
	v_dot4c_i32_i8_e32 v141, v142, v19
	s_waitcnt lgkmcnt(2)
	v_dot4c_i32_i8_e32 v146, v144, v16
	v_add_u32_e32 v5, 0x6278, v37
	v_dot4c_i32_i8_e32 v141, v143, v11
	v_dot4c_i32_i8_e32 v146, v145, v8
	ds_read2_b32 v[142:143], v5 offset1:1
	s_waitcnt lgkmcnt(2)
	v_dot4c_i32_i8_e32 v146, v12, v17
	v_dot4c_i32_i8_e32 v146, v13, v9
	s_waitcnt lgkmcnt(1)
	v_dot4c_i32_i8_e32 v146, v14, v18
	v_dot4c_i32_i8_e32 v146, v15, v10
	s_waitcnt lgkmcnt(0)
	v_dot4c_i32_i8_e32 v146, v142, v19
	v_dot4c_i32_i8_e32 v146, v143, v11
	v_cvt_f32_i32_e32 v11, v158
	v_cvt_f32_i32_e32 v10, v153
	;; [unrolled: 1-line block ×4, first 2 shown]
	v_mov_b32_e32 v8, v6
	v_mov_b32_e32 v9, v20
	v_pk_mul_f32 v[8:9], v[2:3], v[8:9] op_sel_hi:[0,1]
	v_mov_b32_e32 v20, v7
	v_pk_fma_f32 v[8:9], v[8:9], v[10:11], v[136:137]
	v_pk_mul_f32 v[2:3], v[2:3], v[20:21] op_sel:[1,0]
	v_mov_b32_e32 v6, v154
	v_pk_fma_f32 v[2:3], v[2:3], v[12:13], v[8:9]
	v_mov_b32_e32 v7, v138
	v_cvt_f32_i32_e32 v9, v166
	v_cvt_f32_i32_e32 v8, v165
	v_pk_mul_f32 v[4:5], v[4:5], v[6:7] op_sel_hi:[0,1]
	v_cvt_f32_i32_e32 v7, v146
	v_cvt_f32_i32_e32 v6, v141
	v_mov_b32_e32 v138, v155
	v_pk_fma_f32 v[2:3], v[4:5], v[8:9], v[2:3]
	v_pk_mul_f32 v[4:5], v[140:141], v[138:139] op_sel_hi:[0,1]
	v_pk_fma_f32 v[136:137], v[4:5], v[6:7], v[2:3]
	s_barrier
.LBB202_5:                              ;   in Loop: Header=BB202_6 Depth=1
	s_add_i32 s20, s20, 8
	s_addk_i32 s4, 0x100
	v_lshl_add_u64 v[60:61], v[60:61], 0, s[12:13]
	v_lshl_add_u64 v[62:63], v[62:63], 0, s[22:23]
	;; [unrolled: 1-line block ×36, first 2 shown]
	s_cmp_ge_i32 s20, s26
	v_lshl_add_u64 v[132:133], v[132:133], 0, s[22:23]
	s_cbranch_scc1 .LBB202_20
.LBB202_6:                              ; =>This Inner Loop Header: Depth=1
	v_lshl_add_u64 v[2:3], v[62:63], 0, s[18:19]
	global_load_dword v10, v[2:3], off offset:6
	v_lshl_add_u64 v[2:3], v[64:65], 0, s[18:19]
	global_load_dword v11, v[2:3], off offset:2
	v_lshl_add_u64 v[4:5], v[68:69], 0, s[18:19]
	v_lshl_add_u64 v[2:3], v[66:67], 0, s[18:19]
	global_load_dword v12, v[4:5], off
	global_load_dword v13, v[2:3], off offset:6
	v_lshl_add_u64 v[2:3], v[70:71], 0, s[18:19]
	v_lshl_add_u64 v[6:7], v[74:75], 0, s[18:19]
	;; [unrolled: 1-line block ×4, first 2 shown]
	global_load_dword v14, v[2:3], off offset:6
	s_nop 0
	global_load_dword v2, v[4:5], off
	s_nop 0
	global_load_dword v6, v[6:7], off offset:6
	s_nop 0
	global_load_dword v7, v[8:9], off
	s_add_i32 s2, s4, 0xffffff80
	s_cmp_lt_i32 s2, s5
	s_waitcnt vmcnt(7)
	v_and_b32_e32 v4, 0xf0f0f0f, v10
	v_lshrrev_b32_e32 v5, 4, v10
	s_waitcnt vmcnt(6)
	v_ashrrev_i32_e32 v3, v24, v11
	v_lshlrev_b32_e32 v11, 4, v3
	s_waitcnt vmcnt(5)
	v_ashrrev_i32_e32 v8, v24, v12
	s_waitcnt vmcnt(4)
	v_and_b32_e32 v9, 0xf0f0f0f, v13
	v_lshrrev_b32_e32 v10, 4, v13
	v_lshlrev_b32_e32 v12, 11, v3
	v_lshlrev_b32_e32 v13, 18, v3
	;; [unrolled: 1-line block ×3, first 2 shown]
	v_lshrrev_b32_e32 v16, 12, v3
	v_lshrrev_b32_e32 v17, 5, v3
	v_lshlrev_b32_e32 v18, 2, v3
	v_lshlrev_b32_e32 v3, 9, v3
	;; [unrolled: 1-line block ×6, first 2 shown]
	v_and_b32_e32 v11, 16, v11
	v_and_b32_e32 v12, 0x1000, v12
	;; [unrolled: 1-line block ×13, first 2 shown]
	v_or3_b32 v11, v11, v4, v12
	v_or3_b32 v4, v4, v13, v15
	;; [unrolled: 1-line block ×5, first 2 shown]
	v_and_b32_e32 v15, 0x1f00, v11
	v_lshlrev_b16_e32 v11, 8, v11
	v_and_b32_sdwa v16, v4, s6 dst_sel:DWORD dst_unused:UNUSED_PAD src0_sel:WORD_1 src1_sel:DWORD
	v_lshlrev_b16_sdwa v4, v152, v4 dst_sel:DWORD dst_unused:UNUSED_PAD src0_sel:DWORD src1_sel:WORD_1
	v_or3_b32 v3, v12, v3, v5
	v_and_b32_e32 v5, 0x1f00, v13
	v_lshlrev_b16_e32 v12, 8, v13
	v_and_b32_sdwa v13, v9, s6 dst_sel:DWORD dst_unused:UNUSED_PAD src0_sel:WORD_1 src1_sel:DWORD
	v_lshlrev_b16_sdwa v9, v152, v9 dst_sel:DWORD dst_unused:UNUSED_PAD src0_sel:DWORD src1_sel:WORD_1
	v_add_u16_e32 v11, 0xf000, v11
	v_add_u16_e32 v4, 0xf000, v4
	v_lshlrev_b16_e32 v18, 8, v3
	v_and_b32_sdwa v19, v3, s27 dst_sel:DWORD dst_unused:UNUSED_PAD src0_sel:WORD_1 src1_sel:DWORD
	v_and_b32_e32 v17, 0x1f00, v3
	v_lshlrev_b16_sdwa v3, v152, v3 dst_sel:DWORD dst_unused:UNUSED_PAD src0_sel:DWORD src1_sel:WORD_1
	v_add_u16_e32 v12, 0xf000, v12
	v_add_u16_e32 v9, 0xf000, v9
	v_or_b32_sdwa v11, v15, v11 dst_sel:DWORD dst_unused:UNUSED_PAD src0_sel:DWORD src1_sel:BYTE_1
	v_or_b32_sdwa v4, v16, v4 dst_sel:DWORD dst_unused:UNUSED_PAD src0_sel:DWORD src1_sel:BYTE_1
	v_add_i16 v15, v18, s21 clamp
	v_add_i16 v16, v19, s21 clamp
	;; [unrolled: 1-line block ×3, first 2 shown]
	v_or_b32_sdwa v5, v5, v12 dst_sel:DWORD dst_unused:UNUSED_PAD src0_sel:DWORD src1_sel:BYTE_1
	v_or_b32_sdwa v9, v13, v9 dst_sel:DWORD dst_unused:UNUSED_PAD src0_sel:DWORD src1_sel:BYTE_1
	v_add_u16_e32 v11, 0xf000, v11
	v_add_u16_sdwa v4, v4, s21 dst_sel:WORD_1 dst_unused:UNUSED_PAD src0_sel:DWORD src1_sel:DWORD
	v_or_b32_sdwa v12, v17, v15 dst_sel:DWORD dst_unused:UNUSED_PAD src0_sel:DWORD src1_sel:BYTE_1
	v_and_b32_e32 v13, 0xffffff00, v16
	v_or_b32_e32 v4, v11, v4
	v_add_u16_e32 v11, 0xf000, v12
	v_or_b32_sdwa v3, v3, v13 dst_sel:WORD_1 dst_unused:UNUSED_PAD src0_sel:BYTE_1 src1_sel:DWORD
	v_lshrrev_b32_e32 v139, 12, v8
	v_or_b32_e32 v3, v11, v3
	v_lshrrev_b32_e32 v140, 5, v8
	ds_write2_b32 v26, v4, v3 offset1:1
	v_lshlrev_b32_e32 v4, 2, v8
	v_and_b32_e32 v139, 16, v139
	v_and_b32_e32 v3, 0x1000, v140
	;; [unrolled: 1-line block ×3, first 2 shown]
	v_lshlrev_b32_e32 v8, 9, v8
	v_and_b32_e32 v10, 0xf0f0f0f, v10
	v_and_b32_e32 v8, 0x10000000, v8
	v_or3_b32 v3, v3, v139, v4
	v_or3_b32 v3, v3, v8, v10
	v_lshlrev_b16_e32 v8, 8, v3
	v_and_b32_e32 v4, 0x1f00, v3
	v_add_i16 v8, v8, s21 clamp
	v_or_b32_sdwa v4, v4, v8 dst_sel:DWORD dst_unused:UNUSED_PAD src0_sel:DWORD src1_sel:BYTE_1
	v_and_b32_sdwa v8, v3, s27 dst_sel:DWORD dst_unused:UNUSED_PAD src0_sel:WORD_1 src1_sel:DWORD
	v_add_i16 v8, v8, s21 clamp
	v_lshlrev_b16_sdwa v3, v152, v3 dst_sel:DWORD dst_unused:UNUSED_PAD src0_sel:DWORD src1_sel:WORD_1
	v_and_b32_e32 v8, 0xffffff00, v8
	v_add_i16 v3, v3, s21 clamp
	v_add_u16_e32 v5, 0xf000, v5
	v_add_u16_sdwa v9, v9, s21 dst_sel:WORD_1 dst_unused:UNUSED_PAD src0_sel:DWORD src1_sel:DWORD
	v_add_u16_e32 v4, 0xf000, v4
	v_or_b32_sdwa v3, v3, v8 dst_sel:WORD_1 dst_unused:UNUSED_PAD src0_sel:BYTE_1 src1_sel:DWORD
	v_or_b32_e32 v5, v5, v9
	v_or_b32_e32 v3, v4, v3
	s_waitcnt vmcnt(2)
	v_ashrrev_i32_e32 v8, v24, v2
	ds_write2_b32 v28, v5, v3 offset1:1
	v_lshlrev_b32_e32 v3, 4, v8
	v_lshlrev_b32_e32 v4, 11, v8
	v_and_b32_e32 v2, 0xf0f0f0f, v14
	v_and_b32_e32 v3, 16, v3
	;; [unrolled: 1-line block ×3, first 2 shown]
	v_or3_b32 v3, v3, v2, v4
	v_lshlrev_b32_e32 v4, 18, v8
	v_lshlrev_b32_e32 v5, 25, v8
	v_and_b32_e32 v4, 0x100000, v4
	v_and_b32_e32 v5, 0x10000000, v5
	v_or3_b32 v2, v2, v4, v5
	v_and_b32_e32 v4, 0x1f00, v3
	v_lshlrev_b16_e32 v3, 8, v3
	v_add_u16_e32 v3, 0xf000, v3
	v_or_b32_sdwa v3, v4, v3 dst_sel:DWORD dst_unused:UNUSED_PAD src0_sel:DWORD src1_sel:BYTE_1
	v_add_u16_e32 v9, 0xf000, v3
	v_and_b32_sdwa v3, v2, s6 dst_sel:DWORD dst_unused:UNUSED_PAD src0_sel:WORD_1 src1_sel:DWORD
	v_lshlrev_b16_sdwa v2, v152, v2 dst_sel:DWORD dst_unused:UNUSED_PAD src0_sel:DWORD src1_sel:WORD_1
	v_add_u16_e32 v2, 0xf000, v2
	v_or_b32_sdwa v2, v3, v2 dst_sel:DWORD dst_unused:UNUSED_PAD src0_sel:DWORD src1_sel:BYTE_1
	v_lshl_add_u64 v[4:5], v[80:81], 0, s[18:19]
	v_add_u16_sdwa v10, v2, s21 dst_sel:WORD_1 dst_unused:UNUSED_PAD src0_sel:DWORD src1_sel:DWORD
	v_lshl_add_u64 v[2:3], v[78:79], 0, s[18:19]
	global_load_dword v11, v[4:5], off
	global_load_dword v12, v[2:3], off offset:6
	v_or_b32_e32 v2, v9, v10
	v_lshrrev_b32_e32 v4, 12, v8
	v_lshrrev_b32_e32 v5, 5, v8
	v_lshlrev_b32_e32 v9, 2, v8
	v_lshrrev_b32_e32 v3, 4, v14
	v_and_b32_e32 v4, 16, v4
	v_and_b32_e32 v5, 0x1000, v5
	;; [unrolled: 1-line block ×3, first 2 shown]
	v_lshlrev_b32_e32 v8, 9, v8
	v_and_b32_e32 v3, 0xf0f0f0f, v3
	v_and_b32_e32 v8, 0x10000000, v8
	v_or3_b32 v4, v5, v4, v9
	v_or3_b32 v3, v4, v8, v3
	v_lshlrev_b16_e32 v5, 8, v3
	v_and_b32_e32 v4, 0x1f00, v3
	v_add_i16 v5, v5, s21 clamp
	v_or_b32_sdwa v4, v4, v5 dst_sel:DWORD dst_unused:UNUSED_PAD src0_sel:DWORD src1_sel:BYTE_1
	v_and_b32_sdwa v5, v3, s27 dst_sel:DWORD dst_unused:UNUSED_PAD src0_sel:WORD_1 src1_sel:DWORD
	v_add_i16 v5, v5, s21 clamp
	v_lshlrev_b16_sdwa v3, v152, v3 dst_sel:DWORD dst_unused:UNUSED_PAD src0_sel:DWORD src1_sel:WORD_1
	v_and_b32_e32 v5, 0xffffff00, v5
	v_add_i16 v3, v3, s21 clamp
	v_add_u16_e32 v4, 0xf000, v4
	v_or_b32_sdwa v3, v3, v5 dst_sel:WORD_1 dst_unused:UNUSED_PAD src0_sel:BYTE_1 src1_sel:DWORD
	s_waitcnt vmcnt(2)
	v_ashrrev_i32_e32 v7, v24, v7
	v_or_b32_e32 v3, v4, v3
	ds_write2_b32 v30, v2, v3 offset1:1
	v_lshlrev_b32_e32 v3, 4, v7
	v_lshlrev_b32_e32 v4, 11, v7
	v_and_b32_e32 v2, 0xf0f0f0f, v6
	v_and_b32_e32 v3, 16, v3
	;; [unrolled: 1-line block ×3, first 2 shown]
	v_or3_b32 v3, v3, v2, v4
	v_lshlrev_b32_e32 v4, 18, v7
	v_lshlrev_b32_e32 v5, 25, v7
	v_and_b32_e32 v4, 0x100000, v4
	v_and_b32_e32 v5, 0x10000000, v5
	v_or3_b32 v2, v2, v4, v5
	v_and_b32_e32 v4, 0x1f00, v3
	v_lshlrev_b16_e32 v3, 8, v3
	v_add_u16_e32 v3, 0xf000, v3
	v_or_b32_sdwa v3, v4, v3 dst_sel:DWORD dst_unused:UNUSED_PAD src0_sel:DWORD src1_sel:BYTE_1
	v_add_u16_e32 v8, 0xf000, v3
	v_and_b32_sdwa v3, v2, s6 dst_sel:DWORD dst_unused:UNUSED_PAD src0_sel:WORD_1 src1_sel:DWORD
	v_lshlrev_b16_sdwa v2, v152, v2 dst_sel:DWORD dst_unused:UNUSED_PAD src0_sel:DWORD src1_sel:WORD_1
	v_add_u16_e32 v2, 0xf000, v2
	v_or_b32_sdwa v2, v3, v2 dst_sel:DWORD dst_unused:UNUSED_PAD src0_sel:DWORD src1_sel:BYTE_1
	v_lshl_add_u64 v[4:5], v[84:85], 0, s[18:19]
	v_add_u16_sdwa v9, v2, s21 dst_sel:WORD_1 dst_unused:UNUSED_PAD src0_sel:DWORD src1_sel:DWORD
	v_lshl_add_u64 v[2:3], v[82:83], 0, s[18:19]
	global_load_dword v10, v[4:5], off
	global_load_dword v13, v[2:3], off offset:6
	v_lshrrev_b32_e32 v3, 4, v6
	v_lshrrev_b32_e32 v4, 12, v7
	;; [unrolled: 1-line block ×3, first 2 shown]
	v_lshlrev_b32_e32 v6, 2, v7
	v_and_b32_e32 v4, 16, v4
	v_and_b32_e32 v5, 0x1000, v5
	;; [unrolled: 1-line block ×3, first 2 shown]
	v_lshlrev_b32_e32 v7, 9, v7
	v_and_b32_e32 v3, 0xf0f0f0f, v3
	v_and_b32_e32 v7, 0x10000000, v7
	v_or3_b32 v4, v5, v4, v6
	v_or3_b32 v3, v4, v7, v3
	v_lshlrev_b16_e32 v5, 8, v3
	v_and_b32_e32 v4, 0x1f00, v3
	v_add_i16 v5, v5, s21 clamp
	v_or_b32_sdwa v4, v4, v5 dst_sel:DWORD dst_unused:UNUSED_PAD src0_sel:DWORD src1_sel:BYTE_1
	v_and_b32_sdwa v5, v3, s27 dst_sel:DWORD dst_unused:UNUSED_PAD src0_sel:WORD_1 src1_sel:DWORD
	v_add_i16 v5, v5, s21 clamp
	v_lshlrev_b16_sdwa v3, v152, v3 dst_sel:DWORD dst_unused:UNUSED_PAD src0_sel:DWORD src1_sel:WORD_1
	v_and_b32_e32 v5, 0xffffff00, v5
	v_add_i16 v3, v3, s21 clamp
	v_add_u16_e32 v4, 0xf000, v4
	v_or_b32_sdwa v3, v3, v5 dst_sel:WORD_1 dst_unused:UNUSED_PAD src0_sel:BYTE_1 src1_sel:DWORD
	v_or_b32_e32 v2, v8, v9
	v_or_b32_e32 v3, v4, v3
	ds_write2_b32 v32, v2, v3 offset1:1
	s_waitcnt vmcnt(3)
	v_ashrrev_i32_e32 v6, v24, v11
	v_lshlrev_b32_e32 v3, 4, v6
	v_lshlrev_b32_e32 v4, 11, v6
	s_waitcnt vmcnt(2)
	v_and_b32_e32 v2, 0xf0f0f0f, v12
	v_and_b32_e32 v3, 16, v3
	v_and_b32_e32 v4, 0x1000, v4
	v_or3_b32 v3, v3, v2, v4
	v_lshlrev_b32_e32 v4, 18, v6
	v_lshlrev_b32_e32 v5, 25, v6
	v_and_b32_e32 v4, 0x100000, v4
	v_and_b32_e32 v5, 0x10000000, v5
	v_or3_b32 v2, v2, v4, v5
	v_and_b32_e32 v4, 0x1f00, v3
	v_lshlrev_b16_e32 v3, 8, v3
	v_add_u16_e32 v3, 0xf000, v3
	v_or_b32_sdwa v3, v4, v3 dst_sel:DWORD dst_unused:UNUSED_PAD src0_sel:DWORD src1_sel:BYTE_1
	v_add_u16_e32 v7, 0xf000, v3
	v_and_b32_sdwa v3, v2, s6 dst_sel:DWORD dst_unused:UNUSED_PAD src0_sel:WORD_1 src1_sel:DWORD
	v_lshlrev_b16_sdwa v2, v152, v2 dst_sel:DWORD dst_unused:UNUSED_PAD src0_sel:DWORD src1_sel:WORD_1
	v_add_u16_e32 v2, 0xf000, v2
	v_or_b32_sdwa v2, v3, v2 dst_sel:DWORD dst_unused:UNUSED_PAD src0_sel:DWORD src1_sel:BYTE_1
	v_lshl_add_u64 v[4:5], v[88:89], 0, s[18:19]
	v_add_u16_sdwa v8, v2, s21 dst_sel:WORD_1 dst_unused:UNUSED_PAD src0_sel:DWORD src1_sel:DWORD
	v_lshl_add_u64 v[2:3], v[86:87], 0, s[18:19]
	global_load_dword v9, v[4:5], off
	global_load_dword v11, v[2:3], off offset:6
	v_or_b32_e32 v2, v7, v8
	v_lshrrev_b32_e32 v4, 12, v6
	v_lshrrev_b32_e32 v5, 5, v6
	v_lshlrev_b32_e32 v7, 2, v6
	v_lshrrev_b32_e32 v3, 4, v12
	v_and_b32_e32 v4, 16, v4
	v_and_b32_e32 v5, 0x1000, v5
	v_and_b32_e32 v7, 0x100000, v7
	v_lshlrev_b32_e32 v6, 9, v6
	v_and_b32_e32 v3, 0xf0f0f0f, v3
	v_and_b32_e32 v6, 0x10000000, v6
	v_or3_b32 v4, v5, v4, v7
	v_or3_b32 v3, v4, v6, v3
	v_lshlrev_b16_e32 v5, 8, v3
	v_and_b32_e32 v4, 0x1f00, v3
	v_add_i16 v5, v5, s21 clamp
	v_or_b32_sdwa v4, v4, v5 dst_sel:DWORD dst_unused:UNUSED_PAD src0_sel:DWORD src1_sel:BYTE_1
	v_and_b32_sdwa v5, v3, s27 dst_sel:DWORD dst_unused:UNUSED_PAD src0_sel:WORD_1 src1_sel:DWORD
	v_add_i16 v5, v5, s21 clamp
	v_lshlrev_b16_sdwa v3, v152, v3 dst_sel:DWORD dst_unused:UNUSED_PAD src0_sel:DWORD src1_sel:WORD_1
	v_and_b32_e32 v5, 0xffffff00, v5
	v_add_i16 v3, v3, s21 clamp
	v_add_u16_e32 v4, 0xf000, v4
	v_or_b32_sdwa v3, v3, v5 dst_sel:WORD_1 dst_unused:UNUSED_PAD src0_sel:BYTE_1 src1_sel:DWORD
	s_waitcnt vmcnt(3)
	v_ashrrev_i32_e32 v6, v24, v10
	v_or_b32_e32 v3, v4, v3
	ds_write2_b32 v34, v2, v3 offset1:1
	v_lshlrev_b32_e32 v3, 4, v6
	v_lshlrev_b32_e32 v4, 11, v6
	s_waitcnt vmcnt(2)
	v_and_b32_e32 v2, 0xf0f0f0f, v13
	v_and_b32_e32 v3, 16, v3
	v_and_b32_e32 v4, 0x1000, v4
	v_or3_b32 v3, v3, v2, v4
	v_lshlrev_b32_e32 v4, 18, v6
	v_lshlrev_b32_e32 v5, 25, v6
	v_and_b32_e32 v4, 0x100000, v4
	v_and_b32_e32 v5, 0x10000000, v5
	v_or3_b32 v2, v2, v4, v5
	v_and_b32_e32 v4, 0x1f00, v3
	v_lshlrev_b16_e32 v3, 8, v3
	v_add_u16_e32 v3, 0xf000, v3
	v_or_b32_sdwa v3, v4, v3 dst_sel:DWORD dst_unused:UNUSED_PAD src0_sel:DWORD src1_sel:BYTE_1
	v_add_u16_e32 v7, 0xf000, v3
	v_and_b32_sdwa v3, v2, s6 dst_sel:DWORD dst_unused:UNUSED_PAD src0_sel:WORD_1 src1_sel:DWORD
	v_lshlrev_b16_sdwa v2, v152, v2 dst_sel:DWORD dst_unused:UNUSED_PAD src0_sel:DWORD src1_sel:WORD_1
	v_add_u16_e32 v2, 0xf000, v2
	v_or_b32_sdwa v2, v3, v2 dst_sel:DWORD dst_unused:UNUSED_PAD src0_sel:DWORD src1_sel:BYTE_1
	v_lshl_add_u64 v[4:5], v[92:93], 0, s[18:19]
	v_add_u16_sdwa v8, v2, s21 dst_sel:WORD_1 dst_unused:UNUSED_PAD src0_sel:DWORD src1_sel:DWORD
	v_lshl_add_u64 v[2:3], v[90:91], 0, s[18:19]
	global_load_dword v10, v[4:5], off
	global_load_dword v12, v[2:3], off offset:6
	v_or_b32_e32 v2, v7, v8
	v_lshrrev_b32_e32 v4, 12, v6
	v_lshrrev_b32_e32 v5, 5, v6
	v_lshlrev_b32_e32 v7, 2, v6
	v_lshrrev_b32_e32 v3, 4, v13
	v_and_b32_e32 v4, 16, v4
	v_and_b32_e32 v5, 0x1000, v5
	v_and_b32_e32 v7, 0x100000, v7
	v_lshlrev_b32_e32 v6, 9, v6
	v_and_b32_e32 v3, 0xf0f0f0f, v3
	v_and_b32_e32 v6, 0x10000000, v6
	v_or3_b32 v4, v5, v4, v7
	v_or3_b32 v3, v4, v6, v3
	v_lshlrev_b16_e32 v5, 8, v3
	v_and_b32_e32 v4, 0x1f00, v3
	v_add_i16 v5, v5, s21 clamp
	v_or_b32_sdwa v4, v4, v5 dst_sel:DWORD dst_unused:UNUSED_PAD src0_sel:DWORD src1_sel:BYTE_1
	v_and_b32_sdwa v5, v3, s27 dst_sel:DWORD dst_unused:UNUSED_PAD src0_sel:WORD_1 src1_sel:DWORD
	v_add_i16 v5, v5, s21 clamp
	v_lshlrev_b16_sdwa v3, v152, v3 dst_sel:DWORD dst_unused:UNUSED_PAD src0_sel:DWORD src1_sel:WORD_1
	v_and_b32_e32 v5, 0xffffff00, v5
	v_add_i16 v3, v3, s21 clamp
	v_add_u16_e32 v4, 0xf000, v4
	v_or_b32_sdwa v3, v3, v5 dst_sel:WORD_1 dst_unused:UNUSED_PAD src0_sel:BYTE_1 src1_sel:DWORD
	s_waitcnt vmcnt(3)
	v_ashrrev_i32_e32 v6, v24, v9
	v_or_b32_e32 v3, v4, v3
	ds_write2_b32 v36, v2, v3 offset1:1
	;; [unrolled: 54-line block ×9, first 2 shown]
	v_lshlrev_b32_e32 v3, 4, v6
	v_lshlrev_b32_e32 v4, 11, v6
	s_waitcnt vmcnt(2)
	v_and_b32_e32 v2, 0xf0f0f0f, v12
	v_and_b32_e32 v3, 16, v3
	v_and_b32_e32 v4, 0x1000, v4
	v_or3_b32 v3, v3, v2, v4
	v_lshlrev_b32_e32 v4, 18, v6
	v_lshlrev_b32_e32 v5, 25, v6
	v_and_b32_e32 v4, 0x100000, v4
	v_and_b32_e32 v5, 0x10000000, v5
	v_or3_b32 v2, v2, v4, v5
	v_and_b32_e32 v4, 0x1f00, v3
	v_lshlrev_b16_e32 v3, 8, v3
	v_add_u16_e32 v3, 0xf000, v3
	v_or_b32_sdwa v3, v4, v3 dst_sel:DWORD dst_unused:UNUSED_PAD src0_sel:DWORD src1_sel:BYTE_1
	v_and_b32_sdwa v4, v2, s6 dst_sel:DWORD dst_unused:UNUSED_PAD src0_sel:WORD_1 src1_sel:DWORD
	v_lshlrev_b16_sdwa v2, v152, v2 dst_sel:DWORD dst_unused:UNUSED_PAD src0_sel:DWORD src1_sel:WORD_1
	v_add_u16_e32 v2, 0xf000, v2
	v_or_b32_sdwa v2, v4, v2 dst_sel:DWORD dst_unused:UNUSED_PAD src0_sel:DWORD src1_sel:BYTE_1
	v_add_u16_e32 v3, 0xf000, v3
	v_add_u16_sdwa v2, v2, s21 dst_sel:WORD_1 dst_unused:UNUSED_PAD src0_sel:DWORD src1_sel:DWORD
	v_lshrrev_b32_e32 v10, 12, v6
	v_or_b32_e32 v7, v3, v2
	v_lshrrev_b32_e32 v2, 4, v12
	v_and_b32_e32 v8, 0xf0f0f0f, v2
	v_lshl_add_u64 v[2:3], v[122:123], 0, s[18:19]
	v_lshl_add_u64 v[4:5], v[124:125], 0, s[18:19]
	global_load_dword v4, v[4:5], off
	s_nop 0
	global_load_dword v5, v[2:3], off offset:6
	v_and_b32_e32 v2, 16, v10
	v_lshrrev_b32_e32 v3, 5, v6
	v_lshlrev_b32_e32 v10, 2, v6
	v_and_b32_e32 v3, 0x1000, v3
	v_and_b32_e32 v10, 0x100000, v10
	v_lshlrev_b32_e32 v6, 9, v6
	v_and_b32_e32 v6, 0x10000000, v6
	v_or3_b32 v2, v3, v2, v10
	v_or3_b32 v2, v2, v6, v8
	v_lshlrev_b16_e32 v6, 8, v2
	v_and_b32_e32 v3, 0x1f00, v2
	v_add_i16 v6, v6, s21 clamp
	v_or_b32_sdwa v3, v3, v6 dst_sel:DWORD dst_unused:UNUSED_PAD src0_sel:DWORD src1_sel:BYTE_1
	v_and_b32_sdwa v6, v2, s27 dst_sel:DWORD dst_unused:UNUSED_PAD src0_sel:WORD_1 src1_sel:DWORD
	v_add_i16 v6, v6, s21 clamp
	v_lshlrev_b16_sdwa v2, v152, v2 dst_sel:DWORD dst_unused:UNUSED_PAD src0_sel:DWORD src1_sel:WORD_1
	v_and_b32_e32 v6, 0xffffff00, v6
	v_add_i16 v2, v2, s21 clamp
	v_add_u16_e32 v3, 0xf000, v3
	v_or_b32_sdwa v2, v2, v6 dst_sel:WORD_1 dst_unused:UNUSED_PAD src0_sel:BYTE_1 src1_sel:DWORD
	s_waitcnt vmcnt(3)
	v_ashrrev_i32_e32 v6, v24, v9
	v_or_b32_e32 v2, v3, v2
	ds_write2_b32 v52, v7, v2 offset1:1
	v_lshlrev_b32_e32 v3, 4, v6
	v_lshlrev_b32_e32 v7, 11, v6
	s_waitcnt vmcnt(2)
	v_and_b32_e32 v2, 0xf0f0f0f, v13
	v_and_b32_e32 v3, 16, v3
	;; [unrolled: 1-line block ×3, first 2 shown]
	v_or3_b32 v3, v3, v2, v7
	v_lshlrev_b32_e32 v7, 18, v6
	v_lshlrev_b32_e32 v8, 25, v6
	v_and_b32_e32 v7, 0x100000, v7
	v_and_b32_e32 v8, 0x10000000, v8
	v_or3_b32 v2, v2, v7, v8
	v_and_b32_e32 v7, 0x1f00, v3
	v_lshlrev_b16_e32 v3, 8, v3
	v_add_u16_e32 v3, 0xf000, v3
	v_or_b32_sdwa v3, v7, v3 dst_sel:DWORD dst_unused:UNUSED_PAD src0_sel:DWORD src1_sel:BYTE_1
	v_add_u16_e32 v7, 0xf000, v3
	v_and_b32_sdwa v3, v2, s6 dst_sel:DWORD dst_unused:UNUSED_PAD src0_sel:WORD_1 src1_sel:DWORD
	v_lshlrev_b16_sdwa v2, v152, v2 dst_sel:DWORD dst_unused:UNUSED_PAD src0_sel:DWORD src1_sel:WORD_1
	v_add_u16_e32 v2, 0xf000, v2
	v_or_b32_sdwa v8, v3, v2 dst_sel:DWORD dst_unused:UNUSED_PAD src0_sel:DWORD src1_sel:BYTE_1
	v_lshl_add_u64 v[2:3], v[126:127], 0, s[18:19]
	global_load_ushort v9, v[2:3], off
	v_lshl_add_u64 v[2:3], v[128:129], 0, s[18:19]
	global_load_ushort v10, v[2:3], off
	;; [unrolled: 2-line block ×4, first 2 shown]
	v_add_u16_sdwa v8, v8, s21 dst_sel:WORD_1 dst_unused:UNUSED_PAD src0_sel:DWORD src1_sel:DWORD
	v_lshrrev_b32_e32 v12, 5, v6
	v_or_b32_e32 v3, v7, v8
	v_lshrrev_b32_e32 v7, 4, v13
	v_lshrrev_b32_e32 v8, 12, v6
	v_lshlrev_b32_e32 v13, 2, v6
	v_and_b32_e32 v8, 16, v8
	v_and_b32_e32 v12, 0x1000, v12
	;; [unrolled: 1-line block ×3, first 2 shown]
	v_lshlrev_b32_e32 v6, 9, v6
	v_and_b32_e32 v7, 0xf0f0f0f, v7
	v_and_b32_e32 v6, 0x10000000, v6
	v_or3_b32 v8, v12, v8, v13
	v_or3_b32 v6, v8, v6, v7
	v_lshlrev_b16_e32 v8, 8, v6
	v_and_b32_e32 v7, 0x1f00, v6
	v_add_i16 v8, v8, s21 clamp
	v_or_b32_sdwa v7, v7, v8 dst_sel:DWORD dst_unused:UNUSED_PAD src0_sel:DWORD src1_sel:BYTE_1
	v_and_b32_sdwa v8, v6, s27 dst_sel:DWORD dst_unused:UNUSED_PAD src0_sel:WORD_1 src1_sel:DWORD
	v_add_i16 v8, v8, s21 clamp
	v_lshlrev_b16_sdwa v6, v152, v6 dst_sel:DWORD dst_unused:UNUSED_PAD src0_sel:DWORD src1_sel:WORD_1
	v_and_b32_e32 v8, 0xffffff00, v8
	v_add_i16 v6, v6, s21 clamp
	v_add_u16_e32 v7, 0xf000, v7
	v_or_b32_sdwa v6, v6, v8 dst_sel:WORD_1 dst_unused:UNUSED_PAD src0_sel:BYTE_1 src1_sel:DWORD
	s_waitcnt vmcnt(0)
	v_cvt_f32_f16_e32 v2, v2
	v_or_b32_e32 v6, v7, v6
	ds_write2_b32 v54, v3, v6 offset1:1
	v_ashrrev_i32_e32 v3, v24, v4
	v_lshlrev_b32_e32 v6, 4, v3
	v_lshlrev_b32_e32 v7, 11, v3
	v_and_b32_e32 v4, 0xf0f0f0f, v5
	v_and_b32_e32 v6, 16, v6
	;; [unrolled: 1-line block ×3, first 2 shown]
	v_or3_b32 v6, v6, v4, v7
	v_lshlrev_b32_e32 v7, 18, v3
	v_lshlrev_b32_e32 v8, 25, v3
	v_and_b32_e32 v7, 0x100000, v7
	v_and_b32_e32 v8, 0x10000000, v8
	v_or3_b32 v4, v4, v7, v8
	v_and_b32_e32 v7, 0x1f00, v6
	v_lshlrev_b16_e32 v6, 8, v6
	v_add_u16_e32 v6, 0xf000, v6
	v_or_b32_sdwa v6, v7, v6 dst_sel:DWORD dst_unused:UNUSED_PAD src0_sel:DWORD src1_sel:BYTE_1
	v_and_b32_sdwa v7, v4, s6 dst_sel:DWORD dst_unused:UNUSED_PAD src0_sel:WORD_1 src1_sel:DWORD
	v_lshlrev_b16_sdwa v4, v152, v4 dst_sel:DWORD dst_unused:UNUSED_PAD src0_sel:DWORD src1_sel:WORD_1
	v_add_u16_e32 v4, 0xf000, v4
	v_or_b32_sdwa v4, v7, v4 dst_sel:DWORD dst_unused:UNUSED_PAD src0_sel:DWORD src1_sel:BYTE_1
	v_add_u16_e32 v6, 0xf000, v6
	v_add_u16_sdwa v4, v4, s21 dst_sel:WORD_1 dst_unused:UNUSED_PAD src0_sel:DWORD src1_sel:DWORD
	v_lshrrev_b32_e32 v7, 5, v3
	v_or_b32_e32 v4, v6, v4
	v_lshrrev_b32_e32 v6, 12, v3
	v_lshlrev_b32_e32 v8, 2, v3
	v_lshrrev_b32_e32 v5, 4, v5
	v_and_b32_e32 v6, 16, v6
	v_and_b32_e32 v7, 0x1000, v7
	;; [unrolled: 1-line block ×3, first 2 shown]
	v_lshlrev_b32_e32 v3, 9, v3
	v_and_b32_e32 v5, 0xf0f0f0f, v5
	v_and_b32_e32 v3, 0x10000000, v3
	v_or3_b32 v6, v7, v6, v8
	v_or3_b32 v3, v6, v3, v5
	v_lshlrev_b16_e32 v6, 8, v3
	v_and_b32_e32 v5, 0x1f00, v3
	v_add_i16 v6, v6, s21 clamp
	v_or_b32_sdwa v5, v5, v6 dst_sel:DWORD dst_unused:UNUSED_PAD src0_sel:DWORD src1_sel:BYTE_1
	v_and_b32_sdwa v6, v3, s27 dst_sel:DWORD dst_unused:UNUSED_PAD src0_sel:WORD_1 src1_sel:DWORD
	v_add_i16 v6, v6, s21 clamp
	v_lshlrev_b16_sdwa v3, v152, v3 dst_sel:DWORD dst_unused:UNUSED_PAD src0_sel:DWORD src1_sel:WORD_1
	v_and_b32_e32 v6, 0xffffff00, v6
	v_add_i16 v3, v3, s21 clamp
	v_add_u16_e32 v5, 0xf000, v5
	v_or_b32_sdwa v3, v3, v6 dst_sel:WORD_1 dst_unused:UNUSED_PAD src0_sel:BYTE_1 src1_sel:DWORD
	v_cvt_f32_f16_e32 v6, v10
	v_or_b32_e32 v3, v5, v3
	v_cvt_f32_f16_e32 v5, v9
	ds_write2_b32 v56, v4, v3 offset1:1
	v_cvt_f32_f16_e32 v3, v11
	ds_write_b32 v25, v5
	ds_write_b32 v53, v6
	ds_write_b32 v55, v3
	ds_write_b32 v57, v2
	s_cbranch_scc0 .LBB202_5
; %bb.7:                                ;   in Loop: Header=BB202_6 Depth=1
	v_add_u32_e32 v2, s20, v27
	v_cmp_gt_i32_e64 s[2:3], s8, v2
	s_and_b64 s[24:25], s[0:1], s[2:3]
	s_and_saveexec_b64 s[2:3], s[24:25]
	s_cbranch_execz .LBB202_9
; %bb.8:                                ;   in Loop: Header=BB202_6 Depth=1
	v_add_u32_e32 v2, s20, v51
	v_mad_i64_i32 v[2:3], s[24:25], v2, 36, v[58:59]
	global_load_dword v2, v[2:3], off offset:4
	s_waitcnt vmcnt(0)
	ds_write_b32 v29, v2
.LBB202_9:                              ;   in Loop: Header=BB202_6 Depth=1
	s_or_b64 exec, exec, s[2:3]
	s_and_saveexec_b64 s[24:25], vcc
	s_cbranch_execz .LBB202_12
; %bb.10:                               ;   in Loop: Header=BB202_6 Depth=1
	v_add_u32_e32 v2, s20, v22
	v_cmp_gt_i32_e64 s[2:3], s8, v2
	s_and_b64 s[2:3], s[0:1], s[2:3]
	s_and_b64 exec, exec, s[2:3]
	s_cbranch_execz .LBB202_12
; %bb.11:                               ;   in Loop: Header=BB202_6 Depth=1
	v_add_u32_e32 v2, s20, v23
	v_mad_i64_i32 v[2:3], s[2:3], v2, 36, s[14:15]
	global_load_dword v2, v[2:3], off
	s_waitcnt vmcnt(0)
	v_cvt_f32_f16_e32 v2, v2
	ds_write_b32 v31, v2
.LBB202_12:                             ;   in Loop: Header=BB202_6 Depth=1
	s_or_b64 exec, exec, s[24:25]
	s_waitcnt lgkmcnt(0)
	s_barrier
	ds_read_b128 v[14:17], v33
	ds_read_b128 v[18:21], v33 offset:16
	ds_read_b128 v[2:5], v35
	ds_read2_b32 v[140:141], v37 offset1:1
	ds_read_b128 v[10:13], v33 offset:32
	ds_read_b128 v[6:9], v33 offset:48
	ds_read2_b32 v[138:139], v39 offset1:1
	ds_read2_b32 v[142:143], v37 offset0:2 offset1:3
	v_mov_b32_e32 v153, 0
	s_waitcnt lgkmcnt(4)
	v_dot4c_i32_i8_e32 v153, v140, v14
	v_dot4c_i32_i8_e32 v153, v141, v18
	ds_read2_b32 v[140:141], v37 offset0:4 offset1:5
	ds_read2_b32 v[144:145], v37 offset0:6 offset1:7
	;; [unrolled: 1-line block ×3, first 2 shown]
	s_waitcnt lgkmcnt(3)
	v_dot4c_i32_i8_e32 v153, v142, v15
	v_dot4c_i32_i8_e32 v153, v143, v19
	s_waitcnt lgkmcnt(2)
	v_dot4c_i32_i8_e32 v153, v140, v16
	v_add_u32_e32 v140, 0x2080, v37
	v_dot4c_i32_i8_e32 v153, v141, v20
	ds_read2_b32 v[148:149], v140 offset1:1
	s_waitcnt lgkmcnt(2)
	v_dot4c_i32_i8_e32 v153, v144, v17
	v_add_u32_e32 v144, 0x2088, v37
	v_dot4c_i32_i8_e32 v153, v145, v21
	ds_read2_b32 v[140:141], v41 offset1:1
	ds_read2_b32 v[142:143], v45 offset0:2 offset1:3
	ds_read2_b32 v[144:145], v144 offset1:1
	v_mov_b32_e32 v158, 0
	s_waitcnt lgkmcnt(3)
	v_dot4c_i32_i8_e32 v158, v148, v14
	v_add_u32_e32 v148, 0x2090, v37
	v_add_u32_e32 v150, 0x2098, v37
	;; [unrolled: 1-line block ×3, first 2 shown]
	v_dot4c_i32_i8_e32 v158, v149, v18
	ds_read2_b32 v[148:149], v148 offset1:1
	ds_read2_b32 v[150:151], v150 offset1:1
	ds_read2_b32 v[154:155], v154 offset1:1
	s_waitcnt lgkmcnt(3)
	v_dot4c_i32_i8_e32 v158, v144, v15
	v_dot4c_i32_i8_e32 v158, v145, v19
	s_waitcnt lgkmcnt(2)
	v_dot4c_i32_i8_e32 v158, v148, v16
	v_dot4c_i32_i8_e32 v158, v149, v20
	;; [unrolled: 3-line block ×3, first 2 shown]
	v_mov_b32_e32 v156, v138
	v_mov_b32_e32 v138, 0
	;; [unrolled: 1-line block ×3, first 2 shown]
	v_cvt_f32_i32_e32 v171, v158
	v_cvt_f32_i32_e32 v170, v153
	s_waitcnt lgkmcnt(0)
	v_dot4c_i32_i8_e32 v138, v154, v14
	v_add_u32_e32 v140, 0x4108, v37
	v_add_u32_e32 v153, 0x4110, v37
	;; [unrolled: 1-line block ×3, first 2 shown]
	ds_read2_b32 v[162:163], v37 offset0:26 offset1:27
	ds_read2_b32 v[164:165], v37 offset0:28 offset1:29
	;; [unrolled: 1-line block ×3, first 2 shown]
	ds_read2_b32 v[144:145], v43 offset1:1
	ds_read2_b32 v[148:149], v41 offset0:2 offset1:3
	ds_read2_b32 v[150:151], v39 offset0:2 offset1:3
	v_pk_mul_f32 v[168:169], v[2:3], v[156:157] op_sel_hi:[0,1]
	v_dot4c_i32_i8_e32 v138, v155, v18
	ds_read2_b32 v[154:155], v140 offset1:1
	v_add_u32_e32 v140, 0x6180, v37
	ds_read2_b32 v[156:157], v153 offset1:1
	ds_read2_b32 v[158:159], v158 offset1:1
	;; [unrolled: 1-line block ×3, first 2 shown]
	v_mov_b32_e32 v140, 0
	v_add_u32_e32 v153, 0x6198, v37
	s_waitcnt lgkmcnt(3)
	v_dot4c_i32_i8_e32 v138, v154, v15
	v_dot4c_i32_i8_e32 v138, v155, v19
	s_waitcnt lgkmcnt(0)
	v_dot4c_i32_i8_e32 v140, v160, v14
	v_add_u32_e32 v14, 0x6188, v37
	ds_read2_b32 v[154:155], v14 offset1:1
	v_dot4c_i32_i8_e32 v138, v156, v16
	v_dot4c_i32_i8_e32 v138, v157, v20
	;; [unrolled: 1-line block ×4, first 2 shown]
	v_add_u32_e32 v18, 0x6190, v37
	s_waitcnt lgkmcnt(0)
	v_dot4c_i32_i8_e32 v140, v154, v15
	v_dot4c_i32_i8_e32 v138, v159, v21
	v_add_u32_e32 v14, 0x20a0, v37
	ds_read2_b32 v[156:157], v18 offset1:1
	ds_read2_b32 v[158:159], v153 offset1:1
	;; [unrolled: 1-line block ×3, first 2 shown]
	v_dot4c_i32_i8_e32 v140, v155, v19
	ds_read2_b32 v[18:19], v45 offset1:1
	ds_read2_b32 v[14:15], v43 offset0:2 offset1:3
	ds_read2_b32 v[154:155], v37 offset0:10 offset1:11
	s_waitcnt lgkmcnt(5)
	v_dot4c_i32_i8_e32 v140, v156, v16
	v_dot4c_i32_i8_e32 v140, v157, v20
	s_waitcnt lgkmcnt(4)
	v_dot4c_i32_i8_e32 v140, v158, v17
	s_waitcnt lgkmcnt(2)
	v_mov_b32_e32 v17, v18
	v_mov_b32_e32 v18, 0
	v_dot4c_i32_i8_e32 v18, v146, v10
	v_dot4c_i32_i8_e32 v140, v159, v21
	;; [unrolled: 1-line block ×3, first 2 shown]
	ds_read2_b32 v[146:147], v37 offset0:12 offset1:13
	ds_read2_b32 v[156:157], v37 offset0:14 offset1:15
	ds_read2_b32 v[158:159], v37 offset0:16 offset1:17
	s_waitcnt lgkmcnt(3)
	v_dot4c_i32_i8_e32 v18, v154, v11
	v_dot4c_i32_i8_e32 v18, v155, v7
	v_cvt_f32_i32_e32 v21, v140
	s_waitcnt lgkmcnt(2)
	v_dot4c_i32_i8_e32 v18, v146, v12
	v_add_u32_e32 v140, 0x20a8, v37
	v_dot4c_i32_i8_e32 v18, v147, v8
	ds_read2_b32 v[146:147], v140 offset1:1
	v_cvt_f32_i32_e32 v20, v138
	v_mov_b32_e32 v138, 0
	v_mov_b32_e32 v16, v144
	s_waitcnt lgkmcnt(2)
	v_dot4c_i32_i8_e32 v18, v156, v13
	v_dot4c_i32_i8_e32 v138, v160, v10
	v_add_u32_e32 v144, 0x20b0, v37
	v_dot4c_i32_i8_e32 v18, v157, v9
	v_dot4c_i32_i8_e32 v138, v161, v6
	v_add_u32_e32 v153, 0x20b8, v37
	v_add_u32_e32 v140, 0x4120, v37
	ds_read2_b32 v[154:155], v144 offset1:1
	ds_read2_b32 v[156:157], v153 offset1:1
	;; [unrolled: 1-line block ×3, first 2 shown]
	s_waitcnt lgkmcnt(3)
	v_dot4c_i32_i8_e32 v138, v146, v11
	v_dot4c_i32_i8_e32 v138, v147, v7
	s_waitcnt lgkmcnt(2)
	v_dot4c_i32_i8_e32 v138, v154, v12
	v_dot4c_i32_i8_e32 v138, v155, v8
	v_mov_b32_e32 v144, 0
	s_waitcnt lgkmcnt(1)
	v_dot4c_i32_i8_e32 v138, v156, v13
	s_waitcnt lgkmcnt(0)
	v_dot4c_i32_i8_e32 v144, v160, v10
	v_add_u32_e32 v140, 0x4128, v37
	v_add_u32_e32 v153, 0x4130, v37
	;; [unrolled: 1-line block ×3, first 2 shown]
	v_dot4c_i32_i8_e32 v138, v157, v9
	v_dot4c_i32_i8_e32 v144, v161, v6
	ds_read2_b32 v[146:147], v140 offset1:1
	v_add_u32_e32 v140, 0x61a0, v37
	ds_read2_b32 v[154:155], v153 offset1:1
	ds_read2_b32 v[156:157], v156 offset1:1
	ds_read2_b32 v[160:161], v140 offset1:1
	v_mov_b32_e32 v153, 0
	v_add_u32_e32 v140, 0x61b8, v37
	s_waitcnt lgkmcnt(3)
	v_dot4c_i32_i8_e32 v144, v146, v11
	v_dot4c_i32_i8_e32 v144, v147, v7
	s_waitcnt lgkmcnt(0)
	v_dot4c_i32_i8_e32 v153, v160, v10
	v_dot4c_i32_i8_e32 v153, v161, v6
	v_add_u32_e32 v6, 0x61a8, v37
	ds_read2_b32 v[146:147], v6 offset1:1
	v_dot4c_i32_i8_e32 v144, v154, v12
	v_add_u32_e32 v10, 0x61b0, v37
	v_dot4c_i32_i8_e32 v144, v155, v8
	v_add_u32_e32 v6, 0x20c0, v37
	ds_read2_b32 v[154:155], v10 offset1:1
	ds_read2_b32 v[160:161], v140 offset1:1
	;; [unrolled: 1-line block ×3, first 2 shown]
	s_waitcnt lgkmcnt(3)
	v_dot4c_i32_i8_e32 v153, v146, v11
	v_dot4c_i32_i8_e32 v153, v147, v7
	;; [unrolled: 1-line block ×3, first 2 shown]
	s_waitcnt lgkmcnt(2)
	v_dot4c_i32_i8_e32 v153, v154, v12
	v_dot4c_i32_i8_e32 v144, v157, v9
	;; [unrolled: 1-line block ×3, first 2 shown]
	ds_read_b128 v[154:157], v33 offset:64
	s_waitcnt lgkmcnt(2)
	v_dot4c_i32_i8_e32 v153, v160, v13
	ds_read_b128 v[10:13], v33 offset:80
	ds_read2_b32 v[6:7], v37 offset0:18 offset1:19
	v_mov_b32_e32 v176, 0
	s_waitcnt lgkmcnt(2)
	v_dot4c_i32_i8_e32 v176, v158, v154
	v_dot4c_i32_i8_e32 v153, v161, v9
	s_waitcnt lgkmcnt(1)
	v_dot4c_i32_i8_e32 v176, v159, v10
	ds_read2_b32 v[8:9], v37 offset0:20 offset1:21
	ds_read2_b32 v[146:147], v37 offset0:22 offset1:23
	;; [unrolled: 1-line block ×3, first 2 shown]
	s_waitcnt lgkmcnt(3)
	v_dot4c_i32_i8_e32 v176, v6, v155
	v_add_u32_e32 v6, 0x20c8, v37
	v_dot4c_i32_i8_e32 v176, v7, v11
	ds_read2_b32 v[6:7], v6 offset1:1
	s_waitcnt lgkmcnt(3)
	v_dot4c_i32_i8_e32 v176, v8, v156
	v_dot4c_i32_i8_e32 v176, v9, v12
	v_mov_b32_e32 v177, 0
	s_waitcnt lgkmcnt(2)
	v_dot4c_i32_i8_e32 v176, v146, v157
	v_dot4c_i32_i8_e32 v177, v172, v154
	v_add_u32_e32 v8, 0x20d0, v37
	v_add_u32_e32 v158, 0x4140, v37
	v_dot4c_i32_i8_e32 v176, v147, v13
	v_dot4c_i32_i8_e32 v177, v173, v10
	v_add_u32_e32 v140, 0x20d8, v37
	ds_read2_b32 v[8:9], v8 offset1:1
	ds_read2_b32 v[146:147], v140 offset1:1
	;; [unrolled: 1-line block ×3, first 2 shown]
	s_waitcnt lgkmcnt(3)
	v_dot4c_i32_i8_e32 v177, v6, v155
	v_add_u32_e32 v6, 0x4148, v37
	v_dot4c_i32_i8_e32 v177, v7, v11
	ds_read2_b32 v[6:7], v6 offset1:1
	s_waitcnt lgkmcnt(3)
	v_dot4c_i32_i8_e32 v177, v8, v156
	v_dot4c_i32_i8_e32 v177, v9, v12
	v_mov_b32_e32 v178, 0
	s_waitcnt lgkmcnt(2)
	v_dot4c_i32_i8_e32 v177, v146, v157
	s_waitcnt lgkmcnt(1)
	v_dot4c_i32_i8_e32 v178, v158, v154
	v_add_u32_e32 v8, 0x4150, v37
	v_add_u32_e32 v158, 0x61c0, v37
	v_dot4c_i32_i8_e32 v177, v147, v13
	v_dot4c_i32_i8_e32 v178, v159, v10
	v_add_u32_e32 v140, 0x4158, v37
	ds_read2_b32 v[8:9], v8 offset1:1
	ds_read2_b32 v[146:147], v140 offset1:1
	ds_read2_b32 v[158:159], v158 offset1:1
	s_waitcnt lgkmcnt(3)
	v_dot4c_i32_i8_e32 v178, v6, v155
	v_add_u32_e32 v6, 0x61c8, v37
	v_dot4c_i32_i8_e32 v178, v7, v11
	ds_read2_b32 v[6:7], v6 offset1:1
	s_waitcnt lgkmcnt(3)
	v_dot4c_i32_i8_e32 v178, v8, v156
	v_dot4c_i32_i8_e32 v178, v9, v12
	v_mov_b32_e32 v179, 0
	s_waitcnt lgkmcnt(2)
	v_dot4c_i32_i8_e32 v178, v146, v157
	s_waitcnt lgkmcnt(1)
	v_dot4c_i32_i8_e32 v179, v158, v154
	v_add_u32_e32 v8, 0x61d0, v37
	v_dot4c_i32_i8_e32 v178, v147, v13
	v_dot4c_i32_i8_e32 v179, v159, v10
	v_add_u32_e32 v10, 0x61d8, v37
	v_add_u32_e32 v140, 0x20e0, v37
	ds_read2_b32 v[8:9], v8 offset1:1
	ds_read2_b32 v[146:147], v10 offset1:1
	;; [unrolled: 1-line block ×3, first 2 shown]
	s_waitcnt lgkmcnt(3)
	v_dot4c_i32_i8_e32 v179, v6, v155
	v_dot4c_i32_i8_e32 v179, v7, v11
	s_waitcnt lgkmcnt(2)
	v_dot4c_i32_i8_e32 v179, v8, v156
	v_dot4c_i32_i8_e32 v179, v9, v12
	ds_read_b128 v[6:9], v33 offset:96
	ds_read_b128 v[158:161], v33 offset:112
	v_add_u32_e32 v10, 0x20e8, v37
	ds_read2_b32 v[10:11], v10 offset1:1
	s_waitcnt lgkmcnt(4)
	v_dot4c_i32_i8_e32 v179, v146, v157
	v_mov_b32_e32 v157, 0
	s_waitcnt lgkmcnt(2)
	v_dot4c_i32_i8_e32 v157, v172, v6
	s_waitcnt lgkmcnt(1)
	v_dot4c_i32_i8_e32 v157, v173, v158
	v_add_u32_e32 v12, 0x20f0, v37
	v_add_u32_e32 v154, 0x4160, v37
	v_dot4c_i32_i8_e32 v179, v147, v13
	v_mov_b32_e32 v156, 0
	v_add_u32_e32 v140, 0x20f8, v37
	ds_read2_b32 v[12:13], v12 offset1:1
	ds_read2_b32 v[146:147], v140 offset1:1
	;; [unrolled: 1-line block ×3, first 2 shown]
	s_waitcnt lgkmcnt(3)
	v_dot4c_i32_i8_e32 v157, v10, v7
	v_dot4c_i32_i8_e32 v156, v174, v6
	;; [unrolled: 1-line block ×3, first 2 shown]
	v_cvt_f32_i32_e32 v11, v138
	v_cvt_f32_i32_e32 v10, v18
	v_dot4c_i32_i8_e32 v156, v175, v158
	v_dot4c_i32_i8_e32 v156, v162, v7
	s_waitcnt lgkmcnt(2)
	v_dot4c_i32_i8_e32 v157, v12, v8
	v_mov_b32_e32 v140, v139
	v_dot4c_i32_i8_e32 v156, v163, v159
	v_dot4c_i32_i8_e32 v157, v13, v160
	v_pk_fma_f32 v[12:13], v[168:169], v[170:171], v[134:135]
	v_pk_mul_f32 v[134:135], v[2:3], v[140:141] op_sel:[1,0]
	v_dot4c_i32_i8_e32 v156, v164, v8
	v_pk_fma_f32 v[10:11], v[134:135], v[10:11], v[12:13]
	v_cvt_f32_i32_e32 v13, v177
	v_cvt_f32_i32_e32 v12, v176
	v_dot4c_i32_i8_e32 v156, v165, v160
	v_dot4c_i32_i8_e32 v156, v166, v9
	s_waitcnt lgkmcnt(1)
	v_dot4c_i32_i8_e32 v157, v146, v9
	v_mov_b32_e32 v134, v150
	v_mov_b32_e32 v135, v148
	v_dot4c_i32_i8_e32 v156, v167, v161
	v_dot4c_i32_i8_e32 v157, v147, v161
	v_pk_mul_f32 v[134:135], v[4:5], v[134:135] op_sel_hi:[0,1]
	v_pk_fma_f32 v[10:11], v[134:135], v[12:13], v[10:11]
	v_cvt_f32_i32_e32 v12, v156
	v_cvt_f32_i32_e32 v13, v157
	v_mov_b32_e32 v138, v5
	v_mov_b32_e32 v148, v151
	v_pk_mul_f32 v[134:135], v[138:139], v[148:149] op_sel_hi:[0,1]
	v_add_u32_e32 v5, 0x4168, v37
	v_pk_fma_f32 v[134:135], v[134:135], v[12:13], v[10:11]
	ds_read2_b32 v[10:11], v5 offset1:1
	v_mov_b32_e32 v139, 0
	s_waitcnt lgkmcnt(1)
	v_dot4c_i32_i8_e32 v139, v154, v6
	v_add_u32_e32 v12, 0x4170, v37
	v_dot4c_i32_i8_e32 v139, v155, v158
	v_add_u32_e32 v18, 0x4178, v37
	v_add_u32_e32 v5, 0x61e0, v37
	ds_read2_b32 v[12:13], v12 offset1:1
	ds_read2_b32 v[140:141], v18 offset1:1
	;; [unrolled: 1-line block ×3, first 2 shown]
	s_waitcnt lgkmcnt(3)
	v_dot4c_i32_i8_e32 v139, v10, v7
	v_add_u32_e32 v5, 0x61e8, v37
	v_dot4c_i32_i8_e32 v139, v11, v159
	ds_read2_b32 v[10:11], v5 offset1:1
	s_waitcnt lgkmcnt(3)
	v_dot4c_i32_i8_e32 v139, v12, v8
	v_add_u32_e32 v5, 0x61f0, v37
	v_dot4c_i32_i8_e32 v139, v13, v160
	v_mov_b32_e32 v148, 0
	ds_read2_b32 v[12:13], v5 offset1:1
	s_waitcnt lgkmcnt(3)
	v_dot4c_i32_i8_e32 v139, v140, v9
	s_waitcnt lgkmcnt(2)
	v_dot4c_i32_i8_e32 v148, v146, v6
	v_add_u32_e32 v5, 0x61f8, v37
	v_dot4c_i32_i8_e32 v139, v141, v161
	v_dot4c_i32_i8_e32 v148, v147, v158
	ds_read2_b32 v[140:141], v5 offset1:1
	s_waitcnt lgkmcnt(2)
	v_dot4c_i32_i8_e32 v148, v10, v7
	v_dot4c_i32_i8_e32 v148, v11, v159
	v_cvt_f32_i32_e32 v7, v153
	v_cvt_f32_i32_e32 v6, v144
	s_waitcnt lgkmcnt(1)
	v_dot4c_i32_i8_e32 v148, v12, v8
	v_pk_mul_f32 v[16:17], v[2:3], v[16:17] op_sel_hi:[0,1]
	v_dot4c_i32_i8_e32 v148, v13, v160
	v_mov_b32_e32 v18, v145
	s_waitcnt lgkmcnt(0)
	v_dot4c_i32_i8_e32 v148, v140, v9
	v_pk_fma_f32 v[8:9], v[16:17], v[20:21], v[136:137]
	v_pk_mul_f32 v[2:3], v[2:3], v[18:19] op_sel:[1,0]
	v_dot4c_i32_i8_e32 v148, v141, v161
	v_pk_fma_f32 v[2:3], v[2:3], v[6:7], v[8:9]
	v_mov_b32_e32 v6, v14
	v_mov_b32_e32 v7, v142
	v_cvt_f32_i32_e32 v9, v179
	v_cvt_f32_i32_e32 v8, v178
	v_pk_mul_f32 v[4:5], v[4:5], v[6:7] op_sel_hi:[0,1]
	v_cvt_f32_i32_e32 v7, v148
	v_cvt_f32_i32_e32 v6, v139
	v_mov_b32_e32 v142, v15
	v_pk_fma_f32 v[2:3], v[4:5], v[8:9], v[2:3]
	v_pk_mul_f32 v[4:5], v[138:139], v[142:143] op_sel_hi:[0,1]
	v_pk_fma_f32 v[136:137], v[4:5], v[6:7], v[2:3]
	s_cmp_ge_i32 s4, s5
	s_barrier
	s_cbranch_scc1 .LBB202_5
; %bb.13:                               ;   in Loop: Header=BB202_6 Depth=1
	v_add_u32_e32 v2, s20, v47
	v_cmp_gt_i32_e64 s[2:3], s8, v2
	s_and_b64 s[24:25], s[0:1], s[2:3]
	s_and_saveexec_b64 s[2:3], s[24:25]
	s_cbranch_execz .LBB202_15
; %bb.14:                               ;   in Loop: Header=BB202_6 Depth=1
	v_add_u32_e32 v2, s20, v49
	v_mad_i64_i32 v[2:3], s[24:25], v2, 36, v[58:59]
	global_load_dword v2, v[2:3], off offset:4
	s_waitcnt vmcnt(0)
	ds_write_b32 v29, v2
.LBB202_15:                             ;   in Loop: Header=BB202_6 Depth=1
	s_or_b64 exec, exec, s[2:3]
	s_and_saveexec_b64 s[24:25], vcc
	s_cbranch_execz .LBB202_4
; %bb.16:                               ;   in Loop: Header=BB202_6 Depth=1
	v_add3_u32 v2, v22, s20, 4
	v_cmp_gt_i32_e64 s[2:3], s8, v2
	s_and_b64 s[2:3], s[0:1], s[2:3]
	s_and_b64 exec, exec, s[2:3]
	s_cbranch_execz .LBB202_4
; %bb.17:                               ;   in Loop: Header=BB202_6 Depth=1
	global_load_dword v2, v[60:61], off
	s_waitcnt vmcnt(0)
	v_cvt_f32_f16_e32 v2, v2
	ds_write_b32 v31, v2
	s_branch .LBB202_4
.LBB202_18:
	v_mov_b32_e32 v2, 0
	s_mul_i32 s0, s10, s7
	s_waitcnt vmcnt(0)
	v_cmp_gt_i32_e32 vcc, s0, v1
	s_and_saveexec_b64 s[0:1], vcc
	s_cbranch_execnz .LBB202_21
.LBB202_19:
	s_endpgm
.LBB202_20:
	v_cvt_f16_f32_e32 v2, v135
	v_cvt_f16_f32_e32 v3, v134
	;; [unrolled: 1-line block ×4, first 2 shown]
	v_pack_b32_f16 v2, v3, v2
	v_pack_b32_f16 v3, v5, v4
	s_mul_i32 s0, s10, s7
	v_cmp_gt_i32_e32 vcc, s0, v1
	s_and_saveexec_b64 s[0:1], vcc
	s_cbranch_execz .LBB202_19
.LBB202_21:
	v_and_b32_e32 v0, 0x3ff, v0
	v_add_u32_e32 v4, s11, v0
	v_mul_lo_u32 v0, v1, s9
	v_cmp_gt_u32_e32 vcc, s9, v4
	s_and_saveexec_b64 s[0:1], vcc
	s_cbranch_execz .LBB202_23
; %bb.22:
	v_add_u32_e32 v6, v0, v4
	v_mov_b32_e32 v7, 0
	v_lshl_add_u64 v[6:7], v[6:7], 1, s[16:17]
	global_store_short v[6:7], v2, off
.LBB202_23:
	s_or_b64 exec, exec, s[0:1]
	v_add_u32_e32 v1, 32, v4
	v_cmp_gt_u32_e32 vcc, s9, v1
	s_and_saveexec_b64 s[0:1], vcc
	s_cbranch_execz .LBB202_25
; %bb.24:
	v_add_u32_e32 v6, v0, v1
	v_mov_b32_e32 v7, 0
	v_lshl_add_u64 v[6:7], v[6:7], 1, s[16:17]
	global_store_short_d16_hi v[6:7], v2, off
.LBB202_25:
	s_or_b64 exec, exec, s[0:1]
	v_add_u32_e32 v1, 64, v4
	v_cmp_gt_u32_e32 vcc, s9, v1
	s_and_saveexec_b64 s[0:1], vcc
	s_cbranch_execz .LBB202_27
; %bb.26:
	v_add_u32_e32 v6, v0, v1
	v_mov_b32_e32 v7, 0
	v_lshl_add_u64 v[6:7], v[6:7], 1, s[16:17]
	global_store_short v[6:7], v3, off
.LBB202_27:
	s_or_b64 exec, exec, s[0:1]
	v_add_u32_e32 v1, 0x60, v4
	v_cmp_gt_u32_e32 vcc, s9, v1
	s_and_b64 exec, exec, vcc
	s_cbranch_execz .LBB202_19
; %bb.28:
	v_add_u32_e32 v0, v0, v1
	v_mov_b32_e32 v1, 0
	v_lshl_add_u64 v[0:1], v[0:1], 1, s[16:17]
	global_store_short_d16_hi v[0:1], v3, off
	s_endpgm
	.section	.rodata,"a",@progbits
	.p2align	6, 0x0
	.amdhsa_kernel _ZL8moe_q5_0IN3c104HalfELb1EEvPKvS3_PT_PKiS7_S7_iiiiiii
		.amdhsa_group_segment_fixed_size 38656
		.amdhsa_private_segment_fixed_size 0
		.amdhsa_kernarg_size 76
		.amdhsa_user_sgpr_count 2
		.amdhsa_user_sgpr_dispatch_ptr 0
		.amdhsa_user_sgpr_queue_ptr 0
		.amdhsa_user_sgpr_kernarg_segment_ptr 1
		.amdhsa_user_sgpr_dispatch_id 0
		.amdhsa_user_sgpr_kernarg_preload_length 0
		.amdhsa_user_sgpr_kernarg_preload_offset 0
		.amdhsa_user_sgpr_private_segment_size 0
		.amdhsa_uses_dynamic_stack 0
		.amdhsa_enable_private_segment 0
		.amdhsa_system_sgpr_workgroup_id_x 1
		.amdhsa_system_sgpr_workgroup_id_y 1
		.amdhsa_system_sgpr_workgroup_id_z 0
		.amdhsa_system_sgpr_workgroup_info 0
		.amdhsa_system_vgpr_workitem_id 1
		.amdhsa_next_free_vgpr 180
		.amdhsa_next_free_sgpr 28
		.amdhsa_accum_offset 180
		.amdhsa_reserve_vcc 1
		.amdhsa_float_round_mode_32 0
		.amdhsa_float_round_mode_16_64 0
		.amdhsa_float_denorm_mode_32 3
		.amdhsa_float_denorm_mode_16_64 3
		.amdhsa_dx10_clamp 1
		.amdhsa_ieee_mode 1
		.amdhsa_fp16_overflow 0
		.amdhsa_tg_split 0
		.amdhsa_exception_fp_ieee_invalid_op 0
		.amdhsa_exception_fp_denorm_src 0
		.amdhsa_exception_fp_ieee_div_zero 0
		.amdhsa_exception_fp_ieee_overflow 0
		.amdhsa_exception_fp_ieee_underflow 0
		.amdhsa_exception_fp_ieee_inexact 0
		.amdhsa_exception_int_div_zero 0
	.end_amdhsa_kernel
	.section	.text._ZL8moe_q5_0IN3c104HalfELb1EEvPKvS3_PT_PKiS7_S7_iiiiiii,"axG",@progbits,_ZL8moe_q5_0IN3c104HalfELb1EEvPKvS3_PT_PKiS7_S7_iiiiiii,comdat
.Lfunc_end202:
	.size	_ZL8moe_q5_0IN3c104HalfELb1EEvPKvS3_PT_PKiS7_S7_iiiiiii, .Lfunc_end202-_ZL8moe_q5_0IN3c104HalfELb1EEvPKvS3_PT_PKiS7_S7_iiiiiii
                                        ; -- End function
	.section	.AMDGPU.csdata,"",@progbits
; Kernel info:
; codeLenInByte = 12940
; NumSgprs: 34
; NumVgprs: 180
; NumAgprs: 0
; TotalNumVgprs: 180
; ScratchSize: 0
; MemoryBound: 0
; FloatMode: 240
; IeeeMode: 1
; LDSByteSize: 38656 bytes/workgroup (compile time only)
; SGPRBlocks: 4
; VGPRBlocks: 22
; NumSGPRsForWavesPerEU: 34
; NumVGPRsForWavesPerEU: 180
; AccumOffset: 180
; Occupancy: 1
; WaveLimiterHint : 1
; COMPUTE_PGM_RSRC2:SCRATCH_EN: 0
; COMPUTE_PGM_RSRC2:USER_SGPR: 2
; COMPUTE_PGM_RSRC2:TRAP_HANDLER: 0
; COMPUTE_PGM_RSRC2:TGID_X_EN: 1
; COMPUTE_PGM_RSRC2:TGID_Y_EN: 1
; COMPUTE_PGM_RSRC2:TGID_Z_EN: 0
; COMPUTE_PGM_RSRC2:TIDIG_COMP_CNT: 1
; COMPUTE_PGM_RSRC3_GFX90A:ACCUM_OFFSET: 44
; COMPUTE_PGM_RSRC3_GFX90A:TG_SPLIT: 0
	.section	.text._ZL8moe_q5_1IN3c104HalfELb0EEvPKvS3_PT_PKiS7_S7_iiiiiii,"axG",@progbits,_ZL8moe_q5_1IN3c104HalfELb0EEvPKvS3_PT_PKiS7_S7_iiiiiii,comdat
	.globl	_ZL8moe_q5_1IN3c104HalfELb0EEvPKvS3_PT_PKiS7_S7_iiiiiii ; -- Begin function _ZL8moe_q5_1IN3c104HalfELb0EEvPKvS3_PT_PKiS7_S7_iiiiiii
	.p2align	8
	.type	_ZL8moe_q5_1IN3c104HalfELb0EEvPKvS3_PT_PKiS7_S7_iiiiiii,@function
_ZL8moe_q5_1IN3c104HalfELb0EEvPKvS3_PT_PKiS7_S7_iiiiiii: ; @_ZL8moe_q5_1IN3c104HalfELb0EEvPKvS3_PT_PKiS7_S7_iiiiiii
; %bb.0:
	s_load_dwordx4 s[4:7], s[0:1], 0x18
	s_mov_b32 s8, s3
	s_mov_b32 s9, 0
	s_lshl_b64 s[10:11], s[8:9], 2
	s_waitcnt lgkmcnt(0)
	s_add_u32 s6, s6, s10
	s_addc_u32 s7, s7, s11
	s_load_dword s3, s[6:7], 0x0
	s_waitcnt lgkmcnt(0)
	s_cmpk_gt_u32 s3, 0xff
	s_cbranch_scc1 .LBB203_19
; %bb.1:
	s_load_dwordx2 s[6:7], s[0:1], 0x28
	s_waitcnt lgkmcnt(0)
	s_load_dword s7, s[6:7], 0x0
	s_lshl_b32 s6, s8, 3
	s_waitcnt lgkmcnt(0)
	s_cmp_gt_u32 s6, s7
	s_cbranch_scc1 .LBB203_19
; %bb.2:
	v_bfe_u32 v4, v0, 10, 10
	v_mov_b32_e32 v6, s4
	v_mov_b32_e32 v7, s5
	v_add_u32_e32 v2, s6, v4
	v_mov_b32_e32 v3, 0
	v_lshl_add_u64 v[6:7], v[2:3], 2, v[6:7]
	global_load_dword v1, v[6:7], off
	s_load_dwordx2 s[14:15], s[0:1], 0x30
	s_load_dwordx2 s[12:13], s[0:1], 0x10
	s_load_dwordx4 s[4:7], s[0:1], 0x3c
	s_lshl_b32 s24, s2, 7
	s_waitcnt lgkmcnt(0)
	s_cmp_lt_i32 s15, 32
	s_cbranch_scc1 .LBB203_18
; %bb.3:
	s_load_dwordx4 s[8:11], s[0:1], 0x0
	s_ashr_i32 s0, s15, 31
	s_ashr_i32 s1, s5, 31
	s_lshr_b32 s0, s0, 27
	s_lshr_b32 s1, s1, 27
	s_add_i32 s0, s15, s0
	s_add_i32 s1, s5, s1
	v_and_b32_e32 v22, 0x3ff, v0
	s_ashr_i32 s25, s0, 5
	s_ashr_i32 s5, s1, 5
	v_lshlrev_b32_e32 v3, 3, v22
	s_movk_i32 s1, 0x104
	v_mul_lo_u32 v9, s25, v4
	v_mad_u32_u24 v122, v4, s1, v3
	s_lshl_b32 s1, s25, 3
	v_add_u32_e32 v10, s1, v9
	v_add_u32_e32 v11, s1, v10
	;; [unrolled: 1-line block ×13, first 2 shown]
	v_lshlrev_b32_e32 v5, 2, v4
	v_lshrrev_b32_e32 v138, 3, v22
	v_add_u32_e32 v86, s1, v82
	v_and_b32_e32 v100, 7, v22
	v_add_u32_e32 v3, v138, v5
	v_add_u32_e32 v90, s1, v86
	v_and_b32_e32 v6, 0x1ffc, v3
	v_lshlrev_b32_e32 v7, 2, v100
	s_mov_b32 s1, 0x8200
	v_add3_u32 v104, v6, v7, s1
	v_add_u32_e32 v6, 32, v3
	v_lshlrev_b32_e32 v2, 2, v22
	v_mov_b32_e32 v25, 0
	v_mul_lo_u32 v94, s25, v3
	v_lshlrev_b32_e32 v105, 5, v3
	v_and_b32_e32 v23, 0x3ffc, v6
	v_lshlrev_b32_e32 v107, 5, v6
	v_add_u32_e32 v6, 64, v3
	v_add_u32_e32 v3, 0x60, v3
	v_and_b32_e32 v24, 12, v2
	v_add3_u32 v106, v23, v7, s1
	v_and_b32_e32 v23, 0x3ffc, v6
	v_lshlrev_b32_e32 v109, 5, v6
	v_and_b32_e32 v6, 0x3ffc, v3
	v_lshlrev_b32_e32 v111, 5, v3
	v_and_b32_e32 v2, 28, v2
	v_mov_b32_e32 v3, v25
	v_add3_u32 v110, v6, v7, s1
	v_and_b32_e32 v6, 31, v22
	s_waitcnt lgkmcnt(0)
	v_lshl_add_u64 v[26:27], s[10:11], 0, v[2:3]
	v_lshlrev_b32_e32 v2, 7, v4
	v_lshl_or_b32 v3, v6, 2, v2
	v_add_u32_e32 v139, 0x9280, v3
	v_or_b32_e32 v3, v5, v22
	v_mov_b32_e32 v5, 0x9680
	v_lshl_add_u32 v140, v3, 2, v5
	v_add_u32_e32 v141, 0x9280, v2
	v_and_b32_e32 v2, 0xfc, v22
	v_lshlrev_b32_e32 v3, 5, v22
	v_add3_u32 v144, v3, v2, s1
	v_add_u32_e32 v2, 32, v22
	v_lshl_add_u32 v142, v4, 4, v5
	v_and_b32_e32 v3, 0x1fc, v2
	v_lshlrev_b32_e32 v4, 5, v2
	v_add3_u32 v145, v4, v3, s1
	v_add_u32_e32 v3, 64, v22
	s_mul_i32 s16, s3, s14
	v_and_b32_e32 v4, 0x1fc, v3
	v_lshlrev_b32_e32 v3, 5, v3
	s_abs_i32 s3, s7
	v_add3_u32 v146, v3, v4, s1
	v_cvt_f32_u32_e32 v4, s3
	v_add_u32_e32 v3, 0x60, v22
	v_and_b32_e32 v5, 0x1fc, v3
	v_lshlrev_b32_e32 v3, 5, v3
	v_add3_u32 v147, v3, v5, s1
	v_rcp_iflag_f32_e32 v3, v4
	s_andn2_b32 s0, s0, 31
	v_add_u32_e32 v96, s0, v94
	v_add_u32_e32 v98, s0, v96
	v_mul_f32_e32 v3, 0x4f7ffffe, v3
	v_cvt_u32_f32_e32 v3, v3
	v_add_u32_e32 v101, s0, v98
	s_sub_i32 s0, 0, s3
	s_waitcnt vmcnt(0)
	v_sub_u32_e32 v4, 0, v1
	v_mul_lo_u32 v5, s0, v3
	v_mul_hi_u32 v5, v3, v5
	v_max_i32_e32 v4, v1, v4
	v_add_u32_e32 v3, v3, v5
	v_mul_hi_u32 v3, v4, v3
	v_mul_lo_u32 v5, v3, s3
	v_sub_u32_e32 v4, v4, v5
	v_add3_u32 v108, v23, v7, s1
	v_add_u32_e32 v5, 1, v3
	v_cmp_le_u32_e64 s[0:1], s3, v4
	v_lshrrev_b32_e32 v148, 3, v2
	v_xor_b32_e32 v2, s7, v1
	v_cndmask_b32_e64 v3, v3, v5, s[0:1]
	v_subrev_u32_e32 v5, s3, v4
	v_cndmask_b32_e64 v4, v4, v5, s[0:1]
	v_add_u32_e32 v5, 1, v3
	v_cmp_le_u32_e64 s[0:1], s3, v4
	v_ashrrev_i32_e32 v2, 31, v2
	v_mov_b32_e32 v23, v25
	v_cndmask_b32_e64 v3, v3, v5, s[0:1]
	v_xor_b32_e32 v3, v3, v2
	v_sub_u32_e32 v2, v3, v2
	v_cmp_gt_i32_e64 s[0:1], s4, v2
	v_mul_lo_u32 v2, v2, s5
	v_ashrrev_i32_e32 v3, 31, v2
	s_mul_i32 s2, s25, s24
	v_lshl_add_u64 v[4:5], v[2:3], 0, v[22:23]
	v_mad_u64_u32 v[6:7], s[20:21], v4, 36, s[10:11]
	s_mul_hi_i32 s3, s2, 24
	s_mul_i32 s14, s2, 24
	v_lshrrev_b32_e32 v8, 2, v22
	v_mad_i32_i24 v7, v5, 36, v7
	s_mov_b64 s[20:21], 0x90
	v_add_u32_e32 v23, v22, v2
	v_add_u32_e32 v149, v148, v2
	;; [unrolled: 1-line block ×3, first 2 shown]
	v_mov_b32_e32 v2, s14
	v_mov_b32_e32 v3, s3
	v_lshl_add_u64 v[28:29], v[6:7], 0, s[20:21]
	v_mad_u64_u32 v[2:3], s[20:21], v8, 24, v[2:3]
	v_mad_u64_u32 v[4:5], s[20:21], v9, 24, v[2:3]
	v_lshl_add_u64 v[6:7], v[4:5], 0, v[24:25]
	v_lshl_add_u64 v[32:33], s[8:9], 0, v[4:5]
	v_mad_u64_u32 v[4:5], s[20:21], v10, 24, v[2:3]
	v_lshl_add_u64 v[6:7], v[6:7], 0, s[8:9]
	v_lshl_add_u64 v[4:5], v[4:5], 0, s[8:9]
	;; [unrolled: 1-line block ×5, first 2 shown]
	v_mad_u64_u32 v[4:5], s[20:21], v11, 24, v[2:3]
	v_lshl_add_u64 v[4:5], v[4:5], 0, s[8:9]
	v_lshl_add_u64 v[34:35], v[6:7], 0, 8
	v_lshl_add_u64 v[6:7], v[4:5], 0, v[24:25]
	v_lshl_add_u64 v[40:41], v[4:5], 0, 4
	v_mad_u64_u32 v[4:5], s[20:21], v12, 24, v[2:3]
	v_lshl_add_u64 v[4:5], v[4:5], 0, s[8:9]
	v_lshl_add_u64 v[38:39], v[6:7], 0, 8
	v_lshl_add_u64 v[6:7], v[4:5], 0, v[24:25]
	v_lshl_add_u64 v[44:45], v[4:5], 0, 4
	;; [unrolled: 5-line block ×12, first 2 shown]
	v_mad_u64_u32 v[4:5], s[20:21], v86, 24, v[2:3]
	v_mad_u64_u32 v[2:3], s[20:21], v90, 24, v[2:3]
	v_lshl_add_u64 v[4:5], v[4:5], 0, s[8:9]
	v_lshl_add_u64 v[2:3], v[2:3], 0, s[8:9]
	;; [unrolled: 1-line block ×7, first 2 shown]
	v_mad_u64_u32 v[2:3], s[20:21], v94, 24, 0
	v_mad_i64_i32 v[2:3], s[20:21], s2, 24, v[2:3]
	v_mad_u64_u32 v[2:3], s[20:21], v100, 24, v[2:3]
	v_lshl_add_u64 v[94:95], s[8:9], 0, v[2:3]
	v_mad_u64_u32 v[2:3], s[20:21], v96, 24, 0
	v_mad_i64_i32 v[2:3], s[20:21], s2, 24, v[2:3]
	v_mad_u64_u32 v[2:3], s[20:21], v100, 24, v[2:3]
	v_lshl_add_u64 v[96:97], s[8:9], 0, v[2:3]
	;; [unrolled: 4-line block ×3, first 2 shown]
	v_mad_u64_u32 v[2:3], s[20:21], v101, 24, 0
	s_mov_b32 s18, 0
	v_mad_i64_i32 v[2:3], s[2:3], s2, 24, v[2:3]
	v_mad_u64_u32 v[2:3], s[2:3], v100, 24, v[2:3]
	s_mov_b32 s19, s18
	s_ashr_i32 s17, s16, 31
	v_add_u32_e32 v123, 0x820, v122
	v_add_u32_e32 v124, 0x1040, v122
	;; [unrolled: 1-line block ×15, first 2 shown]
	v_cmp_gt_u32_e32 vcc, 4, v22
	v_mul_u32_u24_e32 v143, 0x104, v22
	v_lshl_add_u64 v[86:87], v[6:7], 0, 8
	v_lshl_add_u64 v[90:91], v[4:5], 0, 8
	;; [unrolled: 1-line block ×3, first 2 shown]
	s_movk_i32 s14, 0x80
	v_mov_b64_e32 v[102:103], s[18:19]
	v_add_u32_e32 v25, v104, v105
	v_add_u32_e32 v151, v106, v107
	;; [unrolled: 1-line block ×4, first 2 shown]
	s_mov_b64 s[8:9], 0x120
	s_mov_b64 s[20:21], 0xc0
	v_mov_b64_e32 v[104:105], s[18:19]
	s_branch .LBB203_6
.LBB203_4:                              ;   in Loop: Header=BB203_6 Depth=1
	s_or_b64 exec, exec, s[22:23]
	s_waitcnt lgkmcnt(0)
	s_barrier
	ds_read_b128 v[14:17], v141
	ds_read_b128 v[18:21], v141 offset:16
	ds_read_b128 v[2:5], v142
	ds_read2_b32 v[106:107], v143 offset0:32 offset1:33
	ds_read_b128 v[10:13], v141 offset:32
	ds_read_b128 v[6:9], v141 offset:48
	ds_read2_b32 v[108:109], v144 offset0:4 offset1:5
	ds_read2_b32 v[110:111], v143 offset0:34 offset1:35
	v_mov_b32_e32 v114, 0
	s_waitcnt lgkmcnt(4)
	v_dot4c_i32_i8_e32 v114, v106, v14
	v_dot4c_i32_i8_e32 v114, v107, v18
	ds_read2_b32 v[106:107], v143 offset0:36 offset1:37
	ds_read2_b32 v[116:117], v143 offset0:38 offset1:39
	;; [unrolled: 1-line block ×3, first 2 shown]
	s_waitcnt lgkmcnt(3)
	v_dot4c_i32_i8_e32 v114, v110, v15
	v_dot4c_i32_i8_e32 v114, v111, v19
	s_waitcnt lgkmcnt(2)
	v_dot4c_i32_i8_e32 v114, v106, v16
	v_dot4c_i32_i8_e32 v114, v107, v20
	;; [unrolled: 3-line block ×3, first 2 shown]
	v_add_u32_e32 v106, 0x2100, v143
	ds_read2_b32 v[116:117], v143 offset0:58 offset1:59
	ds_read2_b32 v[118:119], v143 offset0:60 offset1:61
	;; [unrolled: 1-line block ×3, first 2 shown]
	ds_read2_b32 v[110:111], v106 offset1:1
	v_mov_b32_e32 v168, 0
	v_pk_mul_f16 v115, v2, v108
	v_add_u32_e32 v108, 0x2108, v143
	ds_read2_b32 v[154:155], v145 offset0:4 offset1:5
	ds_read2_b32 v[106:107], v147 offset0:6 offset1:7
	s_waitcnt lgkmcnt(2)
	v_dot4c_i32_i8_e32 v168, v110, v14
	v_dot4c_i32_i8_e32 v168, v111, v18
	ds_read2_b32 v[110:111], v108 offset1:1
	v_add_u32_e32 v156, 0x2110, v143
	v_add_u32_e32 v158, 0x2118, v143
	;; [unrolled: 1-line block ×3, first 2 shown]
	ds_read2_b32 v[156:157], v156 offset1:1
	ds_read2_b32 v[158:159], v158 offset1:1
	;; [unrolled: 1-line block ×3, first 2 shown]
	s_waitcnt lgkmcnt(3)
	v_dot4c_i32_i8_e32 v168, v110, v15
	v_dot4c_i32_i8_e32 v168, v111, v19
	s_waitcnt lgkmcnt(2)
	v_dot4c_i32_i8_e32 v168, v156, v16
	v_dot4c_i32_i8_e32 v168, v157, v20
	v_mov_b32_e32 v169, 0
	s_waitcnt lgkmcnt(1)
	v_dot4c_i32_i8_e32 v168, v158, v17
	s_waitcnt lgkmcnt(0)
	v_dot4c_i32_i8_e32 v169, v160, v14
	v_add_u32_e32 v108, 0x4188, v143
	v_add_u32_e32 v162, 0x4190, v143
	;; [unrolled: 1-line block ×3, first 2 shown]
	v_dot4c_i32_i8_e32 v168, v159, v21
	ds_read2_b32 v[156:157], v146 offset0:4 offset1:5
	ds_read2_b32 v[110:111], v145 offset0:6 offset1:7
	;; [unrolled: 1-line block ×3, first 2 shown]
	v_dot4c_i32_i8_e32 v169, v161, v18
	ds_read2_b32 v[160:161], v108 offset1:1
	v_add_u32_e32 v108, 0x6200, v143
	ds_read2_b32 v[162:163], v162 offset1:1
	ds_read2_b32 v[164:165], v164 offset1:1
	;; [unrolled: 1-line block ×3, first 2 shown]
	v_mov_b32_e32 v170, 0
	v_add_u32_e32 v108, 0x6218, v143
	s_waitcnt lgkmcnt(3)
	v_dot4c_i32_i8_e32 v169, v160, v15
	v_dot4c_i32_i8_e32 v169, v161, v19
	s_waitcnt lgkmcnt(0)
	v_dot4c_i32_i8_e32 v170, v166, v14
	v_add_u32_e32 v14, 0x6208, v143
	ds_read2_b32 v[160:161], v14 offset1:1
	v_dot4c_i32_i8_e32 v169, v162, v16
	v_dot4c_i32_i8_e32 v169, v163, v20
	v_dot4c_i32_i8_e32 v169, v164, v17
	v_dot4c_i32_i8_e32 v170, v167, v18
	v_add_u32_e32 v18, 0x6210, v143
	v_dot4c_i32_i8_e32 v169, v165, v21
	v_add_u32_e32 v14, 0x2120, v143
	ds_read2_b32 v[162:163], v18 offset1:1
	ds_read2_b32 v[164:165], v108 offset1:1
	;; [unrolled: 1-line block ×3, first 2 shown]
	s_waitcnt lgkmcnt(3)
	v_dot4c_i32_i8_e32 v170, v160, v15
	v_dot4c_i32_i8_e32 v170, v161, v19
	s_waitcnt lgkmcnt(2)
	v_dot4c_i32_i8_e32 v170, v162, v16
	v_dot4c_i32_i8_e32 v170, v163, v20
	ds_read2_b32 v[18:19], v147 offset0:4 offset1:5
	ds_read2_b32 v[14:15], v146 offset0:6 offset1:7
	s_waitcnt lgkmcnt(3)
	v_dot4c_i32_i8_e32 v170, v164, v17
	ds_read2_b32 v[16:17], v143 offset0:42 offset1:43
	v_mov_b32_e32 v163, 0
	v_dot4c_i32_i8_e32 v163, v112, v10
	v_dot4c_i32_i8_e32 v170, v165, v21
	;; [unrolled: 1-line block ×3, first 2 shown]
	ds_read2_b32 v[20:21], v143 offset0:44 offset1:45
	ds_read2_b32 v[112:113], v143 offset0:46 offset1:47
	;; [unrolled: 1-line block ×3, first 2 shown]
	v_pk_mul_f16 v154, v2, v154
	v_pk_mul_f16 v156, v2, v156
	s_waitcnt lgkmcnt(5)
	v_pk_mul_f16 v162, v2, v18
	s_waitcnt lgkmcnt(3)
	v_dot4c_i32_i8_e32 v163, v16, v11
	v_add_u32_e32 v2, 0x2128, v143
	v_dot4c_i32_i8_e32 v163, v17, v7
	ds_read2_b32 v[16:17], v2 offset1:1
	s_waitcnt lgkmcnt(3)
	v_dot4c_i32_i8_e32 v163, v20, v12
	v_dot4c_i32_i8_e32 v163, v21, v8
	v_mov_b32_e32 v165, 0
	s_waitcnt lgkmcnt(2)
	v_dot4c_i32_i8_e32 v163, v112, v13
	v_dot4c_i32_i8_e32 v165, v166, v10
	v_add_u32_e32 v18, 0x2130, v143
	v_add_u32_e32 v108, 0x2138, v143
	v_dot4c_i32_i8_e32 v163, v113, v9
	v_pk_mul_f16 v164, v3, v109
	v_dot4c_i32_i8_e32 v165, v167, v6
	v_add_u32_e32 v2, 0x41a0, v143
	ds_read2_b32 v[20:21], v18 offset1:1
	ds_read2_b32 v[108:109], v108 offset1:1
	ds_read2_b32 v[112:113], v2 offset1:1
	s_waitcnt lgkmcnt(3)
	v_dot4c_i32_i8_e32 v165, v16, v11
	v_dot4c_i32_i8_e32 v165, v17, v7
	v_add_u32_e32 v2, 0x41a8, v143
	s_waitcnt lgkmcnt(2)
	v_dot4c_i32_i8_e32 v165, v20, v12
	ds_read2_b32 v[16:17], v2 offset1:1
	v_dot4c_i32_i8_e32 v165, v21, v8
	v_mov_b32_e32 v166, 0
	s_waitcnt lgkmcnt(2)
	v_dot4c_i32_i8_e32 v165, v108, v13
	s_waitcnt lgkmcnt(1)
	v_dot4c_i32_i8_e32 v166, v112, v10
	v_add_u32_e32 v18, 0x41b0, v143
	v_add_u32_e32 v108, 0x41b8, v143
	v_dot4c_i32_i8_e32 v165, v109, v9
	v_dot4c_i32_i8_e32 v166, v113, v6
	v_add_u32_e32 v2, 0x6220, v143
	ds_read2_b32 v[20:21], v18 offset1:1
	ds_read2_b32 v[108:109], v108 offset1:1
	;; [unrolled: 1-line block ×3, first 2 shown]
	s_waitcnt lgkmcnt(3)
	v_dot4c_i32_i8_e32 v166, v16, v11
	v_add_u32_e32 v2, 0x6228, v143
	v_dot4c_i32_i8_e32 v166, v17, v7
	ds_read2_b32 v[16:17], v2 offset1:1
	s_waitcnt lgkmcnt(3)
	v_dot4c_i32_i8_e32 v166, v20, v12
	v_mov_b32_e32 v167, 0
	v_dot4c_i32_i8_e32 v166, v21, v8
	s_waitcnt lgkmcnt(1)
	v_dot4c_i32_i8_e32 v167, v112, v10
	v_dot4c_i32_i8_e32 v166, v108, v13
	v_dot4c_i32_i8_e32 v167, v113, v6
	v_add_u32_e32 v6, 0x6230, v143
	v_dot4c_i32_i8_e32 v166, v109, v9
	v_add_u32_e32 v10, 0x6238, v143
	v_add_u32_e32 v2, 0x2140, v143
	ds_read2_b32 v[20:21], v6 offset1:1
	ds_read2_b32 v[108:109], v10 offset1:1
	;; [unrolled: 1-line block ×3, first 2 shown]
	s_waitcnt lgkmcnt(3)
	v_dot4c_i32_i8_e32 v167, v16, v11
	v_dot4c_i32_i8_e32 v167, v17, v7
	s_waitcnt lgkmcnt(2)
	v_dot4c_i32_i8_e32 v167, v20, v12
	v_dot4c_i32_i8_e32 v167, v21, v8
	s_waitcnt lgkmcnt(1)
	v_dot4c_i32_i8_e32 v167, v108, v13
	ds_read_b128 v[10:13], v141 offset:64
	v_dot4c_i32_i8_e32 v167, v109, v9
	ds_read_b128 v[6:9], v141 offset:80
	v_pk_mul_f16 v155, v3, v155
	v_pk_mul_f16 v157, v3, v157
	;; [unrolled: 1-line block ×3, first 2 shown]
	ds_read2_b32 v[2:3], v143 offset0:50 offset1:51
	v_mov_b32_e32 v172, 0
	s_waitcnt lgkmcnt(2)
	v_dot4c_i32_i8_e32 v172, v160, v10
	s_waitcnt lgkmcnt(1)
	v_dot4c_i32_i8_e32 v172, v161, v6
	ds_read2_b32 v[16:17], v143 offset0:52 offset1:53
	ds_read2_b32 v[18:19], v143 offset0:54 offset1:55
	;; [unrolled: 1-line block ×3, first 2 shown]
	s_waitcnt lgkmcnt(3)
	v_dot4c_i32_i8_e32 v172, v2, v11
	v_add_u32_e32 v2, 0x2148, v143
	v_dot4c_i32_i8_e32 v172, v3, v7
	ds_read2_b32 v[2:3], v2 offset1:1
	s_waitcnt lgkmcnt(3)
	v_dot4c_i32_i8_e32 v172, v16, v12
	v_dot4c_i32_i8_e32 v172, v17, v8
	v_mov_b32_e32 v160, 0
	s_waitcnt lgkmcnt(2)
	v_dot4c_i32_i8_e32 v172, v18, v13
	v_dot4c_i32_i8_e32 v160, v112, v10
	v_add_u32_e32 v16, 0x2150, v143
	v_add_u32_e32 v18, 0x2158, v143
	;; [unrolled: 1-line block ×3, first 2 shown]
	v_dot4c_i32_i8_e32 v172, v19, v9
	v_dot4c_i32_i8_e32 v160, v113, v6
	ds_read2_b32 v[16:17], v16 offset1:1
	ds_read2_b32 v[18:19], v18 offset1:1
	;; [unrolled: 1-line block ×3, first 2 shown]
	s_waitcnt lgkmcnt(3)
	v_dot4c_i32_i8_e32 v160, v2, v11
	v_dot4c_i32_i8_e32 v160, v3, v7
	v_add_u32_e32 v2, 0x41c8, v143
	s_waitcnt lgkmcnt(2)
	v_dot4c_i32_i8_e32 v160, v16, v12
	ds_read2_b32 v[2:3], v2 offset1:1
	v_dot4c_i32_i8_e32 v160, v17, v8
	v_mov_b32_e32 v161, 0
	s_waitcnt lgkmcnt(2)
	v_dot4c_i32_i8_e32 v160, v18, v13
	s_waitcnt lgkmcnt(1)
	v_dot4c_i32_i8_e32 v161, v108, v10
	v_add_u32_e32 v16, 0x41d0, v143
	v_add_u32_e32 v18, 0x41d8, v143
	;; [unrolled: 1-line block ×3, first 2 shown]
	v_dot4c_i32_i8_e32 v160, v19, v9
	v_dot4c_i32_i8_e32 v161, v109, v6
	ds_read2_b32 v[16:17], v16 offset1:1
	ds_read2_b32 v[18:19], v18 offset1:1
	;; [unrolled: 1-line block ×3, first 2 shown]
	s_waitcnt lgkmcnt(3)
	v_dot4c_i32_i8_e32 v161, v2, v11
	v_add_u32_e32 v2, 0x6248, v143
	v_dot4c_i32_i8_e32 v161, v3, v7
	ds_read2_b32 v[2:3], v2 offset1:1
	v_mov_b32_e32 v174, 0
	s_waitcnt lgkmcnt(1)
	v_dot4c_i32_i8_e32 v174, v108, v10
	v_dot4c_i32_i8_e32 v161, v16, v12
	;; [unrolled: 1-line block ×3, first 2 shown]
	v_add_u32_e32 v6, 0x6250, v143
	v_dot4c_i32_i8_e32 v161, v17, v8
	v_pk_mul_f16 v173, v4, v14
	v_add_u32_e32 v10, 0x6258, v143
	v_add_u32_e32 v14, 0x2160, v143
	ds_read2_b32 v[16:17], v6 offset1:1
	ds_read2_b32 v[108:109], v10 offset1:1
	;; [unrolled: 1-line block ×3, first 2 shown]
	s_waitcnt lgkmcnt(3)
	v_dot4c_i32_i8_e32 v174, v2, v11
	v_dot4c_i32_i8_e32 v174, v3, v7
	s_waitcnt lgkmcnt(2)
	v_dot4c_i32_i8_e32 v174, v16, v12
	v_dot4c_i32_i8_e32 v161, v18, v13
	;; [unrolled: 1-line block ×4, first 2 shown]
	s_waitcnt lgkmcnt(1)
	v_dot4c_i32_i8_e32 v174, v108, v13
	ds_read_b128 v[10:13], v141 offset:96
	ds_read_b128 v[16:19], v141 offset:112
	v_pk_mul_f16 v158, v4, v158
	v_pk_mul_f16 v110, v4, v110
	;; [unrolled: 1-line block ×3, first 2 shown]
	v_mov_b32_e32 v4, 0
	v_add_u32_e32 v2, 0x2168, v143
	s_waitcnt lgkmcnt(1)
	v_dot4c_i32_i8_e32 v4, v20, v10
	ds_read2_b32 v[2:3], v2 offset1:1
	s_waitcnt lgkmcnt(1)
	v_dot4c_i32_i8_e32 v4, v21, v16
	v_dot4c_i32_i8_e32 v4, v116, v11
	v_mov_b32_e32 v116, 0
	v_dot4c_i32_i8_e32 v116, v112, v10
	v_add_u32_e32 v6, 0x2170, v143
	v_add_u32_e32 v8, 0x2178, v143
	;; [unrolled: 1-line block ×3, first 2 shown]
	v_dot4c_i32_i8_e32 v174, v109, v9
	v_dot4c_i32_i8_e32 v116, v113, v16
	ds_read2_b32 v[6:7], v6 offset1:1
	ds_read2_b32 v[8:9], v8 offset1:1
	;; [unrolled: 1-line block ×3, first 2 shown]
	s_waitcnt lgkmcnt(3)
	v_dot4c_i32_i8_e32 v116, v2, v11
	v_dot4c_i32_i8_e32 v116, v3, v17
	s_waitcnt lgkmcnt(2)
	v_dot4c_i32_i8_e32 v116, v6, v12
	v_dot4c_i32_i8_e32 v116, v7, v18
	;; [unrolled: 3-line block ×3, first 2 shown]
	v_cvt_f32_f16_e32 v3, v154
	v_cvt_f32_f16_e32 v2, v115
	v_cvt_f32_f16_sdwa v7, v154 dst_sel:DWORD dst_unused:UNUSED_PAD src0_sel:WORD_1
	v_cvt_f32_f16_sdwa v6, v115 dst_sel:DWORD dst_unused:UNUSED_PAD src0_sel:WORD_1
	v_cvt_f32_i32_e32 v9, v168
	v_cvt_f32_i32_e32 v8, v114
	v_dot4c_i32_i8_e32 v4, v117, v17
	v_cvt_f32_f16_e32 v109, v155
	v_cvt_f32_f16_e32 v108, v164
	v_cvt_f32_f16_sdwa v113, v155 dst_sel:DWORD dst_unused:UNUSED_PAD src0_sel:WORD_1
	v_cvt_f32_f16_sdwa v112, v164 dst_sel:DWORD dst_unused:UNUSED_PAD src0_sel:WORD_1
	v_cvt_f32_i32_e32 v115, v165
	v_cvt_f32_i32_e32 v114, v163
	v_dot4c_i32_i8_e32 v4, v118, v12
	v_dot4c_i32_i8_e32 v4, v119, v18
	;; [unrolled: 1-line block ×3, first 2 shown]
	v_pk_fma_f32 v[2:3], v[2:3], v[8:9], v[6:7]
	v_dot4c_i32_i8_e32 v4, v121, v19
	v_pk_mul_f16 v14, v5, v159
	v_pk_mul_f16 v117, v5, v111
	v_pk_add_f32 v[2:3], v[102:103], v[2:3]
	v_pk_fma_f32 v[6:7], v[108:109], v[114:115], v[112:113]
	v_cvt_f32_f16_e32 v9, v110
	v_cvt_f32_f16_e32 v8, v158
	v_cvt_f32_f16_sdwa v103, v110 dst_sel:DWORD dst_unused:UNUSED_PAD src0_sel:WORD_1
	v_cvt_f32_f16_sdwa v102, v158 dst_sel:DWORD dst_unused:UNUSED_PAD src0_sel:WORD_1
	v_cvt_f32_i32_e32 v109, v160
	v_cvt_f32_i32_e32 v108, v172
	v_cvt_f32_f16_e32 v111, v117
	v_cvt_f32_f16_e32 v110, v14
	v_cvt_f32_f16_sdwa v113, v117 dst_sel:DWORD dst_unused:UNUSED_PAD src0_sel:WORD_1
	v_cvt_f32_f16_sdwa v112, v14 dst_sel:DWORD dst_unused:UNUSED_PAD src0_sel:WORD_1
	v_cvt_f32_i32_e32 v115, v116
	v_cvt_f32_i32_e32 v114, v4
	v_pk_add_f32 v[2:3], v[2:3], v[6:7]
	v_pk_fma_f32 v[6:7], v[8:9], v[108:109], v[102:103]
	v_mov_b32_e32 v108, 0
	v_pk_add_f32 v[2:3], v[2:3], v[6:7]
	v_pk_fma_f32 v[6:7], v[110:111], v[114:115], v[112:113]
	s_waitcnt lgkmcnt(0)
	v_dot4c_i32_i8_e32 v108, v20, v10
	v_pk_add_f32 v[102:103], v[2:3], v[6:7]
	v_add_u32_e32 v2, 0x41e8, v143
	ds_read2_b32 v[2:3], v2 offset1:1
	v_add_u32_e32 v4, 0x41f0, v143
	v_add_u32_e32 v8, 0x41f8, v143
	v_dot4c_i32_i8_e32 v108, v21, v16
	v_add_u32_e32 v14, 0x6260, v143
	ds_read2_b32 v[6:7], v4 offset1:1
	ds_read2_b32 v[8:9], v8 offset1:1
	;; [unrolled: 1-line block ×3, first 2 shown]
	s_waitcnt lgkmcnt(3)
	v_dot4c_i32_i8_e32 v108, v2, v11
	v_add_u32_e32 v2, 0x6268, v143
	v_dot4c_i32_i8_e32 v108, v3, v17
	ds_read2_b32 v[2:3], v2 offset1:1
	s_waitcnt lgkmcnt(3)
	v_dot4c_i32_i8_e32 v108, v6, v12
	v_add_u32_e32 v4, 0x6270, v143
	v_dot4c_i32_i8_e32 v108, v7, v18
	ds_read2_b32 v[6:7], v4 offset1:1
	v_mov_b32_e32 v110, 0
	s_waitcnt lgkmcnt(3)
	v_dot4c_i32_i8_e32 v108, v8, v13
	s_waitcnt lgkmcnt(2)
	v_dot4c_i32_i8_e32 v110, v20, v10
	v_add_u32_e32 v4, 0x6278, v143
	v_dot4c_i32_i8_e32 v108, v9, v19
	v_dot4c_i32_i8_e32 v110, v21, v16
	ds_read2_b32 v[8:9], v4 offset1:1
	s_waitcnt lgkmcnt(2)
	v_dot4c_i32_i8_e32 v110, v2, v11
	v_dot4c_i32_i8_e32 v110, v3, v17
	s_waitcnt lgkmcnt(1)
	v_dot4c_i32_i8_e32 v110, v6, v12
	v_dot4c_i32_i8_e32 v110, v7, v18
	s_waitcnt lgkmcnt(0)
	v_dot4c_i32_i8_e32 v110, v8, v13
	v_pk_mul_f16 v109, v5, v15
	v_dot4c_i32_i8_e32 v110, v9, v19
	v_cvt_f32_f16_e32 v3, v162
	v_cvt_f32_f16_e32 v2, v156
	v_cvt_f32_f16_sdwa v7, v162 dst_sel:DWORD dst_unused:UNUSED_PAD src0_sel:WORD_1
	v_cvt_f32_f16_sdwa v6, v156 dst_sel:DWORD dst_unused:UNUSED_PAD src0_sel:WORD_1
	v_cvt_f32_i32_e32 v9, v170
	v_cvt_f32_i32_e32 v8, v169
	v_cvt_f32_f16_e32 v11, v171
	v_cvt_f32_f16_e32 v10, v157
	v_cvt_f32_f16_sdwa v13, v171 dst_sel:DWORD dst_unused:UNUSED_PAD src0_sel:WORD_1
	v_cvt_f32_f16_sdwa v12, v157 dst_sel:DWORD dst_unused:UNUSED_PAD src0_sel:WORD_1
	v_cvt_f32_i32_e32 v15, v167
	v_cvt_f32_i32_e32 v14, v166
	v_pk_mul_f16 v16, v5, v107
	v_pk_fma_f32 v[2:3], v[2:3], v[8:9], v[6:7]
	v_cvt_f32_f16_e32 v7, v106
	v_pk_fma_f32 v[4:5], v[10:11], v[14:15], v[12:13]
	v_cvt_f32_f16_e32 v6, v173
	v_cvt_f32_f16_sdwa v9, v106 dst_sel:DWORD dst_unused:UNUSED_PAD src0_sel:WORD_1
	v_cvt_f32_f16_sdwa v8, v173 dst_sel:DWORD dst_unused:UNUSED_PAD src0_sel:WORD_1
	v_cvt_f32_i32_e32 v11, v174
	v_cvt_f32_i32_e32 v10, v161
	v_cvt_f32_f16_e32 v13, v16
	v_cvt_f32_f16_e32 v12, v109
	v_cvt_f32_f16_sdwa v15, v16 dst_sel:DWORD dst_unused:UNUSED_PAD src0_sel:WORD_1
	v_cvt_f32_f16_sdwa v14, v109 dst_sel:DWORD dst_unused:UNUSED_PAD src0_sel:WORD_1
	v_cvt_f32_i32_e32 v17, v110
	v_cvt_f32_i32_e32 v16, v108
	v_pk_add_f32 v[2:3], v[104:105], v[2:3]
	s_nop 0
	v_pk_add_f32 v[2:3], v[2:3], v[4:5]
	v_pk_fma_f32 v[4:5], v[6:7], v[10:11], v[8:9]
	s_barrier
	v_pk_add_f32 v[2:3], v[2:3], v[4:5]
	v_pk_fma_f32 v[4:5], v[12:13], v[16:17], v[14:15]
	s_nop 0
	v_pk_add_f32 v[104:105], v[2:3], v[4:5]
.LBB203_5:                              ;   in Loop: Header=BB203_6 Depth=1
	s_add_i32 s18, s18, 8
	s_addk_i32 s14, 0x100
	v_lshl_add_u64 v[28:29], v[28:29], 0, s[8:9]
	v_lshl_add_u64 v[30:31], v[30:31], 0, s[20:21]
	;; [unrolled: 1-line block ×36, first 2 shown]
	s_cmp_ge_i32 s18, s25
	v_lshl_add_u64 v[100:101], v[100:101], 0, s[20:21]
	s_cbranch_scc1 .LBB203_20
.LBB203_6:                              ; =>This Inner Loop Header: Depth=1
	v_lshl_add_u64 v[2:3], v[30:31], 0, s[16:17]
	global_load_dword v14, v[2:3], off
	v_lshl_add_u64 v[2:3], v[32:33], 0, s[16:17]
	global_load_dword v15, v[2:3], off offset:4
	v_lshl_add_u64 v[2:3], v[34:35], 0, s[16:17]
	global_load_dword v16, v[2:3], off
	v_lshl_add_u64 v[2:3], v[36:37], 0, s[16:17]
	global_load_dword v17, v[2:3], off
	v_lshl_add_u64 v[4:5], v[40:41], 0, s[16:17]
	v_lshl_add_u64 v[2:3], v[38:39], 0, s[16:17]
	global_load_dword v18, v[4:5], off
	global_load_dword v19, v[2:3], off
	v_lshl_add_u64 v[2:3], v[42:43], 0, s[16:17]
	v_lshl_add_u64 v[4:5], v[44:45], 0, s[16:17]
	;; [unrolled: 1-line block ×6, first 2 shown]
	global_load_dword v20, v[2:3], off
	s_nop 0
	global_load_dword v2, v[4:5], off
	s_nop 0
	global_load_dword v4, v[6:7], off
	global_load_dword v5, v[8:9], off
	s_nop 0
	global_load_dword v6, v[10:11], off
	global_load_dword v7, v[12:13], off
	s_add_i32 s2, s14, 0xffffff80
	s_cmp_lt_i32 s2, s15
	s_waitcnt vmcnt(11)
	v_lshrrev_b32_e32 v8, 4, v14
	v_and_b32_e32 v9, 0xf0f0f0f, v14
	s_waitcnt vmcnt(10)
	v_ashrrev_i32_e32 v3, v24, v15
	v_and_b32_e32 v8, 0xf0f0f0f, v8
	s_waitcnt vmcnt(9)
	v_lshrrev_b32_e32 v11, 4, v16
	v_and_b32_e32 v12, 0xf0f0f0f, v16
	s_waitcnt vmcnt(8)
	v_ashrrev_i32_e32 v10, v24, v17
	v_lshlrev_b32_e32 v16, 4, v3
	s_waitcnt vmcnt(7)
	v_ashrrev_i32_e32 v13, v24, v18
	s_waitcnt vmcnt(6)
	v_lshrrev_b32_e32 v14, 4, v19
	v_and_b32_e32 v15, 0xf0f0f0f, v19
	v_lshlrev_b32_e32 v17, 11, v3
	v_lshrrev_b32_e32 v18, 12, v3
	v_lshrrev_b32_e32 v19, 5, v3
	v_lshlrev_b32_e32 v108, 4, v10
	v_lshlrev_b32_e32 v109, 11, v10
	v_lshrrev_b32_e32 v110, 12, v10
	v_lshrrev_b32_e32 v111, 5, v10
	v_lshlrev_b32_e32 v21, 2, v3
	v_lshlrev_b32_e32 v106, 18, v3
	;; [unrolled: 1-line block ×4, first 2 shown]
	v_and_b32_e32 v11, 0xf0f0f0f, v11
	v_lshlrev_b32_e32 v112, 2, v10
	v_lshlrev_b32_e32 v113, 18, v10
	;; [unrolled: 1-line block ×4, first 2 shown]
	v_and_b32_e32 v18, 16, v18
	v_and_b32_e32 v16, 16, v16
	;; [unrolled: 1-line block ×16, first 2 shown]
	v_or3_b32 v9, v16, v9, v17
	v_or3_b32 v8, v18, v8, v19
	;; [unrolled: 1-line block ×4, first 2 shown]
	v_lshlrev_b32_e32 v115, 4, v13
	v_lshlrev_b32_e32 v116, 11, v13
	v_lshrrev_b32_e32 v117, 12, v13
	v_lshrrev_b32_e32 v118, 5, v13
	v_or3_b32 v8, v8, v21, v107
	v_or3_b32 v3, v9, v106, v3
	v_or3_b32 v9, v11, v112, v114
	v_or3_b32 v10, v12, v113, v10
	v_and_b32_e32 v14, 0xf0f0f0f, v14
	v_and_b32_e32 v117, 16, v117
	;; [unrolled: 1-line block ×5, first 2 shown]
	ds_write2_b32 v122, v3, v8 offset1:1
	ds_write2_b32 v123, v10, v9 offset1:1
	v_lshlrev_b32_e32 v8, 2, v13
	v_lshlrev_b32_e32 v9, 18, v13
	;; [unrolled: 1-line block ×4, first 2 shown]
	v_or3_b32 v15, v115, v15, v116
	v_or3_b32 v3, v117, v14, v118
	v_and_b32_e32 v9, 0x100000, v9
	v_and_b32_e32 v8, 0x100000, v8
	;; [unrolled: 1-line block ×4, first 2 shown]
	v_or3_b32 v3, v3, v8, v10
	v_or3_b32 v8, v15, v9, v11
	ds_write2_b32 v124, v8, v3 offset1:1
	s_waitcnt vmcnt(4)
	v_ashrrev_i32_e32 v8, v24, v2
	v_lshl_add_u64 v[2:3], v[56:57], 0, s[16:17]
	v_lshlrev_b32_e32 v9, 4, v8
	v_lshlrev_b32_e32 v10, 11, v8
	v_lshrrev_b32_e32 v11, 4, v20
	v_lshrrev_b32_e32 v12, 12, v8
	;; [unrolled: 1-line block ×3, first 2 shown]
	global_load_dword v14, v[2:3], off
	v_lshl_add_u64 v[2:3], v[54:55], 0, s[16:17]
	v_and_b32_e32 v11, 0xf0f0f0f, v11
	global_load_dword v15, v[2:3], off
	v_and_b32_e32 v2, 0xf0f0f0f, v20
	v_and_b32_e32 v3, 16, v12
	;; [unrolled: 1-line block ×5, first 2 shown]
	v_or3_b32 v2, v9, v2, v10
	v_or3_b32 v3, v3, v11, v12
	v_lshlrev_b32_e32 v9, 2, v8
	v_lshlrev_b32_e32 v10, 18, v8
	;; [unrolled: 1-line block ×4, first 2 shown]
	v_and_b32_e32 v10, 0x100000, v10
	v_and_b32_e32 v9, 0x100000, v9
	;; [unrolled: 1-line block ×4, first 2 shown]
	v_or3_b32 v3, v3, v9, v11
	v_or3_b32 v2, v2, v10, v8
	ds_write2_b32 v125, v2, v3 offset1:1
	v_lshl_add_u64 v[2:3], v[60:61], 0, s[16:17]
	s_waitcnt vmcnt(4)
	v_ashrrev_i32_e32 v5, v24, v5
	global_load_dword v13, v[2:3], off
	v_lshl_add_u64 v[2:3], v[58:59], 0, s[16:17]
	v_lshlrev_b32_e32 v8, 4, v5
	v_lshlrev_b32_e32 v9, 11, v5
	v_lshrrev_b32_e32 v10, 4, v4
	v_lshrrev_b32_e32 v11, 12, v5
	v_lshrrev_b32_e32 v12, 5, v5
	global_load_dword v16, v[2:3], off
	v_and_b32_e32 v10, 0xf0f0f0f, v10
	v_and_b32_e32 v2, 0xf0f0f0f, v4
	;; [unrolled: 1-line block ×6, first 2 shown]
	v_or3_b32 v2, v4, v2, v9
	v_or3_b32 v3, v3, v10, v8
	v_lshlrev_b32_e32 v4, 2, v5
	v_lshlrev_b32_e32 v8, 18, v5
	;; [unrolled: 1-line block ×4, first 2 shown]
	v_and_b32_e32 v8, 0x100000, v8
	v_and_b32_e32 v4, 0x100000, v4
	;; [unrolled: 1-line block ×4, first 2 shown]
	v_or3_b32 v3, v3, v4, v9
	v_or3_b32 v2, v2, v8, v5
	ds_write2_b32 v126, v2, v3 offset1:1
	v_lshl_add_u64 v[2:3], v[64:65], 0, s[16:17]
	s_waitcnt vmcnt(4)
	v_ashrrev_i32_e32 v4, v24, v7
	global_load_dword v11, v[2:3], off
	v_lshl_add_u64 v[2:3], v[62:63], 0, s[16:17]
	v_lshlrev_b32_e32 v5, 4, v4
	v_lshlrev_b32_e32 v7, 11, v4
	v_lshrrev_b32_e32 v8, 4, v6
	v_lshrrev_b32_e32 v9, 12, v4
	;; [unrolled: 1-line block ×3, first 2 shown]
	global_load_dword v12, v[2:3], off
	v_and_b32_e32 v8, 0xf0f0f0f, v8
	v_and_b32_e32 v2, 0xf0f0f0f, v6
	;; [unrolled: 1-line block ×6, first 2 shown]
	v_or3_b32 v2, v5, v2, v7
	v_or3_b32 v3, v3, v8, v6
	v_lshlrev_b32_e32 v5, 2, v4
	v_lshlrev_b32_e32 v6, 18, v4
	;; [unrolled: 1-line block ×4, first 2 shown]
	v_and_b32_e32 v6, 0x100000, v6
	v_and_b32_e32 v5, 0x100000, v5
	;; [unrolled: 1-line block ×4, first 2 shown]
	v_or3_b32 v3, v3, v5, v7
	v_or3_b32 v2, v2, v6, v4
	ds_write2_b32 v127, v2, v3 offset1:1
	v_lshl_add_u64 v[2:3], v[68:69], 0, s[16:17]
	global_load_dword v10, v[2:3], off
	s_waitcnt vmcnt(6)
	v_ashrrev_i32_e32 v4, v24, v14
	v_lshlrev_b32_e32 v5, 4, v4
	v_lshlrev_b32_e32 v6, 11, v4
	s_waitcnt vmcnt(5)
	v_lshrrev_b32_e32 v7, 4, v15
	v_lshrrev_b32_e32 v8, 12, v4
	;; [unrolled: 1-line block ×3, first 2 shown]
	v_lshl_add_u64 v[2:3], v[66:67], 0, s[16:17]
	v_and_b32_e32 v7, 0xf0f0f0f, v7
	global_load_dword v14, v[2:3], off
	v_and_b32_e32 v2, 0xf0f0f0f, v15
	v_and_b32_e32 v3, 16, v8
	;; [unrolled: 1-line block ×5, first 2 shown]
	v_or3_b32 v2, v5, v2, v6
	v_or3_b32 v3, v3, v7, v8
	v_lshlrev_b32_e32 v5, 2, v4
	v_lshlrev_b32_e32 v6, 18, v4
	;; [unrolled: 1-line block ×4, first 2 shown]
	v_and_b32_e32 v6, 0x100000, v6
	v_and_b32_e32 v5, 0x100000, v5
	;; [unrolled: 1-line block ×4, first 2 shown]
	v_or3_b32 v3, v3, v5, v7
	v_or3_b32 v2, v2, v6, v4
	ds_write2_b32 v128, v2, v3 offset1:1
	s_waitcnt vmcnt(5)
	v_ashrrev_i32_e32 v4, v24, v13
	v_lshl_add_u64 v[2:3], v[72:73], 0, s[16:17]
	v_lshlrev_b32_e32 v5, 4, v4
	v_lshlrev_b32_e32 v6, 11, v4
	s_waitcnt vmcnt(4)
	v_lshrrev_b32_e32 v7, 4, v16
	v_lshrrev_b32_e32 v8, 12, v4
	;; [unrolled: 1-line block ×3, first 2 shown]
	global_load_dword v13, v[2:3], off
	v_lshl_add_u64 v[2:3], v[70:71], 0, s[16:17]
	v_and_b32_e32 v7, 0xf0f0f0f, v7
	global_load_dword v15, v[2:3], off
	v_and_b32_e32 v2, 0xf0f0f0f, v16
	v_and_b32_e32 v3, 16, v8
	;; [unrolled: 1-line block ×5, first 2 shown]
	v_or3_b32 v2, v5, v2, v6
	v_or3_b32 v3, v3, v7, v8
	v_lshlrev_b32_e32 v5, 2, v4
	v_lshlrev_b32_e32 v6, 18, v4
	;; [unrolled: 1-line block ×4, first 2 shown]
	v_and_b32_e32 v6, 0x100000, v6
	v_and_b32_e32 v5, 0x100000, v5
	;; [unrolled: 1-line block ×4, first 2 shown]
	v_or3_b32 v3, v3, v5, v7
	v_or3_b32 v2, v2, v6, v4
	ds_write2_b32 v129, v2, v3 offset1:1
	v_lshl_add_u64 v[2:3], v[76:77], 0, s[16:17]
	s_waitcnt vmcnt(5)
	v_ashrrev_i32_e32 v4, v24, v11
	global_load_dword v11, v[2:3], off
	v_lshl_add_u64 v[2:3], v[74:75], 0, s[16:17]
	v_lshlrev_b32_e32 v5, 4, v4
	v_lshlrev_b32_e32 v6, 11, v4
	s_waitcnt vmcnt(5)
	v_lshrrev_b32_e32 v7, 4, v12
	v_lshrrev_b32_e32 v8, 12, v4
	;; [unrolled: 1-line block ×3, first 2 shown]
	global_load_dword v16, v[2:3], off
	v_and_b32_e32 v7, 0xf0f0f0f, v7
	v_and_b32_e32 v2, 0xf0f0f0f, v12
	;; [unrolled: 1-line block ×6, first 2 shown]
	v_or3_b32 v2, v5, v2, v6
	v_or3_b32 v3, v3, v7, v8
	v_lshlrev_b32_e32 v5, 2, v4
	v_lshlrev_b32_e32 v6, 18, v4
	;; [unrolled: 1-line block ×4, first 2 shown]
	v_and_b32_e32 v6, 0x100000, v6
	v_and_b32_e32 v5, 0x100000, v5
	;; [unrolled: 1-line block ×4, first 2 shown]
	v_or3_b32 v3, v3, v5, v7
	v_or3_b32 v2, v2, v6, v4
	ds_write2_b32 v130, v2, v3 offset1:1
	v_lshl_add_u64 v[2:3], v[80:81], 0, s[16:17]
	s_waitcnt vmcnt(5)
	v_ashrrev_i32_e32 v4, v24, v10
	global_load_dword v10, v[2:3], off
	v_lshl_add_u64 v[2:3], v[78:79], 0, s[16:17]
	global_load_dword v12, v[2:3], off
	v_lshlrev_b32_e32 v5, 4, v4
	v_lshlrev_b32_e32 v6, 11, v4
	s_waitcnt vmcnt(6)
	v_lshrrev_b32_e32 v7, 4, v14
	v_lshrrev_b32_e32 v8, 12, v4
	v_lshrrev_b32_e32 v9, 5, v4
	v_and_b32_e32 v7, 0xf0f0f0f, v7
	v_and_b32_e32 v2, 0xf0f0f0f, v14
	;; [unrolled: 1-line block ×6, first 2 shown]
	v_or3_b32 v2, v5, v2, v6
	v_or3_b32 v3, v3, v7, v8
	v_lshlrev_b32_e32 v5, 2, v4
	v_lshlrev_b32_e32 v6, 18, v4
	v_lshlrev_b32_e32 v7, 9, v4
	v_lshlrev_b32_e32 v4, 25, v4
	v_and_b32_e32 v6, 0x100000, v6
	v_and_b32_e32 v5, 0x100000, v5
	v_and_b32_e32 v4, 0x10000000, v4
	v_and_b32_e32 v7, 0x10000000, v7
	v_or3_b32 v3, v3, v5, v7
	v_or3_b32 v2, v2, v6, v4
	ds_write2_b32 v131, v2, v3 offset1:1
	s_waitcnt vmcnt(5)
	v_ashrrev_i32_e32 v4, v24, v13
	v_lshlrev_b32_e32 v2, 4, v4
	v_lshlrev_b32_e32 v3, 11, v4
	s_waitcnt vmcnt(4)
	v_lshrrev_b32_e32 v5, 4, v15
	v_lshrrev_b32_e32 v6, 12, v4
	;; [unrolled: 1-line block ×3, first 2 shown]
	v_and_b32_e32 v5, 0xf0f0f0f, v5
	v_and_b32_e32 v6, 16, v6
	;; [unrolled: 1-line block ×5, first 2 shown]
	v_lshl_add_u64 v[2:3], v[84:85], 0, s[16:17]
	global_load_dword v14, v[2:3], off
	v_or3_b32 v5, v6, v5, v7
	v_lshlrev_b32_e32 v6, 2, v4
	v_lshl_add_u64 v[2:3], v[82:83], 0, s[16:17]
	v_and_b32_e32 v8, 0xf0f0f0f, v15
	global_load_dword v7, v[2:3], off
	v_lshlrev_b32_e32 v2, 18, v4
	v_and_b32_e32 v3, 0x100000, v6
	v_lshlrev_b32_e32 v6, 9, v4
	v_lshlrev_b32_e32 v4, 25, v4
	v_or3_b32 v8, v9, v8, v13
	v_and_b32_e32 v2, 0x100000, v2
	v_and_b32_e32 v4, 0x10000000, v4
	;; [unrolled: 1-line block ×3, first 2 shown]
	v_or3_b32 v3, v5, v3, v6
	v_or3_b32 v2, v8, v2, v4
	s_waitcnt vmcnt(5)
	v_ashrrev_i32_e32 v4, v24, v11
	ds_write2_b32 v132, v2, v3 offset1:1
	v_lshlrev_b32_e32 v2, 4, v4
	s_waitcnt vmcnt(4)
	v_lshrrev_b32_e32 v3, 4, v16
	v_lshrrev_b32_e32 v6, 12, v4
	;; [unrolled: 1-line block ×3, first 2 shown]
	v_and_b32_e32 v9, 0xf0f0f0f, v3
	v_and_b32_e32 v13, 16, v2
	v_lshl_add_u64 v[2:3], v[88:89], 0, s[16:17]
	v_lshlrev_b32_e32 v5, 11, v4
	v_and_b32_e32 v6, 16, v6
	global_load_dword v15, v[2:3], off
	v_and_b32_e32 v8, 0x1000, v8
	v_lshl_add_u64 v[2:3], v[86:87], 0, s[16:17]
	v_and_b32_e32 v11, 0xf0f0f0f, v16
	global_load_dword v16, v[2:3], off
	v_and_b32_e32 v2, 0x1000, v5
	v_or3_b32 v3, v6, v9, v8
	v_lshlrev_b32_e32 v5, 2, v4
	v_lshlrev_b32_e32 v6, 18, v4
	;; [unrolled: 1-line block ×4, first 2 shown]
	v_or3_b32 v2, v13, v11, v2
	v_and_b32_e32 v6, 0x100000, v6
	v_and_b32_e32 v5, 0x100000, v5
	;; [unrolled: 1-line block ×4, first 2 shown]
	v_or3_b32 v3, v3, v5, v8
	v_or3_b32 v2, v2, v6, v4
	ds_write2_b32 v133, v2, v3 offset1:1
	s_waitcnt vmcnt(5)
	v_ashrrev_i32_e32 v4, v24, v10
	v_lshl_add_u64 v[2:3], v[92:93], 0, s[16:17]
	v_lshlrev_b32_e32 v5, 4, v4
	v_lshlrev_b32_e32 v6, 11, v4
	s_waitcnt vmcnt(4)
	v_lshrrev_b32_e32 v8, 4, v12
	v_lshrrev_b32_e32 v9, 12, v4
	;; [unrolled: 1-line block ×3, first 2 shown]
	global_load_dword v11, v[2:3], off
	v_lshl_add_u64 v[2:3], v[90:91], 0, s[16:17]
	v_and_b32_e32 v8, 0xf0f0f0f, v8
	global_load_dword v13, v[2:3], off
	v_and_b32_e32 v2, 0xf0f0f0f, v12
	v_and_b32_e32 v3, 16, v9
	;; [unrolled: 1-line block ×5, first 2 shown]
	v_or3_b32 v2, v5, v2, v6
	v_or3_b32 v3, v3, v8, v9
	v_lshlrev_b32_e32 v5, 2, v4
	v_lshlrev_b32_e32 v6, 18, v4
	;; [unrolled: 1-line block ×4, first 2 shown]
	v_and_b32_e32 v6, 0x100000, v6
	v_and_b32_e32 v5, 0x100000, v5
	;; [unrolled: 1-line block ×4, first 2 shown]
	v_or3_b32 v3, v3, v5, v8
	v_or3_b32 v2, v2, v6, v4
	ds_write2_b32 v134, v2, v3 offset1:1
	v_lshl_add_u64 v[2:3], v[94:95], 0, s[16:17]
	global_load_dword v4, v[2:3], off
	v_lshl_add_u64 v[2:3], v[96:97], 0, s[16:17]
	global_load_dword v5, v[2:3], off
	v_lshl_add_u64 v[2:3], v[98:99], 0, s[16:17]
	global_load_dword v6, v[2:3], off
	v_lshl_add_u64 v[2:3], v[100:101], 0, s[16:17]
	global_load_dword v2, v[2:3], off
	s_waitcnt vmcnt(9)
	v_ashrrev_i32_e32 v8, v24, v14
	v_lshlrev_b32_e32 v3, 4, v8
	v_lshlrev_b32_e32 v9, 11, v8
	s_waitcnt vmcnt(8)
	v_lshrrev_b32_e32 v10, 4, v7
	v_lshrrev_b32_e32 v12, 12, v8
	v_lshrrev_b32_e32 v14, 5, v8
	v_and_b32_e32 v10, 0xf0f0f0f, v10
	v_and_b32_e32 v7, 0xf0f0f0f, v7
	v_and_b32_e32 v12, 16, v12
	v_and_b32_e32 v3, 16, v3
	v_and_b32_e32 v14, 0x1000, v14
	v_and_b32_e32 v9, 0x1000, v9
	v_or3_b32 v3, v3, v7, v9
	v_or3_b32 v7, v12, v10, v14
	v_lshlrev_b32_e32 v9, 2, v8
	v_lshlrev_b32_e32 v10, 18, v8
	v_lshlrev_b32_e32 v12, 9, v8
	v_lshlrev_b32_e32 v8, 25, v8
	v_and_b32_e32 v10, 0x100000, v10
	v_and_b32_e32 v9, 0x100000, v9
	v_and_b32_e32 v8, 0x10000000, v8
	v_and_b32_e32 v12, 0x10000000, v12
	v_or3_b32 v7, v7, v9, v12
	v_or3_b32 v3, v3, v10, v8
	ds_write2_b32 v135, v3, v7 offset1:1
	s_waitcnt vmcnt(7)
	v_ashrrev_i32_e32 v3, v24, v15
	v_lshlrev_b32_e32 v7, 4, v3
	v_lshlrev_b32_e32 v8, 11, v3
	s_waitcnt vmcnt(6)
	v_lshrrev_b32_e32 v9, 4, v16
	v_lshrrev_b32_e32 v10, 12, v3
	v_lshrrev_b32_e32 v12, 5, v3
	v_and_b32_e32 v9, 0xf0f0f0f, v9
	v_and_b32_e32 v14, 0xf0f0f0f, v16
	v_and_b32_e32 v10, 16, v10
	v_and_b32_e32 v7, 16, v7
	v_and_b32_e32 v12, 0x1000, v12
	v_and_b32_e32 v8, 0x1000, v8
	v_or3_b32 v7, v7, v14, v8
	v_or3_b32 v8, v10, v9, v12
	v_lshlrev_b32_e32 v9, 2, v3
	v_lshlrev_b32_e32 v10, 18, v3
	v_lshlrev_b32_e32 v12, 9, v3
	v_lshlrev_b32_e32 v3, 25, v3
	v_and_b32_e32 v10, 0x100000, v10
	v_and_b32_e32 v9, 0x100000, v9
	v_and_b32_e32 v3, 0x10000000, v3
	v_and_b32_e32 v12, 0x10000000, v12
	v_or3_b32 v8, v8, v9, v12
	v_or3_b32 v3, v7, v10, v3
	ds_write2_b32 v136, v3, v8 offset1:1
	;; [unrolled: 27-line block ×3, first 2 shown]
	s_waitcnt vmcnt(3)
	ds_write_b32 v25, v4
	s_waitcnt vmcnt(2)
	ds_write_b32 v151, v5
	;; [unrolled: 2-line block ×4, first 2 shown]
	s_cbranch_scc0 .LBB203_5
; %bb.7:                                ;   in Loop: Header=BB203_6 Depth=1
	v_add_u32_e32 v2, s18, v138
	v_cmp_gt_i32_e64 s[2:3], s5, v2
	s_and_b64 s[22:23], s[0:1], s[2:3]
	s_and_saveexec_b64 s[2:3], s[22:23]
	s_cbranch_execz .LBB203_9
; %bb.8:                                ;   in Loop: Header=BB203_6 Depth=1
	v_add_u32_e32 v2, s18, v150
	v_mad_i64_i32 v[2:3], s[22:23], v2, 36, v[26:27]
	global_load_dword v2, v[2:3], off offset:4
	s_waitcnt vmcnt(0)
	ds_write_b32 v139, v2
.LBB203_9:                              ;   in Loop: Header=BB203_6 Depth=1
	s_or_b64 exec, exec, s[2:3]
	s_and_saveexec_b64 s[22:23], vcc
	s_cbranch_execz .LBB203_12
; %bb.10:                               ;   in Loop: Header=BB203_6 Depth=1
	v_add_u32_e32 v2, s18, v22
	v_cmp_gt_i32_e64 s[2:3], s5, v2
	s_and_b64 s[2:3], s[0:1], s[2:3]
	s_and_b64 exec, exec, s[2:3]
	s_cbranch_execz .LBB203_12
; %bb.11:                               ;   in Loop: Header=BB203_6 Depth=1
	v_add_u32_e32 v2, s18, v23
	v_mad_i64_i32 v[2:3], s[2:3], v2, 36, s[10:11]
	global_load_dword v2, v[2:3], off
	s_waitcnt vmcnt(0)
	ds_write_b32 v140, v2
.LBB203_12:                             ;   in Loop: Header=BB203_6 Depth=1
	s_or_b64 exec, exec, s[22:23]
	s_waitcnt lgkmcnt(0)
	s_barrier
	ds_read_b128 v[14:17], v141
	ds_read_b128 v[18:21], v141 offset:16
	ds_read_b128 v[2:5], v142
	ds_read2_b32 v[106:107], v143 offset1:1
	ds_read_b128 v[10:13], v141 offset:32
	ds_read_b128 v[6:9], v141 offset:48
	ds_read2_b32 v[108:109], v144 offset1:1
	ds_read2_b32 v[110:111], v143 offset0:2 offset1:3
	v_mov_b32_e32 v115, 0
	s_waitcnt lgkmcnt(4)
	v_dot4c_i32_i8_e32 v115, v106, v14
	v_dot4c_i32_i8_e32 v115, v107, v18
	ds_read2_b32 v[106:107], v143 offset0:4 offset1:5
	ds_read2_b32 v[112:113], v143 offset0:6 offset1:7
	;; [unrolled: 1-line block ×3, first 2 shown]
	s_waitcnt lgkmcnt(3)
	v_dot4c_i32_i8_e32 v115, v110, v15
	v_dot4c_i32_i8_e32 v115, v111, v19
	s_waitcnt lgkmcnt(2)
	v_dot4c_i32_i8_e32 v115, v106, v16
	v_add_u32_e32 v106, 0x2080, v143
	ds_read2_b32 v[154:155], v143 offset0:26 offset1:27
	ds_read2_b32 v[156:157], v143 offset0:28 offset1:29
	;; [unrolled: 1-line block ×3, first 2 shown]
	ds_read2_b32 v[110:111], v106 offset1:1
	ds_read2_b32 v[160:161], v145 offset1:1
	v_pk_mul_f16 v174, v2, v108
	v_mov_b32_e32 v108, 0
	v_dot4c_i32_i8_e32 v115, v107, v20
	s_waitcnt lgkmcnt(1)
	v_dot4c_i32_i8_e32 v108, v110, v14
	v_add_u32_e32 v110, 0x2088, v143
	ds_read2_b32 v[106:107], v147 offset0:2 offset1:3
	v_dot4c_i32_i8_e32 v108, v111, v18
	ds_read2_b32 v[110:111], v110 offset1:1
	v_dot4c_i32_i8_e32 v115, v112, v17
	v_dot4c_i32_i8_e32 v115, v113, v21
	v_add_u32_e32 v112, 0x2090, v143
	v_add_u32_e32 v117, 0x4100, v143
	s_waitcnt lgkmcnt(0)
	v_dot4c_i32_i8_e32 v108, v110, v15
	v_cvt_f32_i32_e32 v116, v115
	v_add_u32_e32 v115, 0x2098, v143
	ds_read2_b32 v[112:113], v112 offset1:1
	ds_read2_b32 v[120:121], v115 offset1:1
	;; [unrolled: 1-line block ×3, first 2 shown]
	v_dot4c_i32_i8_e32 v108, v111, v19
	v_add_u32_e32 v110, 0x4108, v143
	s_waitcnt lgkmcnt(2)
	v_dot4c_i32_i8_e32 v108, v112, v16
	v_dot4c_i32_i8_e32 v108, v113, v20
	s_waitcnt lgkmcnt(1)
	v_dot4c_i32_i8_e32 v108, v120, v17
	v_dot4c_i32_i8_e32 v108, v121, v21
	ds_read2_b32 v[164:165], v146 offset1:1
	ds_read2_b32 v[120:121], v145 offset0:2 offset1:3
	ds_read2_b32 v[166:167], v144 offset0:2 offset1:3
	ds_read2_b32 v[110:111], v110 offset1:1
	v_cvt_f32_i32_e32 v117, v108
	v_mov_b32_e32 v108, 0
	s_waitcnt lgkmcnt(4)
	v_dot4c_i32_i8_e32 v108, v162, v14
	v_add_u32_e32 v112, 0x4110, v143
	v_add_u32_e32 v162, 0x4118, v143
	;; [unrolled: 1-line block ×3, first 2 shown]
	v_dot4c_i32_i8_e32 v108, v163, v18
	ds_read2_b32 v[112:113], v112 offset1:1
	ds_read2_b32 v[162:163], v162 offset1:1
	;; [unrolled: 1-line block ×3, first 2 shown]
	s_waitcnt lgkmcnt(3)
	v_dot4c_i32_i8_e32 v108, v110, v15
	v_dot4c_i32_i8_e32 v108, v111, v19
	s_waitcnt lgkmcnt(2)
	v_dot4c_i32_i8_e32 v108, v112, v16
	v_dot4c_i32_i8_e32 v108, v113, v20
	s_waitcnt lgkmcnt(1)
	v_dot4c_i32_i8_e32 v108, v162, v17
	v_dot4c_i32_i8_e32 v108, v163, v21
	v_add_u32_e32 v111, 0x6198, v143
	v_pk_mul_f16 v160, v2, v160
	v_pk_mul_f16 v164, v2, v164
	v_cvt_f32_i32_e32 v112, v108
	v_mov_b32_e32 v108, 0
	s_waitcnt lgkmcnt(0)
	v_dot4c_i32_i8_e32 v108, v168, v14
	v_add_u32_e32 v14, 0x6188, v143
	ds_read2_b32 v[162:163], v14 offset1:1
	v_dot4c_i32_i8_e32 v108, v169, v18
	v_add_u32_e32 v18, 0x6190, v143
	v_add_u32_e32 v14, 0x20a0, v143
	ds_read2_b32 v[168:169], v18 offset1:1
	ds_read2_b32 v[170:171], v111 offset1:1
	;; [unrolled: 1-line block ×3, first 2 shown]
	s_waitcnt lgkmcnt(3)
	v_dot4c_i32_i8_e32 v108, v162, v15
	v_dot4c_i32_i8_e32 v108, v163, v19
	s_waitcnt lgkmcnt(2)
	v_dot4c_i32_i8_e32 v108, v168, v16
	v_dot4c_i32_i8_e32 v108, v169, v20
	ds_read2_b32 v[18:19], v147 offset1:1
	ds_read2_b32 v[14:15], v146 offset0:2 offset1:3
	s_waitcnt lgkmcnt(3)
	v_dot4c_i32_i8_e32 v108, v170, v17
	ds_read2_b32 v[16:17], v143 offset0:10 offset1:11
	v_mov_b32_e32 v169, 0
	v_dot4c_i32_i8_e32 v169, v118, v10
	v_dot4c_i32_i8_e32 v108, v171, v21
	;; [unrolled: 1-line block ×3, first 2 shown]
	ds_read2_b32 v[20:21], v143 offset0:12 offset1:13
	ds_read2_b32 v[118:119], v143 offset0:14 offset1:15
	;; [unrolled: 1-line block ×3, first 2 shown]
	s_waitcnt lgkmcnt(5)
	v_pk_mul_f16 v168, v2, v18
	s_waitcnt lgkmcnt(3)
	v_dot4c_i32_i8_e32 v169, v16, v11
	v_add_u32_e32 v2, 0x20a8, v143
	v_dot4c_i32_i8_e32 v169, v17, v7
	ds_read2_b32 v[16:17], v2 offset1:1
	s_waitcnt lgkmcnt(3)
	v_dot4c_i32_i8_e32 v169, v20, v12
	v_dot4c_i32_i8_e32 v169, v21, v8
	v_mov_b32_e32 v171, 0
	v_cvt_f32_i32_e32 v113, v108
	s_waitcnt lgkmcnt(2)
	v_dot4c_i32_i8_e32 v169, v118, v13
	v_dot4c_i32_i8_e32 v171, v172, v10
	v_add_u32_e32 v18, 0x20b0, v143
	v_add_u32_e32 v108, 0x20b8, v143
	v_dot4c_i32_i8_e32 v169, v119, v9
	v_pk_mul_f16 v170, v3, v109
	v_dot4c_i32_i8_e32 v171, v173, v6
	v_add_u32_e32 v2, 0x4120, v143
	ds_read2_b32 v[20:21], v18 offset1:1
	ds_read2_b32 v[108:109], v108 offset1:1
	;; [unrolled: 1-line block ×3, first 2 shown]
	s_waitcnt lgkmcnt(3)
	v_dot4c_i32_i8_e32 v171, v16, v11
	v_dot4c_i32_i8_e32 v171, v17, v7
	v_add_u32_e32 v2, 0x4128, v143
	s_waitcnt lgkmcnt(2)
	v_dot4c_i32_i8_e32 v171, v20, v12
	ds_read2_b32 v[16:17], v2 offset1:1
	v_dot4c_i32_i8_e32 v171, v21, v8
	v_mov_b32_e32 v172, 0
	s_waitcnt lgkmcnt(2)
	v_dot4c_i32_i8_e32 v171, v108, v13
	s_waitcnt lgkmcnt(1)
	v_dot4c_i32_i8_e32 v172, v118, v10
	v_add_u32_e32 v18, 0x4130, v143
	v_add_u32_e32 v108, 0x4138, v143
	v_dot4c_i32_i8_e32 v171, v109, v9
	v_dot4c_i32_i8_e32 v172, v119, v6
	v_add_u32_e32 v2, 0x61a0, v143
	ds_read2_b32 v[20:21], v18 offset1:1
	ds_read2_b32 v[108:109], v108 offset1:1
	;; [unrolled: 1-line block ×3, first 2 shown]
	s_waitcnt lgkmcnt(3)
	v_dot4c_i32_i8_e32 v172, v16, v11
	v_add_u32_e32 v2, 0x61a8, v143
	v_dot4c_i32_i8_e32 v172, v17, v7
	ds_read2_b32 v[16:17], v2 offset1:1
	s_waitcnt lgkmcnt(3)
	v_dot4c_i32_i8_e32 v172, v20, v12
	v_mov_b32_e32 v173, 0
	v_dot4c_i32_i8_e32 v172, v21, v8
	s_waitcnt lgkmcnt(1)
	v_dot4c_i32_i8_e32 v173, v118, v10
	v_dot4c_i32_i8_e32 v172, v108, v13
	;; [unrolled: 1-line block ×3, first 2 shown]
	v_add_u32_e32 v6, 0x61b0, v143
	v_dot4c_i32_i8_e32 v172, v109, v9
	v_add_u32_e32 v10, 0x61b8, v143
	v_add_u32_e32 v2, 0x20c0, v143
	ds_read2_b32 v[20:21], v6 offset1:1
	ds_read2_b32 v[108:109], v10 offset1:1
	;; [unrolled: 1-line block ×3, first 2 shown]
	s_waitcnt lgkmcnt(3)
	v_dot4c_i32_i8_e32 v173, v16, v11
	v_dot4c_i32_i8_e32 v173, v17, v7
	s_waitcnt lgkmcnt(2)
	v_dot4c_i32_i8_e32 v173, v20, v12
	v_dot4c_i32_i8_e32 v173, v21, v8
	s_waitcnt lgkmcnt(1)
	v_dot4c_i32_i8_e32 v173, v108, v13
	ds_read_b128 v[10:13], v141 offset:64
	v_dot4c_i32_i8_e32 v173, v109, v9
	ds_read_b128 v[6:9], v141 offset:80
	v_pk_mul_f16 v161, v3, v161
	v_pk_mul_f16 v165, v3, v165
	;; [unrolled: 1-line block ×3, first 2 shown]
	ds_read2_b32 v[2:3], v143 offset0:18 offset1:19
	v_mov_b32_e32 v176, 0
	s_waitcnt lgkmcnt(2)
	v_dot4c_i32_i8_e32 v176, v162, v10
	s_waitcnt lgkmcnt(1)
	v_dot4c_i32_i8_e32 v176, v163, v6
	ds_read2_b32 v[16:17], v143 offset0:20 offset1:21
	ds_read2_b32 v[18:19], v143 offset0:22 offset1:23
	;; [unrolled: 1-line block ×3, first 2 shown]
	s_waitcnt lgkmcnt(3)
	v_dot4c_i32_i8_e32 v176, v2, v11
	v_add_u32_e32 v2, 0x20c8, v143
	v_dot4c_i32_i8_e32 v176, v3, v7
	ds_read2_b32 v[2:3], v2 offset1:1
	s_waitcnt lgkmcnt(3)
	v_dot4c_i32_i8_e32 v176, v16, v12
	v_dot4c_i32_i8_e32 v176, v17, v8
	v_mov_b32_e32 v163, 0
	s_waitcnt lgkmcnt(2)
	v_dot4c_i32_i8_e32 v176, v18, v13
	v_dot4c_i32_i8_e32 v163, v118, v10
	v_add_u32_e32 v16, 0x20d0, v143
	v_add_u32_e32 v18, 0x20d8, v143
	;; [unrolled: 1-line block ×3, first 2 shown]
	v_dot4c_i32_i8_e32 v176, v19, v9
	v_dot4c_i32_i8_e32 v163, v119, v6
	ds_read2_b32 v[16:17], v16 offset1:1
	ds_read2_b32 v[18:19], v18 offset1:1
	;; [unrolled: 1-line block ×3, first 2 shown]
	s_waitcnt lgkmcnt(3)
	v_dot4c_i32_i8_e32 v163, v2, v11
	v_dot4c_i32_i8_e32 v163, v3, v7
	v_add_u32_e32 v2, 0x4148, v143
	s_waitcnt lgkmcnt(2)
	v_dot4c_i32_i8_e32 v163, v16, v12
	ds_read2_b32 v[2:3], v2 offset1:1
	v_pk_mul_f16 v162, v4, v166
	v_dot4c_i32_i8_e32 v163, v17, v8
	v_mov_b32_e32 v166, 0
	s_waitcnt lgkmcnt(2)
	v_dot4c_i32_i8_e32 v163, v18, v13
	s_waitcnt lgkmcnt(1)
	v_dot4c_i32_i8_e32 v166, v108, v10
	v_add_u32_e32 v16, 0x4150, v143
	v_add_u32_e32 v18, 0x4158, v143
	;; [unrolled: 1-line block ×3, first 2 shown]
	v_dot4c_i32_i8_e32 v163, v19, v9
	v_dot4c_i32_i8_e32 v166, v109, v6
	ds_read2_b32 v[16:17], v16 offset1:1
	ds_read2_b32 v[18:19], v18 offset1:1
	;; [unrolled: 1-line block ×3, first 2 shown]
	s_waitcnt lgkmcnt(3)
	v_dot4c_i32_i8_e32 v166, v2, v11
	v_add_u32_e32 v2, 0x61c8, v143
	v_dot4c_i32_i8_e32 v166, v3, v7
	ds_read2_b32 v[2:3], v2 offset1:1
	v_mov_b32_e32 v177, 0
	s_waitcnt lgkmcnt(3)
	v_dot4c_i32_i8_e32 v166, v16, v12
	s_waitcnt lgkmcnt(1)
	v_dot4c_i32_i8_e32 v177, v108, v10
	v_dot4c_i32_i8_e32 v166, v17, v8
	;; [unrolled: 1-line block ×3, first 2 shown]
	v_add_u32_e32 v6, 0x61d0, v143
	v_dot4c_i32_i8_e32 v166, v18, v13
	v_add_u32_e32 v10, 0x61d8, v143
	v_add_u32_e32 v18, 0x20e0, v143
	ds_read2_b32 v[16:17], v6 offset1:1
	ds_read2_b32 v[108:109], v10 offset1:1
	;; [unrolled: 1-line block ×3, first 2 shown]
	s_waitcnt lgkmcnt(3)
	v_dot4c_i32_i8_e32 v177, v2, v11
	v_dot4c_i32_i8_e32 v177, v3, v7
	s_waitcnt lgkmcnt(2)
	v_dot4c_i32_i8_e32 v177, v16, v12
	v_dot4c_i32_i8_e32 v177, v17, v8
	;; [unrolled: 1-line block ×3, first 2 shown]
	s_waitcnt lgkmcnt(1)
	v_dot4c_i32_i8_e32 v177, v108, v13
	ds_read_b128 v[10:13], v141 offset:96
	ds_read_b128 v[16:19], v141 offset:112
	v_pk_mul_f16 v120, v4, v120
	v_pk_mul_f16 v14, v4, v14
	;; [unrolled: 1-line block ×3, first 2 shown]
	v_mov_b32_e32 v4, 0
	s_waitcnt lgkmcnt(1)
	v_dot4c_i32_i8_e32 v4, v20, v10
	v_add_u32_e32 v2, 0x20e8, v143
	s_waitcnt lgkmcnt(0)
	v_dot4c_i32_i8_e32 v4, v21, v16
	ds_read2_b32 v[2:3], v2 offset1:1
	v_dot4c_i32_i8_e32 v4, v154, v11
	v_dot4c_i32_i8_e32 v4, v155, v17
	v_mov_b32_e32 v155, 0
	v_dot4c_i32_i8_e32 v155, v118, v10
	v_add_u32_e32 v6, 0x20f0, v143
	v_add_u32_e32 v8, 0x20f8, v143
	v_add_u32_e32 v20, 0x4160, v143
	v_dot4c_i32_i8_e32 v177, v109, v9
	v_dot4c_i32_i8_e32 v155, v119, v16
	ds_read2_b32 v[6:7], v6 offset1:1
	ds_read2_b32 v[8:9], v8 offset1:1
	;; [unrolled: 1-line block ×3, first 2 shown]
	s_waitcnt lgkmcnt(3)
	v_dot4c_i32_i8_e32 v155, v2, v11
	v_dot4c_i32_i8_e32 v155, v3, v17
	s_waitcnt lgkmcnt(2)
	v_dot4c_i32_i8_e32 v155, v6, v12
	v_dot4c_i32_i8_e32 v155, v7, v18
	v_cvt_f32_f16_e32 v114, v174
	v_cvt_f32_f16_e32 v115, v160
	s_waitcnt lgkmcnt(1)
	v_dot4c_i32_i8_e32 v155, v8, v13
	v_cvt_f32_f16_sdwa v3, v160 dst_sel:DWORD dst_unused:UNUSED_PAD src0_sel:WORD_1
	v_cvt_f32_f16_sdwa v2, v174 dst_sel:DWORD dst_unused:UNUSED_PAD src0_sel:WORD_1
	v_dot4c_i32_i8_e32 v155, v9, v19
	v_cvt_f32_f16_e32 v7, v161
	v_cvt_f32_f16_e32 v6, v170
	v_cvt_f32_f16_sdwa v9, v161 dst_sel:DWORD dst_unused:UNUSED_PAD src0_sel:WORD_1
	v_cvt_f32_f16_sdwa v8, v170 dst_sel:DWORD dst_unused:UNUSED_PAD src0_sel:WORD_1
	v_cvt_f32_i32_e32 v109, v171
	v_cvt_f32_i32_e32 v108, v169
	v_dot4c_i32_i8_e32 v4, v156, v12
	v_dot4c_i32_i8_e32 v4, v157, v18
	;; [unrolled: 1-line block ×3, first 2 shown]
	v_pk_fma_f32 v[2:3], v[114:115], v[116:117], v[2:3]
	v_dot4c_i32_i8_e32 v4, v159, v19
	v_pk_mul_f16 v154, v5, v167
	v_pk_mul_f16 v118, v5, v121
	v_pk_add_f32 v[2:3], v[102:103], v[2:3]
	v_pk_fma_f32 v[6:7], v[6:7], v[108:109], v[8:9]
	v_cvt_f32_f16_e32 v9, v120
	v_cvt_f32_f16_e32 v8, v162
	v_cvt_f32_f16_sdwa v103, v120 dst_sel:DWORD dst_unused:UNUSED_PAD src0_sel:WORD_1
	v_cvt_f32_f16_sdwa v102, v162 dst_sel:DWORD dst_unused:UNUSED_PAD src0_sel:WORD_1
	v_cvt_f32_i32_e32 v109, v163
	v_cvt_f32_i32_e32 v108, v176
	v_cvt_f32_f16_e32 v115, v118
	v_cvt_f32_f16_e32 v114, v154
	v_cvt_f32_f16_sdwa v117, v118 dst_sel:DWORD dst_unused:UNUSED_PAD src0_sel:WORD_1
	v_cvt_f32_f16_sdwa v116, v154 dst_sel:DWORD dst_unused:UNUSED_PAD src0_sel:WORD_1
	v_cvt_f32_i32_e32 v119, v155
	v_cvt_f32_i32_e32 v118, v4
	v_pk_add_f32 v[2:3], v[2:3], v[6:7]
	v_pk_fma_f32 v[6:7], v[8:9], v[108:109], v[102:103]
	v_mov_b32_e32 v108, 0
	v_pk_add_f32 v[2:3], v[2:3], v[6:7]
	v_pk_fma_f32 v[6:7], v[114:115], v[118:119], v[116:117]
	s_waitcnt lgkmcnt(0)
	v_dot4c_i32_i8_e32 v108, v20, v10
	v_pk_add_f32 v[102:103], v[2:3], v[6:7]
	v_add_u32_e32 v2, 0x4168, v143
	ds_read2_b32 v[2:3], v2 offset1:1
	v_add_u32_e32 v4, 0x4170, v143
	v_add_u32_e32 v8, 0x4178, v143
	;; [unrolled: 1-line block ×3, first 2 shown]
	v_dot4c_i32_i8_e32 v108, v21, v16
	ds_read2_b32 v[6:7], v4 offset1:1
	ds_read2_b32 v[8:9], v8 offset1:1
	;; [unrolled: 1-line block ×3, first 2 shown]
	s_waitcnt lgkmcnt(3)
	v_dot4c_i32_i8_e32 v108, v2, v11
	v_add_u32_e32 v2, 0x61e8, v143
	v_dot4c_i32_i8_e32 v108, v3, v17
	ds_read2_b32 v[2:3], v2 offset1:1
	s_waitcnt lgkmcnt(3)
	v_dot4c_i32_i8_e32 v108, v6, v12
	v_add_u32_e32 v4, 0x61f0, v143
	v_dot4c_i32_i8_e32 v108, v7, v18
	ds_read2_b32 v[6:7], v4 offset1:1
	v_mov_b32_e32 v114, 0
	s_waitcnt lgkmcnt(3)
	v_dot4c_i32_i8_e32 v108, v8, v13
	s_waitcnt lgkmcnt(2)
	v_dot4c_i32_i8_e32 v114, v20, v10
	v_add_u32_e32 v4, 0x61f8, v143
	v_dot4c_i32_i8_e32 v108, v9, v19
	v_dot4c_i32_i8_e32 v114, v21, v16
	ds_read2_b32 v[8:9], v4 offset1:1
	s_waitcnt lgkmcnt(2)
	v_dot4c_i32_i8_e32 v114, v2, v11
	v_dot4c_i32_i8_e32 v114, v3, v17
	s_waitcnt lgkmcnt(1)
	v_dot4c_i32_i8_e32 v114, v6, v12
	v_dot4c_i32_i8_e32 v114, v7, v18
	;; [unrolled: 3-line block ×3, first 2 shown]
	v_cvt_f32_f16_e32 v7, v175
	v_cvt_f32_f16_e32 v6, v165
	v_cvt_f32_f16_sdwa v9, v175 dst_sel:DWORD dst_unused:UNUSED_PAD src0_sel:WORD_1
	v_cvt_f32_f16_sdwa v8, v165 dst_sel:DWORD dst_unused:UNUSED_PAD src0_sel:WORD_1
	v_cvt_f32_i32_e32 v11, v173
	v_cvt_f32_i32_e32 v10, v172
	v_cvt_f32_f16_e32 v110, v164
	v_cvt_f32_f16_e32 v111, v168
	v_cvt_f32_f16_sdwa v3, v168 dst_sel:DWORD dst_unused:UNUSED_PAD src0_sel:WORD_1
	v_cvt_f32_f16_sdwa v2, v164 dst_sel:DWORD dst_unused:UNUSED_PAD src0_sel:WORD_1
	v_pk_mul_f16 v109, v5, v15
	v_pk_mul_f16 v15, v5, v107
	v_pk_fma_f32 v[4:5], v[6:7], v[10:11], v[8:9]
	v_cvt_f32_f16_e32 v7, v106
	v_cvt_f32_f16_e32 v6, v14
	v_cvt_f32_f16_sdwa v9, v106 dst_sel:DWORD dst_unused:UNUSED_PAD src0_sel:WORD_1
	v_cvt_f32_f16_sdwa v8, v14 dst_sel:DWORD dst_unused:UNUSED_PAD src0_sel:WORD_1
	v_cvt_f32_i32_e32 v11, v177
	v_cvt_f32_i32_e32 v10, v166
	v_cvt_f32_f16_e32 v13, v15
	v_cvt_f32_f16_e32 v12, v109
	v_cvt_f32_f16_sdwa v15, v15 dst_sel:DWORD dst_unused:UNUSED_PAD src0_sel:WORD_1
	v_cvt_f32_f16_sdwa v14, v109 dst_sel:DWORD dst_unused:UNUSED_PAD src0_sel:WORD_1
	v_cvt_f32_i32_e32 v17, v114
	v_cvt_f32_i32_e32 v16, v108
	v_pk_fma_f32 v[2:3], v[110:111], v[112:113], v[2:3]
	s_cmp_ge_i32 s14, s15
	v_pk_add_f32 v[2:3], v[104:105], v[2:3]
	s_nop 0
	v_pk_add_f32 v[2:3], v[2:3], v[4:5]
	v_pk_fma_f32 v[4:5], v[6:7], v[10:11], v[8:9]
	s_barrier
	v_pk_add_f32 v[2:3], v[2:3], v[4:5]
	v_pk_fma_f32 v[4:5], v[12:13], v[16:17], v[14:15]
	s_nop 0
	v_pk_add_f32 v[104:105], v[2:3], v[4:5]
	s_cbranch_scc1 .LBB203_5
; %bb.13:                               ;   in Loop: Header=BB203_6 Depth=1
	v_add_u32_e32 v2, s18, v148
	v_cmp_gt_i32_e64 s[2:3], s5, v2
	s_and_b64 s[22:23], s[0:1], s[2:3]
	s_and_saveexec_b64 s[2:3], s[22:23]
	s_cbranch_execz .LBB203_15
; %bb.14:                               ;   in Loop: Header=BB203_6 Depth=1
	v_add_u32_e32 v2, s18, v149
	v_mad_i64_i32 v[2:3], s[22:23], v2, 36, v[26:27]
	global_load_dword v2, v[2:3], off offset:4
	s_waitcnt vmcnt(0)
	ds_write_b32 v139, v2
.LBB203_15:                             ;   in Loop: Header=BB203_6 Depth=1
	s_or_b64 exec, exec, s[2:3]
	s_and_saveexec_b64 s[22:23], vcc
	s_cbranch_execz .LBB203_4
; %bb.16:                               ;   in Loop: Header=BB203_6 Depth=1
	v_add3_u32 v2, v22, s18, 4
	v_cmp_gt_i32_e64 s[2:3], s5, v2
	s_and_b64 s[2:3], s[0:1], s[2:3]
	s_and_b64 exec, exec, s[2:3]
	s_cbranch_execz .LBB203_4
; %bb.17:                               ;   in Loop: Header=BB203_6 Depth=1
	global_load_dword v2, v[28:29], off
	s_waitcnt vmcnt(0)
	ds_write_b32 v140, v2
	s_branch .LBB203_4
.LBB203_18:
	v_mov_b32_e32 v2, 0
	v_mov_b32_e32 v4, 0
	;; [unrolled: 1-line block ×3, first 2 shown]
	s_mul_i32 s0, s7, s4
	s_waitcnt vmcnt(0)
	v_cmp_gt_i32_e32 vcc, s0, v1
	s_and_saveexec_b64 s[0:1], vcc
	s_cbranch_execnz .LBB203_21
.LBB203_19:
	s_endpgm
.LBB203_20:
	v_cvt_f16_f32_e32 v6, v102
	v_cvt_f16_f32_e32 v4, v103
	;; [unrolled: 1-line block ×4, first 2 shown]
	s_mul_i32 s0, s7, s4
	v_cmp_gt_i32_e32 vcc, s0, v1
	s_and_saveexec_b64 s[0:1], vcc
	s_cbranch_execz .LBB203_19
.LBB203_21:
	v_and_b32_e32 v0, 0x3ff, v0
	v_add_u32_e32 v5, s24, v0
	v_mul_lo_u32 v0, v1, s6
	v_cmp_gt_u32_e32 vcc, s6, v5
	s_and_saveexec_b64 s[0:1], vcc
	s_cbranch_execz .LBB203_23
; %bb.22:
	v_add_u32_e32 v8, v0, v5
	v_mov_b32_e32 v9, 0
	v_lshl_add_u64 v[8:9], v[8:9], 1, s[12:13]
	global_store_short v[8:9], v6, off
.LBB203_23:
	s_or_b64 exec, exec, s[0:1]
	v_add_u32_e32 v1, 32, v5
	v_cmp_gt_u32_e32 vcc, s6, v1
	s_and_saveexec_b64 s[0:1], vcc
	s_cbranch_execz .LBB203_25
; %bb.24:
	v_add_u32_e32 v6, v0, v1
	v_mov_b32_e32 v7, 0
	v_lshl_add_u64 v[6:7], v[6:7], 1, s[12:13]
	global_store_short v[6:7], v4, off
.LBB203_25:
	s_or_b64 exec, exec, s[0:1]
	v_add_u32_e32 v1, 64, v5
	v_cmp_gt_u32_e32 vcc, s6, v1
	s_and_saveexec_b64 s[0:1], vcc
	s_cbranch_execz .LBB203_27
; %bb.26:
	v_add_u32_e32 v6, v0, v1
	v_mov_b32_e32 v7, 0
	v_lshl_add_u64 v[6:7], v[6:7], 1, s[12:13]
	global_store_short v[6:7], v2, off
.LBB203_27:
	s_or_b64 exec, exec, s[0:1]
	v_add_u32_e32 v1, 0x60, v5
	v_cmp_gt_u32_e32 vcc, s6, v1
	s_and_b64 exec, exec, vcc
	s_cbranch_execz .LBB203_19
; %bb.28:
	v_add_u32_e32 v0, v0, v1
	v_mov_b32_e32 v1, 0
	v_lshl_add_u64 v[0:1], v[0:1], 1, s[12:13]
	global_store_short v[0:1], v3, off
	s_endpgm
	.section	.rodata,"a",@progbits
	.p2align	6, 0x0
	.amdhsa_kernel _ZL8moe_q5_1IN3c104HalfELb0EEvPKvS3_PT_PKiS7_S7_iiiiiii
		.amdhsa_group_segment_fixed_size 38656
		.amdhsa_private_segment_fixed_size 0
		.amdhsa_kernarg_size 76
		.amdhsa_user_sgpr_count 2
		.amdhsa_user_sgpr_dispatch_ptr 0
		.amdhsa_user_sgpr_queue_ptr 0
		.amdhsa_user_sgpr_kernarg_segment_ptr 1
		.amdhsa_user_sgpr_dispatch_id 0
		.amdhsa_user_sgpr_kernarg_preload_length 0
		.amdhsa_user_sgpr_kernarg_preload_offset 0
		.amdhsa_user_sgpr_private_segment_size 0
		.amdhsa_uses_dynamic_stack 0
		.amdhsa_enable_private_segment 0
		.amdhsa_system_sgpr_workgroup_id_x 1
		.amdhsa_system_sgpr_workgroup_id_y 1
		.amdhsa_system_sgpr_workgroup_id_z 0
		.amdhsa_system_sgpr_workgroup_info 0
		.amdhsa_system_vgpr_workitem_id 1
		.amdhsa_next_free_vgpr 178
		.amdhsa_next_free_sgpr 26
		.amdhsa_accum_offset 180
		.amdhsa_reserve_vcc 1
		.amdhsa_float_round_mode_32 0
		.amdhsa_float_round_mode_16_64 0
		.amdhsa_float_denorm_mode_32 3
		.amdhsa_float_denorm_mode_16_64 3
		.amdhsa_dx10_clamp 1
		.amdhsa_ieee_mode 1
		.amdhsa_fp16_overflow 0
		.amdhsa_tg_split 0
		.amdhsa_exception_fp_ieee_invalid_op 0
		.amdhsa_exception_fp_denorm_src 0
		.amdhsa_exception_fp_ieee_div_zero 0
		.amdhsa_exception_fp_ieee_overflow 0
		.amdhsa_exception_fp_ieee_underflow 0
		.amdhsa_exception_fp_ieee_inexact 0
		.amdhsa_exception_int_div_zero 0
	.end_amdhsa_kernel
	.section	.text._ZL8moe_q5_1IN3c104HalfELb0EEvPKvS3_PT_PKiS7_S7_iiiiiii,"axG",@progbits,_ZL8moe_q5_1IN3c104HalfELb0EEvPKvS3_PT_PKiS7_S7_iiiiiii,comdat
.Lfunc_end203:
	.size	_ZL8moe_q5_1IN3c104HalfELb0EEvPKvS3_PT_PKiS7_S7_iiiiiii, .Lfunc_end203-_ZL8moe_q5_1IN3c104HalfELb0EEvPKvS3_PT_PKiS7_S7_iiiiiii
                                        ; -- End function
	.section	.AMDGPU.csdata,"",@progbits
; Kernel info:
; codeLenInByte = 10628
; NumSgprs: 32
; NumVgprs: 178
; NumAgprs: 0
; TotalNumVgprs: 178
; ScratchSize: 0
; MemoryBound: 0
; FloatMode: 240
; IeeeMode: 1
; LDSByteSize: 38656 bytes/workgroup (compile time only)
; SGPRBlocks: 3
; VGPRBlocks: 22
; NumSGPRsForWavesPerEU: 32
; NumVGPRsForWavesPerEU: 178
; AccumOffset: 180
; Occupancy: 1
; WaveLimiterHint : 1
; COMPUTE_PGM_RSRC2:SCRATCH_EN: 0
; COMPUTE_PGM_RSRC2:USER_SGPR: 2
; COMPUTE_PGM_RSRC2:TRAP_HANDLER: 0
; COMPUTE_PGM_RSRC2:TGID_X_EN: 1
; COMPUTE_PGM_RSRC2:TGID_Y_EN: 1
; COMPUTE_PGM_RSRC2:TGID_Z_EN: 0
; COMPUTE_PGM_RSRC2:TIDIG_COMP_CNT: 1
; COMPUTE_PGM_RSRC3_GFX90A:ACCUM_OFFSET: 44
; COMPUTE_PGM_RSRC3_GFX90A:TG_SPLIT: 0
	.section	.text._ZL8moe_q5_1IN3c104HalfELb1EEvPKvS3_PT_PKiS7_S7_iiiiiii,"axG",@progbits,_ZL8moe_q5_1IN3c104HalfELb1EEvPKvS3_PT_PKiS7_S7_iiiiiii,comdat
	.globl	_ZL8moe_q5_1IN3c104HalfELb1EEvPKvS3_PT_PKiS7_S7_iiiiiii ; -- Begin function _ZL8moe_q5_1IN3c104HalfELb1EEvPKvS3_PT_PKiS7_S7_iiiiiii
	.p2align	8
	.type	_ZL8moe_q5_1IN3c104HalfELb1EEvPKvS3_PT_PKiS7_S7_iiiiiii,@function
_ZL8moe_q5_1IN3c104HalfELb1EEvPKvS3_PT_PKiS7_S7_iiiiiii: ; @_ZL8moe_q5_1IN3c104HalfELb1EEvPKvS3_PT_PKiS7_S7_iiiiiii
; %bb.0:
	s_load_dwordx4 s[4:7], s[0:1], 0x18
	s_mov_b32 s8, s3
	s_mov_b32 s9, 0
	s_lshl_b64 s[10:11], s[8:9], 2
	s_waitcnt lgkmcnt(0)
	s_add_u32 s6, s6, s10
	s_addc_u32 s7, s7, s11
	s_load_dword s3, s[6:7], 0x0
	s_waitcnt lgkmcnt(0)
	s_cmpk_gt_u32 s3, 0xff
	s_cbranch_scc1 .LBB204_19
; %bb.1:
	s_load_dwordx2 s[6:7], s[0:1], 0x28
	s_waitcnt lgkmcnt(0)
	s_load_dword s7, s[6:7], 0x0
	s_lshl_b32 s6, s8, 3
	s_waitcnt lgkmcnt(0)
	s_cmp_gt_u32 s6, s7
	s_cbranch_scc1 .LBB204_19
; %bb.2:
	v_bfe_u32 v4, v0, 10, 10
	v_mov_b32_e32 v6, s4
	v_mov_b32_e32 v7, s5
	v_add_u32_e32 v2, s6, v4
	v_mov_b32_e32 v3, 0
	v_lshl_add_u64 v[6:7], v[2:3], 2, v[6:7]
	global_load_dword v1, v[6:7], off
	s_load_dwordx8 s[4:11], s[0:1], 0x30
	s_load_dwordx2 s[16:17], s[0:1], 0x10
	s_waitcnt lgkmcnt(0)
	s_lshl_b32 s11, s2, 7
	s_cmp_lt_i32 s5, 32
	s_cbranch_scc1 .LBB204_18
; %bb.3:
	s_load_dwordx4 s[12:15], s[0:1], 0x0
	s_ashr_i32 s0, s5, 31
	s_lshr_b32 s0, s0, 27
	s_add_i32 s0, s5, s0
	s_ashr_i32 s26, s0, 5
	s_ashr_i32 s0, s8, 31
	s_lshr_b32 s0, s0, 27
	s_add_i32 s0, s8, s0
	s_ashr_i32 s8, s0, 5
	s_not_b32 s0, s11
	s_mul_i32 s18, s3, s4
	s_add_i32 s3, s0, s6
	v_and_b32_e32 v22, 0x3ff, v0
	v_lshlrev_b32_e32 v3, 2, v22
	v_min_i32_e32 v5, s3, v4
	v_lshlrev_b32_e32 v2, 3, v22
	s_movk_i32 s4, 0x104
	v_mul_lo_u32 v9, v5, s26
	v_mad_u64_u32 v[26:27], s[0:1], v5, s4, v[2:3]
	v_add_u32_e32 v5, 8, v4
	v_min_i32_e32 v5, s3, v5
	v_mul_lo_u32 v10, v5, s26
	v_mad_u64_u32 v[28:29], s[0:1], v5, s4, v[2:3]
	v_add_u32_e32 v5, 16, v4
	v_min_i32_e32 v5, s3, v5
	;; [unrolled: 4-line block ×15, first 2 shown]
	v_mul_lo_u32 v55, v5, s26
	v_mad_u64_u32 v[56:57], s[0:1], v5, s4, v[2:3]
	v_lshlrev_b32_e32 v5, 2, v4
	v_lshrrev_b32_e32 v27, 3, v22
	v_add_u32_e32 v2, v27, v5
	v_min_i32_e32 v6, s3, v2
	v_ashrrev_i32_e32 v7, 31, v6
	v_lshrrev_b32_e32 v7, 30, v7
	v_and_b32_e32 v57, 7, v22
	v_mul_lo_u32 v126, v6, s26
	v_add_u32_e32 v7, v6, v7
	v_lshlrev_b32_e32 v137, 5, v6
	v_add_u32_e32 v6, 32, v2
	v_and_b32_e32 v7, -4, v7
	v_lshlrev_b32_e32 v23, 2, v57
	s_mov_b32 s0, 0x8200
	v_min_i32_e32 v6, s3, v6
	v_add3_u32 v136, v7, v23, s0
	v_ashrrev_i32_e32 v7, 31, v6
	v_lshrrev_b32_e32 v7, 30, v7
	v_mul_lo_u32 v128, v6, s26
	v_add_u32_e32 v7, v6, v7
	v_lshlrev_b32_e32 v139, 5, v6
	v_add_u32_e32 v6, 64, v2
	v_and_b32_e32 v7, -4, v7
	v_min_i32_e32 v6, s3, v6
	v_add3_u32 v138, v7, v23, s0
	v_ashrrev_i32_e32 v7, 31, v6
	v_add_u32_e32 v2, 0x60, v2
	v_lshrrev_b32_e32 v7, 30, v7
	v_min_i32_e32 v2, s3, v2
	v_mul_lo_u32 v130, v6, s26
	v_add_u32_e32 v7, v6, v7
	v_lshlrev_b32_e32 v141, 5, v6
	v_ashrrev_i32_e32 v6, 31, v2
	v_lshrrev_b32_e32 v6, 30, v6
	v_mov_b32_e32 v25, 0
	v_add_u32_e32 v6, v2, v6
	v_and_b32_e32 v24, 12, v3
	v_mul_lo_u32 v132, v2, s26
	v_and_b32_e32 v6, -4, v6
	v_lshlrev_b32_e32 v143, 5, v2
	v_and_b32_e32 v2, 28, v3
	v_mov_b32_e32 v3, v25
	v_add3_u32 v142, v6, v23, s0
	v_and_b32_e32 v6, 31, v22
	s_waitcnt lgkmcnt(0)
	v_lshl_add_u64 v[58:59], s[14:15], 0, v[2:3]
	v_lshlrev_b32_e32 v2, 7, v4
	v_lshl_or_b32 v3, v6, 2, v2
	v_add_u32_e32 v29, 0x9280, v3
	v_or_b32_e32 v3, v5, v22
	v_mov_b32_e32 v5, 0x9680
	v_lshl_add_u32 v31, v3, 2, v5
	v_add_u32_e32 v33, 0x9280, v2
	v_and_b32_e32 v2, 0xfc, v22
	v_lshlrev_b32_e32 v3, 5, v22
	v_add3_u32 v39, v3, v2, s0
	v_add_u32_e32 v2, 32, v22
	v_lshl_add_u32 v35, v4, 4, v5
	v_and_b32_e32 v3, 0x1fc, v2
	v_lshlrev_b32_e32 v4, 5, v2
	v_add3_u32 v41, v4, v3, s0
	v_add_u32_e32 v3, 64, v22
	v_and_b32_e32 v4, 0x1fc, v3
	v_lshlrev_b32_e32 v3, 5, v3
	s_abs_i32 s3, s10
	v_add3_u32 v43, v3, v4, s0
	v_cvt_f32_u32_e32 v4, s3
	v_add_u32_e32 v3, 0x60, v22
	v_and_b32_e32 v5, 0x1fc, v3
	v_lshlrev_b32_e32 v3, 5, v3
	v_add3_u32 v45, v3, v5, s0
	v_rcp_iflag_f32_e32 v3, v4
	v_and_b32_e32 v7, -4, v7
	v_add3_u32 v140, v7, v23, s0
	s_sub_i32 s0, 0, s3
	v_mul_f32_e32 v3, 0x4f7ffffe, v3
	v_cvt_u32_f32_e32 v3, v3
	s_waitcnt vmcnt(0)
	v_sub_u32_e32 v4, 0, v1
	v_max_i32_e32 v4, v1, v4
	v_lshrrev_b32_e32 v47, 3, v2
	v_mul_lo_u32 v5, s0, v3
	v_mul_hi_u32 v5, v3, v5
	v_add_u32_e32 v3, v3, v5
	v_mul_hi_u32 v3, v4, v3
	v_mul_lo_u32 v5, v3, s3
	v_sub_u32_e32 v4, v4, v5
	v_add_u32_e32 v5, 1, v3
	v_cmp_le_u32_e64 s[0:1], s3, v4
	v_xor_b32_e32 v2, s10, v1
	v_ashrrev_i32_e32 v2, 31, v2
	v_cndmask_b32_e64 v3, v3, v5, s[0:1]
	v_subrev_u32_e32 v5, s3, v4
	v_cndmask_b32_e64 v4, v4, v5, s[0:1]
	v_add_u32_e32 v5, 1, v3
	v_cmp_le_u32_e64 s[0:1], s3, v4
	v_mov_b32_e32 v23, v25
	s_mul_i32 s2, s26, s11
	v_cndmask_b32_e64 v3, v3, v5, s[0:1]
	v_xor_b32_e32 v3, v3, v2
	v_sub_u32_e32 v2, v3, v2
	v_cmp_gt_i32_e64 s[0:1], s7, v2
	v_mul_lo_u32 v2, v2, s8
	v_ashrrev_i32_e32 v3, 31, v2
	v_lshl_add_u64 v[4:5], v[2:3], 0, v[22:23]
	v_mad_u64_u32 v[6:7], s[22:23], v4, 36, s[14:15]
	s_mul_hi_i32 s3, s2, 24
	s_mul_i32 s4, s2, 24
	v_lshrrev_b32_e32 v8, 2, v22
	v_mad_i32_i24 v7, v5, 36, v7
	s_mov_b64 s[22:23], 0x90
	v_add_u32_e32 v23, v22, v2
	v_add_u32_e32 v49, v47, v2
	;; [unrolled: 1-line block ×3, first 2 shown]
	v_mov_b32_e32 v2, s4
	v_mov_b32_e32 v3, s3
	v_lshl_add_u64 v[60:61], v[6:7], 0, s[22:23]
	v_mad_u64_u32 v[2:3], s[22:23], v8, 24, v[2:3]
	v_mad_i64_i32 v[4:5], s[22:23], v9, 24, v[2:3]
	v_lshl_add_u64 v[6:7], v[4:5], 0, v[24:25]
	v_lshl_add_u64 v[64:65], s[12:13], 0, v[4:5]
	v_mad_i64_i32 v[4:5], s[22:23], v10, 24, v[2:3]
	v_lshl_add_u64 v[6:7], v[6:7], 0, s[12:13]
	v_lshl_add_u64 v[4:5], v[4:5], 0, s[12:13]
	;; [unrolled: 1-line block ×5, first 2 shown]
	v_mad_i64_i32 v[4:5], s[22:23], v11, 24, v[2:3]
	v_lshl_add_u64 v[4:5], v[4:5], 0, s[12:13]
	v_lshl_add_u64 v[66:67], v[6:7], 0, 8
	v_lshl_add_u64 v[6:7], v[4:5], 0, v[24:25]
	v_lshl_add_u64 v[72:73], v[4:5], 0, 4
	v_mad_i64_i32 v[4:5], s[22:23], v12, 24, v[2:3]
	v_lshl_add_u64 v[4:5], v[4:5], 0, s[12:13]
	v_lshl_add_u64 v[70:71], v[6:7], 0, 8
	v_lshl_add_u64 v[6:7], v[4:5], 0, v[24:25]
	v_lshl_add_u64 v[76:77], v[4:5], 0, 4
	;; [unrolled: 5-line block ×12, first 2 shown]
	v_mad_i64_i32 v[4:5], s[22:23], v53, 24, v[2:3]
	v_mad_i64_i32 v[2:3], s[22:23], v55, 24, v[2:3]
	v_lshl_add_u64 v[4:5], v[4:5], 0, s[12:13]
	v_lshl_add_u64 v[2:3], v[2:3], 0, s[12:13]
	;; [unrolled: 1-line block ×7, first 2 shown]
	v_mad_i64_i32 v[2:3], s[22:23], v126, 24, 0
	v_mad_i64_i32 v[2:3], s[22:23], s2, 24, v[2:3]
	v_mad_u64_u32 v[2:3], s[22:23], v57, 24, v[2:3]
	v_lshl_add_u64 v[126:127], s[12:13], 0, v[2:3]
	v_mad_i64_i32 v[2:3], s[22:23], v128, 24, 0
	v_mad_i64_i32 v[2:3], s[22:23], s2, 24, v[2:3]
	v_mad_u64_u32 v[2:3], s[22:23], v57, 24, v[2:3]
	v_lshl_add_u64 v[128:129], s[12:13], 0, v[2:3]
	;; [unrolled: 4-line block ×3, first 2 shown]
	v_mad_i64_i32 v[2:3], s[22:23], v132, 24, 0
	s_mov_b32 s20, 0
	v_mad_i64_i32 v[2:3], s[2:3], s2, 24, v[2:3]
	v_mad_u64_u32 v[2:3], s[2:3], v57, 24, v[2:3]
	s_mov_b32 s21, s20
	s_ashr_i32 s19, s18, 31
	v_cmp_gt_u32_e32 vcc, 4, v22
	v_mul_u32_u24_e32 v37, 0x104, v22
	v_lshl_add_u64 v[118:119], v[6:7], 0, 8
	v_lshl_add_u64 v[122:123], v[4:5], 0, 8
	;; [unrolled: 1-line block ×3, first 2 shown]
	s_movk_i32 s4, 0x80
	v_mov_b64_e32 v[134:135], s[20:21]
	v_add_u32_e32 v25, v136, v137
	v_add_u32_e32 v53, v138, v139
	;; [unrolled: 1-line block ×4, first 2 shown]
	s_mov_b64 s[12:13], 0x120
	s_mov_b64 s[22:23], 0xc0
	v_mov_b64_e32 v[136:137], s[20:21]
	s_branch .LBB204_6
.LBB204_4:                              ;   in Loop: Header=BB204_6 Depth=1
	s_or_b64 exec, exec, s[24:25]
	s_waitcnt lgkmcnt(0)
	s_barrier
	ds_read_b128 v[14:17], v33
	ds_read_b128 v[18:21], v33 offset:16
	ds_read_b128 v[2:5], v35
	ds_read2_b32 v[138:139], v37 offset0:32 offset1:33
	ds_read_b128 v[10:13], v33 offset:32
	ds_read_b128 v[6:9], v33 offset:48
	ds_read2_b32 v[140:141], v39 offset0:4 offset1:5
	ds_read2_b32 v[142:143], v37 offset0:34 offset1:35
	v_mov_b32_e32 v146, 0
	s_waitcnt lgkmcnt(4)
	v_dot4c_i32_i8_e32 v146, v138, v14
	v_dot4c_i32_i8_e32 v146, v139, v18
	ds_read2_b32 v[138:139], v37 offset0:36 offset1:37
	ds_read2_b32 v[148:149], v37 offset0:38 offset1:39
	;; [unrolled: 1-line block ×3, first 2 shown]
	s_waitcnt lgkmcnt(3)
	v_dot4c_i32_i8_e32 v146, v142, v15
	v_dot4c_i32_i8_e32 v146, v143, v19
	s_waitcnt lgkmcnt(2)
	v_dot4c_i32_i8_e32 v146, v138, v16
	v_dot4c_i32_i8_e32 v146, v139, v20
	;; [unrolled: 3-line block ×3, first 2 shown]
	v_add_u32_e32 v138, 0x2100, v37
	ds_read2_b32 v[148:149], v37 offset0:58 offset1:59
	ds_read2_b32 v[150:151], v37 offset0:60 offset1:61
	;; [unrolled: 1-line block ×3, first 2 shown]
	ds_read2_b32 v[142:143], v138 offset1:1
	v_mov_b32_e32 v168, 0
	v_pk_mul_f16 v147, v2, v140
	v_add_u32_e32 v140, 0x2108, v37
	ds_read2_b32 v[154:155], v41 offset0:4 offset1:5
	ds_read2_b32 v[138:139], v45 offset0:6 offset1:7
	s_waitcnt lgkmcnt(2)
	v_dot4c_i32_i8_e32 v168, v142, v14
	v_dot4c_i32_i8_e32 v168, v143, v18
	ds_read2_b32 v[142:143], v140 offset1:1
	v_add_u32_e32 v156, 0x2110, v37
	v_add_u32_e32 v158, 0x2118, v37
	;; [unrolled: 1-line block ×3, first 2 shown]
	ds_read2_b32 v[156:157], v156 offset1:1
	ds_read2_b32 v[158:159], v158 offset1:1
	;; [unrolled: 1-line block ×3, first 2 shown]
	s_waitcnt lgkmcnt(3)
	v_dot4c_i32_i8_e32 v168, v142, v15
	v_dot4c_i32_i8_e32 v168, v143, v19
	s_waitcnt lgkmcnt(2)
	v_dot4c_i32_i8_e32 v168, v156, v16
	v_dot4c_i32_i8_e32 v168, v157, v20
	v_mov_b32_e32 v169, 0
	s_waitcnt lgkmcnt(1)
	v_dot4c_i32_i8_e32 v168, v158, v17
	s_waitcnt lgkmcnt(0)
	v_dot4c_i32_i8_e32 v169, v160, v14
	v_add_u32_e32 v140, 0x4188, v37
	v_add_u32_e32 v162, 0x4190, v37
	;; [unrolled: 1-line block ×3, first 2 shown]
	v_dot4c_i32_i8_e32 v168, v159, v21
	ds_read2_b32 v[156:157], v43 offset0:4 offset1:5
	ds_read2_b32 v[142:143], v41 offset0:6 offset1:7
	;; [unrolled: 1-line block ×3, first 2 shown]
	v_dot4c_i32_i8_e32 v169, v161, v18
	ds_read2_b32 v[160:161], v140 offset1:1
	v_add_u32_e32 v140, 0x6200, v37
	ds_read2_b32 v[162:163], v162 offset1:1
	ds_read2_b32 v[164:165], v164 offset1:1
	;; [unrolled: 1-line block ×3, first 2 shown]
	v_mov_b32_e32 v170, 0
	v_add_u32_e32 v140, 0x6218, v37
	s_waitcnt lgkmcnt(3)
	v_dot4c_i32_i8_e32 v169, v160, v15
	v_dot4c_i32_i8_e32 v169, v161, v19
	s_waitcnt lgkmcnt(0)
	v_dot4c_i32_i8_e32 v170, v166, v14
	v_add_u32_e32 v14, 0x6208, v37
	ds_read2_b32 v[160:161], v14 offset1:1
	v_dot4c_i32_i8_e32 v169, v162, v16
	v_dot4c_i32_i8_e32 v169, v163, v20
	;; [unrolled: 1-line block ×4, first 2 shown]
	v_add_u32_e32 v18, 0x6210, v37
	v_dot4c_i32_i8_e32 v169, v165, v21
	v_add_u32_e32 v14, 0x2120, v37
	ds_read2_b32 v[162:163], v18 offset1:1
	ds_read2_b32 v[164:165], v140 offset1:1
	;; [unrolled: 1-line block ×3, first 2 shown]
	s_waitcnt lgkmcnt(3)
	v_dot4c_i32_i8_e32 v170, v160, v15
	v_dot4c_i32_i8_e32 v170, v161, v19
	s_waitcnt lgkmcnt(2)
	v_dot4c_i32_i8_e32 v170, v162, v16
	v_dot4c_i32_i8_e32 v170, v163, v20
	ds_read2_b32 v[18:19], v45 offset0:4 offset1:5
	ds_read2_b32 v[14:15], v43 offset0:6 offset1:7
	s_waitcnt lgkmcnt(3)
	v_dot4c_i32_i8_e32 v170, v164, v17
	ds_read2_b32 v[16:17], v37 offset0:42 offset1:43
	v_mov_b32_e32 v163, 0
	v_dot4c_i32_i8_e32 v163, v144, v10
	v_dot4c_i32_i8_e32 v170, v165, v21
	;; [unrolled: 1-line block ×3, first 2 shown]
	ds_read2_b32 v[20:21], v37 offset0:44 offset1:45
	ds_read2_b32 v[144:145], v37 offset0:46 offset1:47
	;; [unrolled: 1-line block ×3, first 2 shown]
	v_pk_mul_f16 v154, v2, v154
	v_pk_mul_f16 v156, v2, v156
	s_waitcnt lgkmcnt(5)
	v_pk_mul_f16 v162, v2, v18
	s_waitcnt lgkmcnt(3)
	v_dot4c_i32_i8_e32 v163, v16, v11
	v_add_u32_e32 v2, 0x2128, v37
	v_dot4c_i32_i8_e32 v163, v17, v7
	ds_read2_b32 v[16:17], v2 offset1:1
	s_waitcnt lgkmcnt(3)
	v_dot4c_i32_i8_e32 v163, v20, v12
	v_dot4c_i32_i8_e32 v163, v21, v8
	v_mov_b32_e32 v165, 0
	s_waitcnt lgkmcnt(2)
	v_dot4c_i32_i8_e32 v163, v144, v13
	v_dot4c_i32_i8_e32 v165, v166, v10
	v_add_u32_e32 v18, 0x2130, v37
	v_add_u32_e32 v140, 0x2138, v37
	v_dot4c_i32_i8_e32 v163, v145, v9
	v_pk_mul_f16 v164, v3, v141
	v_dot4c_i32_i8_e32 v165, v167, v6
	v_add_u32_e32 v2, 0x41a0, v37
	ds_read2_b32 v[20:21], v18 offset1:1
	ds_read2_b32 v[140:141], v140 offset1:1
	;; [unrolled: 1-line block ×3, first 2 shown]
	s_waitcnt lgkmcnt(3)
	v_dot4c_i32_i8_e32 v165, v16, v11
	v_dot4c_i32_i8_e32 v165, v17, v7
	v_add_u32_e32 v2, 0x41a8, v37
	s_waitcnt lgkmcnt(2)
	v_dot4c_i32_i8_e32 v165, v20, v12
	ds_read2_b32 v[16:17], v2 offset1:1
	v_dot4c_i32_i8_e32 v165, v21, v8
	v_mov_b32_e32 v166, 0
	s_waitcnt lgkmcnt(2)
	v_dot4c_i32_i8_e32 v165, v140, v13
	s_waitcnt lgkmcnt(1)
	v_dot4c_i32_i8_e32 v166, v144, v10
	v_add_u32_e32 v18, 0x41b0, v37
	v_add_u32_e32 v140, 0x41b8, v37
	v_dot4c_i32_i8_e32 v165, v141, v9
	v_dot4c_i32_i8_e32 v166, v145, v6
	v_add_u32_e32 v2, 0x6220, v37
	ds_read2_b32 v[20:21], v18 offset1:1
	ds_read2_b32 v[140:141], v140 offset1:1
	;; [unrolled: 1-line block ×3, first 2 shown]
	s_waitcnt lgkmcnt(3)
	v_dot4c_i32_i8_e32 v166, v16, v11
	v_add_u32_e32 v2, 0x6228, v37
	v_dot4c_i32_i8_e32 v166, v17, v7
	ds_read2_b32 v[16:17], v2 offset1:1
	s_waitcnt lgkmcnt(3)
	v_dot4c_i32_i8_e32 v166, v20, v12
	v_mov_b32_e32 v167, 0
	v_dot4c_i32_i8_e32 v166, v21, v8
	s_waitcnt lgkmcnt(1)
	v_dot4c_i32_i8_e32 v167, v144, v10
	v_dot4c_i32_i8_e32 v166, v140, v13
	;; [unrolled: 1-line block ×3, first 2 shown]
	v_add_u32_e32 v6, 0x6230, v37
	v_dot4c_i32_i8_e32 v166, v141, v9
	v_add_u32_e32 v10, 0x6238, v37
	v_add_u32_e32 v2, 0x2140, v37
	ds_read2_b32 v[20:21], v6 offset1:1
	ds_read2_b32 v[140:141], v10 offset1:1
	;; [unrolled: 1-line block ×3, first 2 shown]
	s_waitcnt lgkmcnt(3)
	v_dot4c_i32_i8_e32 v167, v16, v11
	v_dot4c_i32_i8_e32 v167, v17, v7
	s_waitcnt lgkmcnt(2)
	v_dot4c_i32_i8_e32 v167, v20, v12
	v_dot4c_i32_i8_e32 v167, v21, v8
	s_waitcnt lgkmcnt(1)
	v_dot4c_i32_i8_e32 v167, v140, v13
	ds_read_b128 v[10:13], v33 offset:64
	v_dot4c_i32_i8_e32 v167, v141, v9
	ds_read_b128 v[6:9], v33 offset:80
	v_pk_mul_f16 v155, v3, v155
	v_pk_mul_f16 v157, v3, v157
	;; [unrolled: 1-line block ×3, first 2 shown]
	ds_read2_b32 v[2:3], v37 offset0:50 offset1:51
	v_mov_b32_e32 v172, 0
	s_waitcnt lgkmcnt(2)
	v_dot4c_i32_i8_e32 v172, v160, v10
	s_waitcnt lgkmcnt(1)
	v_dot4c_i32_i8_e32 v172, v161, v6
	ds_read2_b32 v[16:17], v37 offset0:52 offset1:53
	ds_read2_b32 v[18:19], v37 offset0:54 offset1:55
	;; [unrolled: 1-line block ×3, first 2 shown]
	s_waitcnt lgkmcnt(3)
	v_dot4c_i32_i8_e32 v172, v2, v11
	v_add_u32_e32 v2, 0x2148, v37
	v_dot4c_i32_i8_e32 v172, v3, v7
	ds_read2_b32 v[2:3], v2 offset1:1
	s_waitcnt lgkmcnt(3)
	v_dot4c_i32_i8_e32 v172, v16, v12
	v_dot4c_i32_i8_e32 v172, v17, v8
	v_mov_b32_e32 v160, 0
	s_waitcnt lgkmcnt(2)
	v_dot4c_i32_i8_e32 v172, v18, v13
	v_dot4c_i32_i8_e32 v160, v144, v10
	v_add_u32_e32 v16, 0x2150, v37
	v_add_u32_e32 v18, 0x2158, v37
	;; [unrolled: 1-line block ×3, first 2 shown]
	v_dot4c_i32_i8_e32 v172, v19, v9
	v_dot4c_i32_i8_e32 v160, v145, v6
	ds_read2_b32 v[16:17], v16 offset1:1
	ds_read2_b32 v[18:19], v18 offset1:1
	;; [unrolled: 1-line block ×3, first 2 shown]
	s_waitcnt lgkmcnt(3)
	v_dot4c_i32_i8_e32 v160, v2, v11
	v_dot4c_i32_i8_e32 v160, v3, v7
	v_add_u32_e32 v2, 0x41c8, v37
	s_waitcnt lgkmcnt(2)
	v_dot4c_i32_i8_e32 v160, v16, v12
	ds_read2_b32 v[2:3], v2 offset1:1
	v_dot4c_i32_i8_e32 v160, v17, v8
	v_mov_b32_e32 v161, 0
	s_waitcnt lgkmcnt(2)
	v_dot4c_i32_i8_e32 v160, v18, v13
	s_waitcnt lgkmcnt(1)
	v_dot4c_i32_i8_e32 v161, v140, v10
	v_add_u32_e32 v16, 0x41d0, v37
	v_add_u32_e32 v18, 0x41d8, v37
	;; [unrolled: 1-line block ×3, first 2 shown]
	v_dot4c_i32_i8_e32 v160, v19, v9
	v_dot4c_i32_i8_e32 v161, v141, v6
	ds_read2_b32 v[16:17], v16 offset1:1
	ds_read2_b32 v[18:19], v18 offset1:1
	;; [unrolled: 1-line block ×3, first 2 shown]
	s_waitcnt lgkmcnt(3)
	v_dot4c_i32_i8_e32 v161, v2, v11
	v_add_u32_e32 v2, 0x6248, v37
	v_dot4c_i32_i8_e32 v161, v3, v7
	ds_read2_b32 v[2:3], v2 offset1:1
	v_mov_b32_e32 v174, 0
	s_waitcnt lgkmcnt(1)
	v_dot4c_i32_i8_e32 v174, v140, v10
	v_dot4c_i32_i8_e32 v161, v16, v12
	;; [unrolled: 1-line block ×3, first 2 shown]
	v_add_u32_e32 v6, 0x6250, v37
	v_dot4c_i32_i8_e32 v161, v17, v8
	v_pk_mul_f16 v173, v4, v14
	v_add_u32_e32 v10, 0x6258, v37
	v_add_u32_e32 v14, 0x2160, v37
	ds_read2_b32 v[16:17], v6 offset1:1
	ds_read2_b32 v[140:141], v10 offset1:1
	;; [unrolled: 1-line block ×3, first 2 shown]
	s_waitcnt lgkmcnt(3)
	v_dot4c_i32_i8_e32 v174, v2, v11
	v_dot4c_i32_i8_e32 v174, v3, v7
	s_waitcnt lgkmcnt(2)
	v_dot4c_i32_i8_e32 v174, v16, v12
	v_dot4c_i32_i8_e32 v161, v18, v13
	;; [unrolled: 1-line block ×4, first 2 shown]
	s_waitcnt lgkmcnt(1)
	v_dot4c_i32_i8_e32 v174, v140, v13
	ds_read_b128 v[10:13], v33 offset:96
	ds_read_b128 v[16:19], v33 offset:112
	v_pk_mul_f16 v158, v4, v158
	v_pk_mul_f16 v142, v4, v142
	;; [unrolled: 1-line block ×3, first 2 shown]
	v_mov_b32_e32 v4, 0
	v_add_u32_e32 v2, 0x2168, v37
	s_waitcnt lgkmcnt(1)
	v_dot4c_i32_i8_e32 v4, v20, v10
	ds_read2_b32 v[2:3], v2 offset1:1
	s_waitcnt lgkmcnt(1)
	v_dot4c_i32_i8_e32 v4, v21, v16
	v_dot4c_i32_i8_e32 v4, v148, v11
	v_mov_b32_e32 v148, 0
	v_dot4c_i32_i8_e32 v148, v144, v10
	v_add_u32_e32 v6, 0x2170, v37
	v_add_u32_e32 v8, 0x2178, v37
	;; [unrolled: 1-line block ×3, first 2 shown]
	v_dot4c_i32_i8_e32 v174, v141, v9
	v_dot4c_i32_i8_e32 v148, v145, v16
	ds_read2_b32 v[6:7], v6 offset1:1
	ds_read2_b32 v[8:9], v8 offset1:1
	;; [unrolled: 1-line block ×3, first 2 shown]
	s_waitcnt lgkmcnt(3)
	v_dot4c_i32_i8_e32 v148, v2, v11
	v_dot4c_i32_i8_e32 v148, v3, v17
	s_waitcnt lgkmcnt(2)
	v_dot4c_i32_i8_e32 v148, v6, v12
	v_dot4c_i32_i8_e32 v148, v7, v18
	;; [unrolled: 3-line block ×3, first 2 shown]
	v_cvt_f32_f16_e32 v3, v154
	v_cvt_f32_f16_e32 v2, v147
	v_cvt_f32_f16_sdwa v7, v154 dst_sel:DWORD dst_unused:UNUSED_PAD src0_sel:WORD_1
	v_cvt_f32_f16_sdwa v6, v147 dst_sel:DWORD dst_unused:UNUSED_PAD src0_sel:WORD_1
	v_cvt_f32_i32_e32 v9, v168
	v_cvt_f32_i32_e32 v8, v146
	v_dot4c_i32_i8_e32 v4, v149, v17
	v_cvt_f32_f16_e32 v141, v155
	v_cvt_f32_f16_e32 v140, v164
	v_cvt_f32_f16_sdwa v145, v155 dst_sel:DWORD dst_unused:UNUSED_PAD src0_sel:WORD_1
	v_cvt_f32_f16_sdwa v144, v164 dst_sel:DWORD dst_unused:UNUSED_PAD src0_sel:WORD_1
	v_cvt_f32_i32_e32 v147, v165
	v_cvt_f32_i32_e32 v146, v163
	v_dot4c_i32_i8_e32 v4, v150, v12
	v_dot4c_i32_i8_e32 v4, v151, v18
	;; [unrolled: 1-line block ×3, first 2 shown]
	v_pk_fma_f32 v[2:3], v[2:3], v[8:9], v[6:7]
	v_dot4c_i32_i8_e32 v4, v153, v19
	v_pk_mul_f16 v14, v5, v159
	v_pk_mul_f16 v149, v5, v143
	v_pk_add_f32 v[2:3], v[134:135], v[2:3]
	v_pk_fma_f32 v[6:7], v[140:141], v[146:147], v[144:145]
	v_cvt_f32_f16_e32 v9, v142
	v_cvt_f32_f16_e32 v8, v158
	v_cvt_f32_f16_sdwa v135, v142 dst_sel:DWORD dst_unused:UNUSED_PAD src0_sel:WORD_1
	v_cvt_f32_f16_sdwa v134, v158 dst_sel:DWORD dst_unused:UNUSED_PAD src0_sel:WORD_1
	v_cvt_f32_i32_e32 v141, v160
	v_cvt_f32_i32_e32 v140, v172
	v_cvt_f32_f16_e32 v143, v149
	v_cvt_f32_f16_e32 v142, v14
	v_cvt_f32_f16_sdwa v145, v149 dst_sel:DWORD dst_unused:UNUSED_PAD src0_sel:WORD_1
	v_cvt_f32_f16_sdwa v144, v14 dst_sel:DWORD dst_unused:UNUSED_PAD src0_sel:WORD_1
	v_cvt_f32_i32_e32 v147, v148
	v_cvt_f32_i32_e32 v146, v4
	v_pk_add_f32 v[2:3], v[2:3], v[6:7]
	v_pk_fma_f32 v[6:7], v[8:9], v[140:141], v[134:135]
	v_mov_b32_e32 v140, 0
	v_pk_add_f32 v[2:3], v[2:3], v[6:7]
	v_pk_fma_f32 v[6:7], v[142:143], v[146:147], v[144:145]
	s_waitcnt lgkmcnt(0)
	v_dot4c_i32_i8_e32 v140, v20, v10
	v_pk_add_f32 v[134:135], v[2:3], v[6:7]
	v_add_u32_e32 v2, 0x41e8, v37
	ds_read2_b32 v[2:3], v2 offset1:1
	v_add_u32_e32 v4, 0x41f0, v37
	v_add_u32_e32 v8, 0x41f8, v37
	v_dot4c_i32_i8_e32 v140, v21, v16
	v_add_u32_e32 v14, 0x6260, v37
	ds_read2_b32 v[6:7], v4 offset1:1
	ds_read2_b32 v[8:9], v8 offset1:1
	;; [unrolled: 1-line block ×3, first 2 shown]
	s_waitcnt lgkmcnt(3)
	v_dot4c_i32_i8_e32 v140, v2, v11
	v_add_u32_e32 v2, 0x6268, v37
	v_dot4c_i32_i8_e32 v140, v3, v17
	ds_read2_b32 v[2:3], v2 offset1:1
	s_waitcnt lgkmcnt(3)
	v_dot4c_i32_i8_e32 v140, v6, v12
	v_add_u32_e32 v4, 0x6270, v37
	v_dot4c_i32_i8_e32 v140, v7, v18
	ds_read2_b32 v[6:7], v4 offset1:1
	v_mov_b32_e32 v142, 0
	s_waitcnt lgkmcnt(3)
	v_dot4c_i32_i8_e32 v140, v8, v13
	s_waitcnt lgkmcnt(2)
	v_dot4c_i32_i8_e32 v142, v20, v10
	v_add_u32_e32 v4, 0x6278, v37
	v_dot4c_i32_i8_e32 v140, v9, v19
	v_dot4c_i32_i8_e32 v142, v21, v16
	ds_read2_b32 v[8:9], v4 offset1:1
	s_waitcnt lgkmcnt(2)
	v_dot4c_i32_i8_e32 v142, v2, v11
	v_dot4c_i32_i8_e32 v142, v3, v17
	s_waitcnt lgkmcnt(1)
	v_dot4c_i32_i8_e32 v142, v6, v12
	v_dot4c_i32_i8_e32 v142, v7, v18
	s_waitcnt lgkmcnt(0)
	v_dot4c_i32_i8_e32 v142, v8, v13
	v_pk_mul_f16 v141, v5, v15
	v_dot4c_i32_i8_e32 v142, v9, v19
	v_cvt_f32_f16_e32 v3, v162
	v_cvt_f32_f16_e32 v2, v156
	v_cvt_f32_f16_sdwa v7, v162 dst_sel:DWORD dst_unused:UNUSED_PAD src0_sel:WORD_1
	v_cvt_f32_f16_sdwa v6, v156 dst_sel:DWORD dst_unused:UNUSED_PAD src0_sel:WORD_1
	v_cvt_f32_i32_e32 v9, v170
	v_cvt_f32_i32_e32 v8, v169
	v_cvt_f32_f16_e32 v11, v171
	v_cvt_f32_f16_e32 v10, v157
	v_cvt_f32_f16_sdwa v13, v171 dst_sel:DWORD dst_unused:UNUSED_PAD src0_sel:WORD_1
	v_cvt_f32_f16_sdwa v12, v157 dst_sel:DWORD dst_unused:UNUSED_PAD src0_sel:WORD_1
	v_cvt_f32_i32_e32 v15, v167
	v_cvt_f32_i32_e32 v14, v166
	v_pk_mul_f16 v16, v5, v139
	v_pk_fma_f32 v[2:3], v[2:3], v[8:9], v[6:7]
	v_cvt_f32_f16_e32 v7, v138
	v_pk_fma_f32 v[4:5], v[10:11], v[14:15], v[12:13]
	v_cvt_f32_f16_e32 v6, v173
	v_cvt_f32_f16_sdwa v9, v138 dst_sel:DWORD dst_unused:UNUSED_PAD src0_sel:WORD_1
	v_cvt_f32_f16_sdwa v8, v173 dst_sel:DWORD dst_unused:UNUSED_PAD src0_sel:WORD_1
	v_cvt_f32_i32_e32 v11, v174
	v_cvt_f32_i32_e32 v10, v161
	v_cvt_f32_f16_e32 v13, v16
	v_cvt_f32_f16_e32 v12, v141
	v_cvt_f32_f16_sdwa v15, v16 dst_sel:DWORD dst_unused:UNUSED_PAD src0_sel:WORD_1
	v_cvt_f32_f16_sdwa v14, v141 dst_sel:DWORD dst_unused:UNUSED_PAD src0_sel:WORD_1
	v_cvt_f32_i32_e32 v17, v142
	v_cvt_f32_i32_e32 v16, v140
	v_pk_add_f32 v[2:3], v[136:137], v[2:3]
	s_nop 0
	v_pk_add_f32 v[2:3], v[2:3], v[4:5]
	v_pk_fma_f32 v[4:5], v[6:7], v[10:11], v[8:9]
	s_barrier
	v_pk_add_f32 v[2:3], v[2:3], v[4:5]
	v_pk_fma_f32 v[4:5], v[12:13], v[16:17], v[14:15]
	s_nop 0
	v_pk_add_f32 v[136:137], v[2:3], v[4:5]
.LBB204_5:                              ;   in Loop: Header=BB204_6 Depth=1
	s_add_i32 s20, s20, 8
	s_addk_i32 s4, 0x100
	v_lshl_add_u64 v[60:61], v[60:61], 0, s[12:13]
	v_lshl_add_u64 v[62:63], v[62:63], 0, s[22:23]
	v_lshl_add_u64 v[64:65], v[64:65], 0, s[22:23]
	v_lshl_add_u64 v[66:67], v[66:67], 0, s[22:23]
	v_lshl_add_u64 v[68:69], v[68:69], 0, s[22:23]
	v_lshl_add_u64 v[70:71], v[70:71], 0, s[22:23]
	v_lshl_add_u64 v[72:73], v[72:73], 0, s[22:23]
	v_lshl_add_u64 v[74:75], v[74:75], 0, s[22:23]
	v_lshl_add_u64 v[76:77], v[76:77], 0, s[22:23]
	v_lshl_add_u64 v[78:79], v[78:79], 0, s[22:23]
	v_lshl_add_u64 v[80:81], v[80:81], 0, s[22:23]
	v_lshl_add_u64 v[82:83], v[82:83], 0, s[22:23]
	v_lshl_add_u64 v[84:85], v[84:85], 0, s[22:23]
	v_lshl_add_u64 v[86:87], v[86:87], 0, s[22:23]
	v_lshl_add_u64 v[88:89], v[88:89], 0, s[22:23]
	v_lshl_add_u64 v[90:91], v[90:91], 0, s[22:23]
	v_lshl_add_u64 v[92:93], v[92:93], 0, s[22:23]
	v_lshl_add_u64 v[94:95], v[94:95], 0, s[22:23]
	v_lshl_add_u64 v[96:97], v[96:97], 0, s[22:23]
	v_lshl_add_u64 v[98:99], v[98:99], 0, s[22:23]
	v_lshl_add_u64 v[100:101], v[100:101], 0, s[22:23]
	v_lshl_add_u64 v[102:103], v[102:103], 0, s[22:23]
	v_lshl_add_u64 v[104:105], v[104:105], 0, s[22:23]
	v_lshl_add_u64 v[106:107], v[106:107], 0, s[22:23]
	v_lshl_add_u64 v[108:109], v[108:109], 0, s[22:23]
	v_lshl_add_u64 v[110:111], v[110:111], 0, s[22:23]
	v_lshl_add_u64 v[112:113], v[112:113], 0, s[22:23]
	v_lshl_add_u64 v[114:115], v[114:115], 0, s[22:23]
	v_lshl_add_u64 v[116:117], v[116:117], 0, s[22:23]
	v_lshl_add_u64 v[118:119], v[118:119], 0, s[22:23]
	v_lshl_add_u64 v[120:121], v[120:121], 0, s[22:23]
	v_lshl_add_u64 v[122:123], v[122:123], 0, s[22:23]
	v_lshl_add_u64 v[124:125], v[124:125], 0, s[22:23]
	v_lshl_add_u64 v[126:127], v[126:127], 0, s[22:23]
	v_lshl_add_u64 v[128:129], v[128:129], 0, s[22:23]
	v_lshl_add_u64 v[130:131], v[130:131], 0, s[22:23]
	s_cmp_ge_i32 s20, s26
	v_lshl_add_u64 v[132:133], v[132:133], 0, s[22:23]
	s_cbranch_scc1 .LBB204_20
.LBB204_6:                              ; =>This Inner Loop Header: Depth=1
	v_lshl_add_u64 v[2:3], v[62:63], 0, s[18:19]
	global_load_dword v14, v[2:3], off
	v_lshl_add_u64 v[2:3], v[64:65], 0, s[18:19]
	global_load_dword v15, v[2:3], off offset:4
	v_lshl_add_u64 v[2:3], v[66:67], 0, s[18:19]
	global_load_dword v16, v[2:3], off
	v_lshl_add_u64 v[2:3], v[68:69], 0, s[18:19]
	global_load_dword v17, v[2:3], off
	v_lshl_add_u64 v[4:5], v[72:73], 0, s[18:19]
	v_lshl_add_u64 v[2:3], v[70:71], 0, s[18:19]
	global_load_dword v18, v[4:5], off
	global_load_dword v19, v[2:3], off
	v_lshl_add_u64 v[2:3], v[74:75], 0, s[18:19]
	v_lshl_add_u64 v[4:5], v[76:77], 0, s[18:19]
	;; [unrolled: 1-line block ×6, first 2 shown]
	global_load_dword v20, v[2:3], off
	s_nop 0
	global_load_dword v2, v[4:5], off
	s_nop 0
	global_load_dword v4, v[6:7], off
	global_load_dword v5, v[8:9], off
	s_nop 0
	global_load_dword v6, v[10:11], off
	global_load_dword v7, v[12:13], off
	s_add_i32 s2, s4, 0xffffff80
	s_cmp_lt_i32 s2, s5
	s_waitcnt vmcnt(11)
	v_lshrrev_b32_e32 v8, 4, v14
	v_and_b32_e32 v9, 0xf0f0f0f, v14
	s_waitcnt vmcnt(10)
	v_ashrrev_i32_e32 v3, v24, v15
	v_and_b32_e32 v8, 0xf0f0f0f, v8
	s_waitcnt vmcnt(9)
	v_lshrrev_b32_e32 v11, 4, v16
	v_and_b32_e32 v12, 0xf0f0f0f, v16
	s_waitcnt vmcnt(8)
	v_ashrrev_i32_e32 v10, v24, v17
	v_lshlrev_b32_e32 v16, 4, v3
	s_waitcnt vmcnt(7)
	v_ashrrev_i32_e32 v13, v24, v18
	s_waitcnt vmcnt(6)
	v_lshrrev_b32_e32 v14, 4, v19
	v_and_b32_e32 v15, 0xf0f0f0f, v19
	v_lshlrev_b32_e32 v17, 11, v3
	v_lshrrev_b32_e32 v18, 12, v3
	v_lshrrev_b32_e32 v19, 5, v3
	v_lshlrev_b32_e32 v140, 4, v10
	v_lshlrev_b32_e32 v141, 11, v10
	v_lshrrev_b32_e32 v142, 12, v10
	v_lshrrev_b32_e32 v143, 5, v10
	v_lshlrev_b32_e32 v21, 2, v3
	v_lshlrev_b32_e32 v138, 18, v3
	;; [unrolled: 1-line block ×4, first 2 shown]
	v_and_b32_e32 v11, 0xf0f0f0f, v11
	v_lshlrev_b32_e32 v144, 2, v10
	v_lshlrev_b32_e32 v145, 18, v10
	;; [unrolled: 1-line block ×4, first 2 shown]
	v_and_b32_e32 v18, 16, v18
	v_and_b32_e32 v16, 16, v16
	;; [unrolled: 1-line block ×16, first 2 shown]
	v_or3_b32 v9, v16, v9, v17
	v_or3_b32 v8, v18, v8, v19
	;; [unrolled: 1-line block ×4, first 2 shown]
	v_lshlrev_b32_e32 v147, 4, v13
	v_lshlrev_b32_e32 v148, 11, v13
	v_lshrrev_b32_e32 v149, 12, v13
	v_lshrrev_b32_e32 v150, 5, v13
	v_or3_b32 v8, v8, v21, v139
	v_or3_b32 v3, v9, v138, v3
	;; [unrolled: 1-line block ×4, first 2 shown]
	v_and_b32_e32 v14, 0xf0f0f0f, v14
	v_and_b32_e32 v149, 16, v149
	;; [unrolled: 1-line block ×5, first 2 shown]
	ds_write2_b32 v26, v3, v8 offset1:1
	ds_write2_b32 v28, v10, v9 offset1:1
	v_lshlrev_b32_e32 v8, 2, v13
	v_lshlrev_b32_e32 v9, 18, v13
	;; [unrolled: 1-line block ×4, first 2 shown]
	v_or3_b32 v15, v147, v15, v148
	v_or3_b32 v3, v149, v14, v150
	v_and_b32_e32 v9, 0x100000, v9
	v_and_b32_e32 v8, 0x100000, v8
	;; [unrolled: 1-line block ×4, first 2 shown]
	v_or3_b32 v3, v3, v8, v10
	v_or3_b32 v8, v15, v9, v11
	ds_write2_b32 v30, v8, v3 offset1:1
	s_waitcnt vmcnt(4)
	v_ashrrev_i32_e32 v8, v24, v2
	v_lshl_add_u64 v[2:3], v[88:89], 0, s[18:19]
	v_lshlrev_b32_e32 v9, 4, v8
	v_lshlrev_b32_e32 v10, 11, v8
	v_lshrrev_b32_e32 v11, 4, v20
	v_lshrrev_b32_e32 v12, 12, v8
	;; [unrolled: 1-line block ×3, first 2 shown]
	global_load_dword v14, v[2:3], off
	v_lshl_add_u64 v[2:3], v[86:87], 0, s[18:19]
	v_and_b32_e32 v11, 0xf0f0f0f, v11
	global_load_dword v15, v[2:3], off
	v_and_b32_e32 v2, 0xf0f0f0f, v20
	v_and_b32_e32 v3, 16, v12
	;; [unrolled: 1-line block ×5, first 2 shown]
	v_or3_b32 v2, v9, v2, v10
	v_or3_b32 v3, v3, v11, v12
	v_lshlrev_b32_e32 v9, 2, v8
	v_lshlrev_b32_e32 v10, 18, v8
	;; [unrolled: 1-line block ×4, first 2 shown]
	v_and_b32_e32 v10, 0x100000, v10
	v_and_b32_e32 v9, 0x100000, v9
	;; [unrolled: 1-line block ×4, first 2 shown]
	v_or3_b32 v3, v3, v9, v11
	v_or3_b32 v2, v2, v10, v8
	ds_write2_b32 v32, v2, v3 offset1:1
	v_lshl_add_u64 v[2:3], v[92:93], 0, s[18:19]
	s_waitcnt vmcnt(4)
	v_ashrrev_i32_e32 v5, v24, v5
	global_load_dword v13, v[2:3], off
	v_lshl_add_u64 v[2:3], v[90:91], 0, s[18:19]
	v_lshlrev_b32_e32 v8, 4, v5
	v_lshlrev_b32_e32 v9, 11, v5
	v_lshrrev_b32_e32 v10, 4, v4
	v_lshrrev_b32_e32 v11, 12, v5
	;; [unrolled: 1-line block ×3, first 2 shown]
	global_load_dword v16, v[2:3], off
	v_and_b32_e32 v10, 0xf0f0f0f, v10
	v_and_b32_e32 v2, 0xf0f0f0f, v4
	;; [unrolled: 1-line block ×6, first 2 shown]
	v_or3_b32 v2, v4, v2, v9
	v_or3_b32 v3, v3, v10, v8
	v_lshlrev_b32_e32 v4, 2, v5
	v_lshlrev_b32_e32 v8, 18, v5
	;; [unrolled: 1-line block ×4, first 2 shown]
	v_and_b32_e32 v8, 0x100000, v8
	v_and_b32_e32 v4, 0x100000, v4
	;; [unrolled: 1-line block ×4, first 2 shown]
	v_or3_b32 v3, v3, v4, v9
	v_or3_b32 v2, v2, v8, v5
	ds_write2_b32 v34, v2, v3 offset1:1
	v_lshl_add_u64 v[2:3], v[96:97], 0, s[18:19]
	s_waitcnt vmcnt(4)
	v_ashrrev_i32_e32 v4, v24, v7
	global_load_dword v11, v[2:3], off
	v_lshl_add_u64 v[2:3], v[94:95], 0, s[18:19]
	v_lshlrev_b32_e32 v5, 4, v4
	v_lshlrev_b32_e32 v7, 11, v4
	v_lshrrev_b32_e32 v8, 4, v6
	v_lshrrev_b32_e32 v9, 12, v4
	v_lshrrev_b32_e32 v10, 5, v4
	global_load_dword v12, v[2:3], off
	v_and_b32_e32 v8, 0xf0f0f0f, v8
	v_and_b32_e32 v2, 0xf0f0f0f, v6
	;; [unrolled: 1-line block ×6, first 2 shown]
	v_or3_b32 v2, v5, v2, v7
	v_or3_b32 v3, v3, v8, v6
	v_lshlrev_b32_e32 v5, 2, v4
	v_lshlrev_b32_e32 v6, 18, v4
	;; [unrolled: 1-line block ×4, first 2 shown]
	v_and_b32_e32 v6, 0x100000, v6
	v_and_b32_e32 v5, 0x100000, v5
	;; [unrolled: 1-line block ×4, first 2 shown]
	v_or3_b32 v3, v3, v5, v7
	v_or3_b32 v2, v2, v6, v4
	ds_write2_b32 v36, v2, v3 offset1:1
	v_lshl_add_u64 v[2:3], v[100:101], 0, s[18:19]
	global_load_dword v10, v[2:3], off
	s_waitcnt vmcnt(6)
	v_ashrrev_i32_e32 v4, v24, v14
	v_lshlrev_b32_e32 v5, 4, v4
	v_lshlrev_b32_e32 v6, 11, v4
	s_waitcnt vmcnt(5)
	v_lshrrev_b32_e32 v7, 4, v15
	v_lshrrev_b32_e32 v8, 12, v4
	;; [unrolled: 1-line block ×3, first 2 shown]
	v_lshl_add_u64 v[2:3], v[98:99], 0, s[18:19]
	v_and_b32_e32 v7, 0xf0f0f0f, v7
	global_load_dword v14, v[2:3], off
	v_and_b32_e32 v2, 0xf0f0f0f, v15
	v_and_b32_e32 v3, 16, v8
	v_and_b32_e32 v5, 16, v5
	v_and_b32_e32 v8, 0x1000, v9
	v_and_b32_e32 v6, 0x1000, v6
	v_or3_b32 v2, v5, v2, v6
	v_or3_b32 v3, v3, v7, v8
	v_lshlrev_b32_e32 v5, 2, v4
	v_lshlrev_b32_e32 v6, 18, v4
	;; [unrolled: 1-line block ×4, first 2 shown]
	v_and_b32_e32 v6, 0x100000, v6
	v_and_b32_e32 v5, 0x100000, v5
	;; [unrolled: 1-line block ×4, first 2 shown]
	v_or3_b32 v3, v3, v5, v7
	v_or3_b32 v2, v2, v6, v4
	ds_write2_b32 v38, v2, v3 offset1:1
	s_waitcnt vmcnt(5)
	v_ashrrev_i32_e32 v4, v24, v13
	v_lshl_add_u64 v[2:3], v[104:105], 0, s[18:19]
	v_lshlrev_b32_e32 v5, 4, v4
	v_lshlrev_b32_e32 v6, 11, v4
	s_waitcnt vmcnt(4)
	v_lshrrev_b32_e32 v7, 4, v16
	v_lshrrev_b32_e32 v8, 12, v4
	v_lshrrev_b32_e32 v9, 5, v4
	global_load_dword v13, v[2:3], off
	v_lshl_add_u64 v[2:3], v[102:103], 0, s[18:19]
	v_and_b32_e32 v7, 0xf0f0f0f, v7
	global_load_dword v15, v[2:3], off
	v_and_b32_e32 v2, 0xf0f0f0f, v16
	v_and_b32_e32 v3, 16, v8
	;; [unrolled: 1-line block ×5, first 2 shown]
	v_or3_b32 v2, v5, v2, v6
	v_or3_b32 v3, v3, v7, v8
	v_lshlrev_b32_e32 v5, 2, v4
	v_lshlrev_b32_e32 v6, 18, v4
	;; [unrolled: 1-line block ×4, first 2 shown]
	v_and_b32_e32 v6, 0x100000, v6
	v_and_b32_e32 v5, 0x100000, v5
	;; [unrolled: 1-line block ×4, first 2 shown]
	v_or3_b32 v3, v3, v5, v7
	v_or3_b32 v2, v2, v6, v4
	ds_write2_b32 v40, v2, v3 offset1:1
	v_lshl_add_u64 v[2:3], v[108:109], 0, s[18:19]
	s_waitcnt vmcnt(5)
	v_ashrrev_i32_e32 v4, v24, v11
	global_load_dword v11, v[2:3], off
	v_lshl_add_u64 v[2:3], v[106:107], 0, s[18:19]
	v_lshlrev_b32_e32 v5, 4, v4
	v_lshlrev_b32_e32 v6, 11, v4
	s_waitcnt vmcnt(5)
	v_lshrrev_b32_e32 v7, 4, v12
	v_lshrrev_b32_e32 v8, 12, v4
	;; [unrolled: 1-line block ×3, first 2 shown]
	global_load_dword v16, v[2:3], off
	v_and_b32_e32 v7, 0xf0f0f0f, v7
	v_and_b32_e32 v2, 0xf0f0f0f, v12
	;; [unrolled: 1-line block ×6, first 2 shown]
	v_or3_b32 v2, v5, v2, v6
	v_or3_b32 v3, v3, v7, v8
	v_lshlrev_b32_e32 v5, 2, v4
	v_lshlrev_b32_e32 v6, 18, v4
	;; [unrolled: 1-line block ×4, first 2 shown]
	v_and_b32_e32 v6, 0x100000, v6
	v_and_b32_e32 v5, 0x100000, v5
	;; [unrolled: 1-line block ×4, first 2 shown]
	v_or3_b32 v3, v3, v5, v7
	v_or3_b32 v2, v2, v6, v4
	ds_write2_b32 v42, v2, v3 offset1:1
	v_lshl_add_u64 v[2:3], v[112:113], 0, s[18:19]
	s_waitcnt vmcnt(5)
	v_ashrrev_i32_e32 v4, v24, v10
	global_load_dword v10, v[2:3], off
	v_lshl_add_u64 v[2:3], v[110:111], 0, s[18:19]
	global_load_dword v12, v[2:3], off
	v_lshlrev_b32_e32 v5, 4, v4
	v_lshlrev_b32_e32 v6, 11, v4
	s_waitcnt vmcnt(6)
	v_lshrrev_b32_e32 v7, 4, v14
	v_lshrrev_b32_e32 v8, 12, v4
	;; [unrolled: 1-line block ×3, first 2 shown]
	v_and_b32_e32 v7, 0xf0f0f0f, v7
	v_and_b32_e32 v2, 0xf0f0f0f, v14
	;; [unrolled: 1-line block ×6, first 2 shown]
	v_or3_b32 v2, v5, v2, v6
	v_or3_b32 v3, v3, v7, v8
	v_lshlrev_b32_e32 v5, 2, v4
	v_lshlrev_b32_e32 v6, 18, v4
	;; [unrolled: 1-line block ×4, first 2 shown]
	v_and_b32_e32 v6, 0x100000, v6
	v_and_b32_e32 v5, 0x100000, v5
	;; [unrolled: 1-line block ×4, first 2 shown]
	v_or3_b32 v3, v3, v5, v7
	v_or3_b32 v2, v2, v6, v4
	ds_write2_b32 v44, v2, v3 offset1:1
	s_waitcnt vmcnt(5)
	v_ashrrev_i32_e32 v4, v24, v13
	v_lshlrev_b32_e32 v2, 4, v4
	v_lshlrev_b32_e32 v3, 11, v4
	s_waitcnt vmcnt(4)
	v_lshrrev_b32_e32 v5, 4, v15
	v_lshrrev_b32_e32 v6, 12, v4
	;; [unrolled: 1-line block ×3, first 2 shown]
	v_and_b32_e32 v5, 0xf0f0f0f, v5
	v_and_b32_e32 v6, 16, v6
	;; [unrolled: 1-line block ×5, first 2 shown]
	v_lshl_add_u64 v[2:3], v[116:117], 0, s[18:19]
	global_load_dword v14, v[2:3], off
	v_or3_b32 v5, v6, v5, v7
	v_lshlrev_b32_e32 v6, 2, v4
	v_lshl_add_u64 v[2:3], v[114:115], 0, s[18:19]
	v_and_b32_e32 v8, 0xf0f0f0f, v15
	global_load_dword v7, v[2:3], off
	v_lshlrev_b32_e32 v2, 18, v4
	v_and_b32_e32 v3, 0x100000, v6
	v_lshlrev_b32_e32 v6, 9, v4
	v_lshlrev_b32_e32 v4, 25, v4
	v_or3_b32 v8, v9, v8, v13
	v_and_b32_e32 v2, 0x100000, v2
	v_and_b32_e32 v4, 0x10000000, v4
	;; [unrolled: 1-line block ×3, first 2 shown]
	v_or3_b32 v3, v5, v3, v6
	v_or3_b32 v2, v8, v2, v4
	s_waitcnt vmcnt(5)
	v_ashrrev_i32_e32 v4, v24, v11
	ds_write2_b32 v46, v2, v3 offset1:1
	v_lshlrev_b32_e32 v2, 4, v4
	s_waitcnt vmcnt(4)
	v_lshrrev_b32_e32 v3, 4, v16
	v_lshrrev_b32_e32 v6, 12, v4
	;; [unrolled: 1-line block ×3, first 2 shown]
	v_and_b32_e32 v9, 0xf0f0f0f, v3
	v_and_b32_e32 v13, 16, v2
	v_lshl_add_u64 v[2:3], v[120:121], 0, s[18:19]
	v_lshlrev_b32_e32 v5, 11, v4
	v_and_b32_e32 v6, 16, v6
	global_load_dword v15, v[2:3], off
	v_and_b32_e32 v8, 0x1000, v8
	v_lshl_add_u64 v[2:3], v[118:119], 0, s[18:19]
	v_and_b32_e32 v11, 0xf0f0f0f, v16
	global_load_dword v16, v[2:3], off
	v_and_b32_e32 v2, 0x1000, v5
	v_or3_b32 v3, v6, v9, v8
	v_lshlrev_b32_e32 v5, 2, v4
	v_lshlrev_b32_e32 v6, 18, v4
	;; [unrolled: 1-line block ×4, first 2 shown]
	v_or3_b32 v2, v13, v11, v2
	v_and_b32_e32 v6, 0x100000, v6
	v_and_b32_e32 v5, 0x100000, v5
	;; [unrolled: 1-line block ×4, first 2 shown]
	v_or3_b32 v3, v3, v5, v8
	v_or3_b32 v2, v2, v6, v4
	ds_write2_b32 v48, v2, v3 offset1:1
	s_waitcnt vmcnt(5)
	v_ashrrev_i32_e32 v4, v24, v10
	v_lshl_add_u64 v[2:3], v[124:125], 0, s[18:19]
	v_lshlrev_b32_e32 v5, 4, v4
	v_lshlrev_b32_e32 v6, 11, v4
	s_waitcnt vmcnt(4)
	v_lshrrev_b32_e32 v8, 4, v12
	v_lshrrev_b32_e32 v9, 12, v4
	;; [unrolled: 1-line block ×3, first 2 shown]
	global_load_dword v11, v[2:3], off
	v_lshl_add_u64 v[2:3], v[122:123], 0, s[18:19]
	v_and_b32_e32 v8, 0xf0f0f0f, v8
	global_load_dword v13, v[2:3], off
	v_and_b32_e32 v2, 0xf0f0f0f, v12
	v_and_b32_e32 v3, 16, v9
	;; [unrolled: 1-line block ×5, first 2 shown]
	v_or3_b32 v2, v5, v2, v6
	v_or3_b32 v3, v3, v8, v9
	v_lshlrev_b32_e32 v5, 2, v4
	v_lshlrev_b32_e32 v6, 18, v4
	;; [unrolled: 1-line block ×4, first 2 shown]
	v_and_b32_e32 v6, 0x100000, v6
	v_and_b32_e32 v5, 0x100000, v5
	v_and_b32_e32 v4, 0x10000000, v4
	v_and_b32_e32 v8, 0x10000000, v8
	v_or3_b32 v3, v3, v5, v8
	v_or3_b32 v2, v2, v6, v4
	ds_write2_b32 v50, v2, v3 offset1:1
	v_lshl_add_u64 v[2:3], v[126:127], 0, s[18:19]
	global_load_dword v4, v[2:3], off
	v_lshl_add_u64 v[2:3], v[128:129], 0, s[18:19]
	global_load_dword v5, v[2:3], off
	;; [unrolled: 2-line block ×4, first 2 shown]
	s_waitcnt vmcnt(9)
	v_ashrrev_i32_e32 v8, v24, v14
	v_lshlrev_b32_e32 v3, 4, v8
	v_lshlrev_b32_e32 v9, 11, v8
	s_waitcnt vmcnt(8)
	v_lshrrev_b32_e32 v10, 4, v7
	v_lshrrev_b32_e32 v12, 12, v8
	v_lshrrev_b32_e32 v14, 5, v8
	v_and_b32_e32 v10, 0xf0f0f0f, v10
	v_and_b32_e32 v7, 0xf0f0f0f, v7
	v_and_b32_e32 v12, 16, v12
	v_and_b32_e32 v3, 16, v3
	v_and_b32_e32 v14, 0x1000, v14
	v_and_b32_e32 v9, 0x1000, v9
	v_or3_b32 v3, v3, v7, v9
	v_or3_b32 v7, v12, v10, v14
	v_lshlrev_b32_e32 v9, 2, v8
	v_lshlrev_b32_e32 v10, 18, v8
	v_lshlrev_b32_e32 v12, 9, v8
	v_lshlrev_b32_e32 v8, 25, v8
	v_and_b32_e32 v10, 0x100000, v10
	v_and_b32_e32 v9, 0x100000, v9
	v_and_b32_e32 v8, 0x10000000, v8
	v_and_b32_e32 v12, 0x10000000, v12
	v_or3_b32 v7, v7, v9, v12
	v_or3_b32 v3, v3, v10, v8
	ds_write2_b32 v52, v3, v7 offset1:1
	s_waitcnt vmcnt(7)
	v_ashrrev_i32_e32 v3, v24, v15
	v_lshlrev_b32_e32 v7, 4, v3
	v_lshlrev_b32_e32 v8, 11, v3
	s_waitcnt vmcnt(6)
	v_lshrrev_b32_e32 v9, 4, v16
	v_lshrrev_b32_e32 v10, 12, v3
	v_lshrrev_b32_e32 v12, 5, v3
	v_and_b32_e32 v9, 0xf0f0f0f, v9
	v_and_b32_e32 v14, 0xf0f0f0f, v16
	v_and_b32_e32 v10, 16, v10
	v_and_b32_e32 v7, 16, v7
	v_and_b32_e32 v12, 0x1000, v12
	v_and_b32_e32 v8, 0x1000, v8
	v_or3_b32 v7, v7, v14, v8
	v_or3_b32 v8, v10, v9, v12
	v_lshlrev_b32_e32 v9, 2, v3
	v_lshlrev_b32_e32 v10, 18, v3
	v_lshlrev_b32_e32 v12, 9, v3
	v_lshlrev_b32_e32 v3, 25, v3
	v_and_b32_e32 v10, 0x100000, v10
	v_and_b32_e32 v9, 0x100000, v9
	v_and_b32_e32 v3, 0x10000000, v3
	v_and_b32_e32 v12, 0x10000000, v12
	v_or3_b32 v8, v8, v9, v12
	v_or3_b32 v3, v7, v10, v3
	ds_write2_b32 v54, v3, v8 offset1:1
	;; [unrolled: 27-line block ×3, first 2 shown]
	s_waitcnt vmcnt(3)
	ds_write_b32 v25, v4
	s_waitcnt vmcnt(2)
	ds_write_b32 v53, v5
	;; [unrolled: 2-line block ×4, first 2 shown]
	s_cbranch_scc0 .LBB204_5
; %bb.7:                                ;   in Loop: Header=BB204_6 Depth=1
	v_add_u32_e32 v2, s20, v27
	v_cmp_gt_i32_e64 s[2:3], s8, v2
	s_and_b64 s[24:25], s[0:1], s[2:3]
	s_and_saveexec_b64 s[2:3], s[24:25]
	s_cbranch_execz .LBB204_9
; %bb.8:                                ;   in Loop: Header=BB204_6 Depth=1
	v_add_u32_e32 v2, s20, v51
	v_mad_i64_i32 v[2:3], s[24:25], v2, 36, v[58:59]
	global_load_dword v2, v[2:3], off offset:4
	s_waitcnt vmcnt(0)
	ds_write_b32 v29, v2
.LBB204_9:                              ;   in Loop: Header=BB204_6 Depth=1
	s_or_b64 exec, exec, s[2:3]
	s_and_saveexec_b64 s[24:25], vcc
	s_cbranch_execz .LBB204_12
; %bb.10:                               ;   in Loop: Header=BB204_6 Depth=1
	v_add_u32_e32 v2, s20, v22
	v_cmp_gt_i32_e64 s[2:3], s8, v2
	s_and_b64 s[2:3], s[0:1], s[2:3]
	s_and_b64 exec, exec, s[2:3]
	s_cbranch_execz .LBB204_12
; %bb.11:                               ;   in Loop: Header=BB204_6 Depth=1
	v_add_u32_e32 v2, s20, v23
	v_mad_i64_i32 v[2:3], s[2:3], v2, 36, s[14:15]
	global_load_dword v2, v[2:3], off
	s_waitcnt vmcnt(0)
	ds_write_b32 v31, v2
.LBB204_12:                             ;   in Loop: Header=BB204_6 Depth=1
	s_or_b64 exec, exec, s[24:25]
	s_waitcnt lgkmcnt(0)
	s_barrier
	ds_read_b128 v[14:17], v33
	ds_read_b128 v[18:21], v33 offset:16
	ds_read_b128 v[2:5], v35
	ds_read2_b32 v[138:139], v37 offset1:1
	ds_read_b128 v[10:13], v33 offset:32
	ds_read_b128 v[6:9], v33 offset:48
	ds_read2_b32 v[140:141], v39 offset1:1
	ds_read2_b32 v[142:143], v37 offset0:2 offset1:3
	v_mov_b32_e32 v147, 0
	s_waitcnt lgkmcnt(4)
	v_dot4c_i32_i8_e32 v147, v138, v14
	v_dot4c_i32_i8_e32 v147, v139, v18
	ds_read2_b32 v[138:139], v37 offset0:4 offset1:5
	ds_read2_b32 v[144:145], v37 offset0:6 offset1:7
	;; [unrolled: 1-line block ×3, first 2 shown]
	s_waitcnt lgkmcnt(3)
	v_dot4c_i32_i8_e32 v147, v142, v15
	v_dot4c_i32_i8_e32 v147, v143, v19
	s_waitcnt lgkmcnt(2)
	v_dot4c_i32_i8_e32 v147, v138, v16
	v_add_u32_e32 v138, 0x2080, v37
	ds_read2_b32 v[154:155], v37 offset0:26 offset1:27
	ds_read2_b32 v[156:157], v37 offset0:28 offset1:29
	;; [unrolled: 1-line block ×3, first 2 shown]
	ds_read2_b32 v[142:143], v138 offset1:1
	v_pk_mul_f16 v174, v2, v140
	v_mov_b32_e32 v140, 0
	v_dot4c_i32_i8_e32 v147, v139, v20
	ds_read2_b32 v[160:161], v41 offset1:1
	ds_read2_b32 v[138:139], v45 offset0:2 offset1:3
	s_waitcnt lgkmcnt(2)
	v_dot4c_i32_i8_e32 v140, v142, v14
	v_add_u32_e32 v142, 0x2088, v37
	v_dot4c_i32_i8_e32 v140, v143, v18
	ds_read2_b32 v[142:143], v142 offset1:1
	v_dot4c_i32_i8_e32 v147, v144, v17
	v_dot4c_i32_i8_e32 v147, v145, v21
	v_add_u32_e32 v144, 0x2090, v37
	v_add_u32_e32 v149, 0x4100, v37
	s_waitcnt lgkmcnt(0)
	v_dot4c_i32_i8_e32 v140, v142, v15
	v_cvt_f32_i32_e32 v148, v147
	v_add_u32_e32 v147, 0x2098, v37
	ds_read2_b32 v[144:145], v144 offset1:1
	ds_read2_b32 v[152:153], v147 offset1:1
	;; [unrolled: 1-line block ×3, first 2 shown]
	v_dot4c_i32_i8_e32 v140, v143, v19
	v_add_u32_e32 v142, 0x4108, v37
	s_waitcnt lgkmcnt(2)
	v_dot4c_i32_i8_e32 v140, v144, v16
	v_dot4c_i32_i8_e32 v140, v145, v20
	s_waitcnt lgkmcnt(1)
	v_dot4c_i32_i8_e32 v140, v152, v17
	v_dot4c_i32_i8_e32 v140, v153, v21
	ds_read2_b32 v[164:165], v43 offset1:1
	ds_read2_b32 v[152:153], v41 offset0:2 offset1:3
	ds_read2_b32 v[166:167], v39 offset0:2 offset1:3
	ds_read2_b32 v[142:143], v142 offset1:1
	v_cvt_f32_i32_e32 v149, v140
	v_mov_b32_e32 v140, 0
	s_waitcnt lgkmcnt(4)
	v_dot4c_i32_i8_e32 v140, v162, v14
	v_add_u32_e32 v144, 0x4110, v37
	v_add_u32_e32 v162, 0x4118, v37
	;; [unrolled: 1-line block ×3, first 2 shown]
	v_dot4c_i32_i8_e32 v140, v163, v18
	ds_read2_b32 v[144:145], v144 offset1:1
	ds_read2_b32 v[162:163], v162 offset1:1
	;; [unrolled: 1-line block ×3, first 2 shown]
	s_waitcnt lgkmcnt(3)
	v_dot4c_i32_i8_e32 v140, v142, v15
	v_dot4c_i32_i8_e32 v140, v143, v19
	s_waitcnt lgkmcnt(2)
	v_dot4c_i32_i8_e32 v140, v144, v16
	v_dot4c_i32_i8_e32 v140, v145, v20
	;; [unrolled: 3-line block ×3, first 2 shown]
	v_add_u32_e32 v143, 0x6198, v37
	v_pk_mul_f16 v160, v2, v160
	v_pk_mul_f16 v164, v2, v164
	v_cvt_f32_i32_e32 v144, v140
	v_mov_b32_e32 v140, 0
	s_waitcnt lgkmcnt(0)
	v_dot4c_i32_i8_e32 v140, v168, v14
	v_add_u32_e32 v14, 0x6188, v37
	ds_read2_b32 v[162:163], v14 offset1:1
	v_dot4c_i32_i8_e32 v140, v169, v18
	v_add_u32_e32 v18, 0x6190, v37
	v_add_u32_e32 v14, 0x20a0, v37
	ds_read2_b32 v[168:169], v18 offset1:1
	ds_read2_b32 v[170:171], v143 offset1:1
	;; [unrolled: 1-line block ×3, first 2 shown]
	s_waitcnt lgkmcnt(3)
	v_dot4c_i32_i8_e32 v140, v162, v15
	v_dot4c_i32_i8_e32 v140, v163, v19
	s_waitcnt lgkmcnt(2)
	v_dot4c_i32_i8_e32 v140, v168, v16
	v_dot4c_i32_i8_e32 v140, v169, v20
	ds_read2_b32 v[18:19], v45 offset1:1
	ds_read2_b32 v[14:15], v43 offset0:2 offset1:3
	s_waitcnt lgkmcnt(3)
	v_dot4c_i32_i8_e32 v140, v170, v17
	ds_read2_b32 v[16:17], v37 offset0:10 offset1:11
	v_mov_b32_e32 v169, 0
	v_dot4c_i32_i8_e32 v169, v150, v10
	v_dot4c_i32_i8_e32 v140, v171, v21
	;; [unrolled: 1-line block ×3, first 2 shown]
	ds_read2_b32 v[20:21], v37 offset0:12 offset1:13
	ds_read2_b32 v[150:151], v37 offset0:14 offset1:15
	;; [unrolled: 1-line block ×3, first 2 shown]
	s_waitcnt lgkmcnt(5)
	v_pk_mul_f16 v168, v2, v18
	s_waitcnt lgkmcnt(3)
	v_dot4c_i32_i8_e32 v169, v16, v11
	v_add_u32_e32 v2, 0x20a8, v37
	v_dot4c_i32_i8_e32 v169, v17, v7
	ds_read2_b32 v[16:17], v2 offset1:1
	s_waitcnt lgkmcnt(3)
	v_dot4c_i32_i8_e32 v169, v20, v12
	v_dot4c_i32_i8_e32 v169, v21, v8
	v_mov_b32_e32 v171, 0
	v_cvt_f32_i32_e32 v145, v140
	s_waitcnt lgkmcnt(2)
	v_dot4c_i32_i8_e32 v169, v150, v13
	v_dot4c_i32_i8_e32 v171, v172, v10
	v_add_u32_e32 v18, 0x20b0, v37
	v_add_u32_e32 v140, 0x20b8, v37
	v_dot4c_i32_i8_e32 v169, v151, v9
	v_pk_mul_f16 v170, v3, v141
	v_dot4c_i32_i8_e32 v171, v173, v6
	v_add_u32_e32 v2, 0x4120, v37
	ds_read2_b32 v[20:21], v18 offset1:1
	ds_read2_b32 v[140:141], v140 offset1:1
	;; [unrolled: 1-line block ×3, first 2 shown]
	s_waitcnt lgkmcnt(3)
	v_dot4c_i32_i8_e32 v171, v16, v11
	v_dot4c_i32_i8_e32 v171, v17, v7
	v_add_u32_e32 v2, 0x4128, v37
	s_waitcnt lgkmcnt(2)
	v_dot4c_i32_i8_e32 v171, v20, v12
	ds_read2_b32 v[16:17], v2 offset1:1
	v_dot4c_i32_i8_e32 v171, v21, v8
	v_mov_b32_e32 v172, 0
	s_waitcnt lgkmcnt(2)
	v_dot4c_i32_i8_e32 v171, v140, v13
	s_waitcnt lgkmcnt(1)
	v_dot4c_i32_i8_e32 v172, v150, v10
	v_add_u32_e32 v18, 0x4130, v37
	v_add_u32_e32 v140, 0x4138, v37
	v_dot4c_i32_i8_e32 v171, v141, v9
	v_dot4c_i32_i8_e32 v172, v151, v6
	v_add_u32_e32 v2, 0x61a0, v37
	ds_read2_b32 v[20:21], v18 offset1:1
	ds_read2_b32 v[140:141], v140 offset1:1
	;; [unrolled: 1-line block ×3, first 2 shown]
	s_waitcnt lgkmcnt(3)
	v_dot4c_i32_i8_e32 v172, v16, v11
	v_add_u32_e32 v2, 0x61a8, v37
	v_dot4c_i32_i8_e32 v172, v17, v7
	ds_read2_b32 v[16:17], v2 offset1:1
	s_waitcnt lgkmcnt(3)
	v_dot4c_i32_i8_e32 v172, v20, v12
	v_mov_b32_e32 v173, 0
	v_dot4c_i32_i8_e32 v172, v21, v8
	s_waitcnt lgkmcnt(1)
	v_dot4c_i32_i8_e32 v173, v150, v10
	v_dot4c_i32_i8_e32 v172, v140, v13
	;; [unrolled: 1-line block ×3, first 2 shown]
	v_add_u32_e32 v6, 0x61b0, v37
	v_dot4c_i32_i8_e32 v172, v141, v9
	v_add_u32_e32 v10, 0x61b8, v37
	v_add_u32_e32 v2, 0x20c0, v37
	ds_read2_b32 v[20:21], v6 offset1:1
	ds_read2_b32 v[140:141], v10 offset1:1
	;; [unrolled: 1-line block ×3, first 2 shown]
	s_waitcnt lgkmcnt(3)
	v_dot4c_i32_i8_e32 v173, v16, v11
	v_dot4c_i32_i8_e32 v173, v17, v7
	s_waitcnt lgkmcnt(2)
	v_dot4c_i32_i8_e32 v173, v20, v12
	v_dot4c_i32_i8_e32 v173, v21, v8
	s_waitcnt lgkmcnt(1)
	v_dot4c_i32_i8_e32 v173, v140, v13
	ds_read_b128 v[10:13], v33 offset:64
	v_dot4c_i32_i8_e32 v173, v141, v9
	ds_read_b128 v[6:9], v33 offset:80
	v_pk_mul_f16 v161, v3, v161
	v_pk_mul_f16 v165, v3, v165
	;; [unrolled: 1-line block ×3, first 2 shown]
	ds_read2_b32 v[2:3], v37 offset0:18 offset1:19
	v_mov_b32_e32 v176, 0
	s_waitcnt lgkmcnt(2)
	v_dot4c_i32_i8_e32 v176, v162, v10
	s_waitcnt lgkmcnt(1)
	v_dot4c_i32_i8_e32 v176, v163, v6
	ds_read2_b32 v[16:17], v37 offset0:20 offset1:21
	ds_read2_b32 v[18:19], v37 offset0:22 offset1:23
	;; [unrolled: 1-line block ×3, first 2 shown]
	s_waitcnt lgkmcnt(3)
	v_dot4c_i32_i8_e32 v176, v2, v11
	v_add_u32_e32 v2, 0x20c8, v37
	v_dot4c_i32_i8_e32 v176, v3, v7
	ds_read2_b32 v[2:3], v2 offset1:1
	s_waitcnt lgkmcnt(3)
	v_dot4c_i32_i8_e32 v176, v16, v12
	v_dot4c_i32_i8_e32 v176, v17, v8
	v_mov_b32_e32 v163, 0
	s_waitcnt lgkmcnt(2)
	v_dot4c_i32_i8_e32 v176, v18, v13
	v_dot4c_i32_i8_e32 v163, v150, v10
	v_add_u32_e32 v16, 0x20d0, v37
	v_add_u32_e32 v18, 0x20d8, v37
	;; [unrolled: 1-line block ×3, first 2 shown]
	v_dot4c_i32_i8_e32 v176, v19, v9
	v_dot4c_i32_i8_e32 v163, v151, v6
	ds_read2_b32 v[16:17], v16 offset1:1
	ds_read2_b32 v[18:19], v18 offset1:1
	;; [unrolled: 1-line block ×3, first 2 shown]
	s_waitcnt lgkmcnt(3)
	v_dot4c_i32_i8_e32 v163, v2, v11
	v_dot4c_i32_i8_e32 v163, v3, v7
	v_add_u32_e32 v2, 0x4148, v37
	s_waitcnt lgkmcnt(2)
	v_dot4c_i32_i8_e32 v163, v16, v12
	ds_read2_b32 v[2:3], v2 offset1:1
	v_pk_mul_f16 v162, v4, v166
	v_dot4c_i32_i8_e32 v163, v17, v8
	v_mov_b32_e32 v166, 0
	s_waitcnt lgkmcnt(2)
	v_dot4c_i32_i8_e32 v163, v18, v13
	s_waitcnt lgkmcnt(1)
	v_dot4c_i32_i8_e32 v166, v140, v10
	v_add_u32_e32 v16, 0x4150, v37
	v_add_u32_e32 v18, 0x4158, v37
	;; [unrolled: 1-line block ×3, first 2 shown]
	v_dot4c_i32_i8_e32 v163, v19, v9
	v_dot4c_i32_i8_e32 v166, v141, v6
	ds_read2_b32 v[16:17], v16 offset1:1
	ds_read2_b32 v[18:19], v18 offset1:1
	;; [unrolled: 1-line block ×3, first 2 shown]
	s_waitcnt lgkmcnt(3)
	v_dot4c_i32_i8_e32 v166, v2, v11
	v_add_u32_e32 v2, 0x61c8, v37
	v_dot4c_i32_i8_e32 v166, v3, v7
	ds_read2_b32 v[2:3], v2 offset1:1
	v_mov_b32_e32 v177, 0
	s_waitcnt lgkmcnt(3)
	v_dot4c_i32_i8_e32 v166, v16, v12
	s_waitcnt lgkmcnt(1)
	v_dot4c_i32_i8_e32 v177, v140, v10
	v_dot4c_i32_i8_e32 v166, v17, v8
	;; [unrolled: 1-line block ×3, first 2 shown]
	v_add_u32_e32 v6, 0x61d0, v37
	v_dot4c_i32_i8_e32 v166, v18, v13
	v_add_u32_e32 v10, 0x61d8, v37
	v_add_u32_e32 v18, 0x20e0, v37
	ds_read2_b32 v[16:17], v6 offset1:1
	ds_read2_b32 v[140:141], v10 offset1:1
	;; [unrolled: 1-line block ×3, first 2 shown]
	s_waitcnt lgkmcnt(3)
	v_dot4c_i32_i8_e32 v177, v2, v11
	v_dot4c_i32_i8_e32 v177, v3, v7
	s_waitcnt lgkmcnt(2)
	v_dot4c_i32_i8_e32 v177, v16, v12
	v_dot4c_i32_i8_e32 v177, v17, v8
	;; [unrolled: 1-line block ×3, first 2 shown]
	s_waitcnt lgkmcnt(1)
	v_dot4c_i32_i8_e32 v177, v140, v13
	ds_read_b128 v[10:13], v33 offset:96
	ds_read_b128 v[16:19], v33 offset:112
	v_pk_mul_f16 v152, v4, v152
	v_pk_mul_f16 v14, v4, v14
	;; [unrolled: 1-line block ×3, first 2 shown]
	v_mov_b32_e32 v4, 0
	s_waitcnt lgkmcnt(1)
	v_dot4c_i32_i8_e32 v4, v20, v10
	v_add_u32_e32 v2, 0x20e8, v37
	s_waitcnt lgkmcnt(0)
	v_dot4c_i32_i8_e32 v4, v21, v16
	ds_read2_b32 v[2:3], v2 offset1:1
	v_dot4c_i32_i8_e32 v4, v154, v11
	v_dot4c_i32_i8_e32 v4, v155, v17
	v_mov_b32_e32 v155, 0
	v_dot4c_i32_i8_e32 v155, v150, v10
	v_add_u32_e32 v6, 0x20f0, v37
	v_add_u32_e32 v8, 0x20f8, v37
	;; [unrolled: 1-line block ×3, first 2 shown]
	v_dot4c_i32_i8_e32 v177, v141, v9
	v_dot4c_i32_i8_e32 v155, v151, v16
	ds_read2_b32 v[6:7], v6 offset1:1
	ds_read2_b32 v[8:9], v8 offset1:1
	ds_read2_b32 v[20:21], v20 offset1:1
	s_waitcnt lgkmcnt(3)
	v_dot4c_i32_i8_e32 v155, v2, v11
	v_dot4c_i32_i8_e32 v155, v3, v17
	s_waitcnt lgkmcnt(2)
	v_dot4c_i32_i8_e32 v155, v6, v12
	v_dot4c_i32_i8_e32 v155, v7, v18
	v_cvt_f32_f16_e32 v146, v174
	v_cvt_f32_f16_e32 v147, v160
	s_waitcnt lgkmcnt(1)
	v_dot4c_i32_i8_e32 v155, v8, v13
	v_cvt_f32_f16_sdwa v3, v160 dst_sel:DWORD dst_unused:UNUSED_PAD src0_sel:WORD_1
	v_cvt_f32_f16_sdwa v2, v174 dst_sel:DWORD dst_unused:UNUSED_PAD src0_sel:WORD_1
	v_dot4c_i32_i8_e32 v155, v9, v19
	v_cvt_f32_f16_e32 v7, v161
	v_cvt_f32_f16_e32 v6, v170
	v_cvt_f32_f16_sdwa v9, v161 dst_sel:DWORD dst_unused:UNUSED_PAD src0_sel:WORD_1
	v_cvt_f32_f16_sdwa v8, v170 dst_sel:DWORD dst_unused:UNUSED_PAD src0_sel:WORD_1
	v_cvt_f32_i32_e32 v141, v171
	v_cvt_f32_i32_e32 v140, v169
	v_dot4c_i32_i8_e32 v4, v156, v12
	v_dot4c_i32_i8_e32 v4, v157, v18
	v_dot4c_i32_i8_e32 v4, v158, v13
	v_pk_fma_f32 v[2:3], v[146:147], v[148:149], v[2:3]
	v_dot4c_i32_i8_e32 v4, v159, v19
	v_pk_mul_f16 v154, v5, v167
	v_pk_mul_f16 v150, v5, v153
	v_pk_add_f32 v[2:3], v[134:135], v[2:3]
	v_pk_fma_f32 v[6:7], v[6:7], v[140:141], v[8:9]
	v_cvt_f32_f16_e32 v9, v152
	v_cvt_f32_f16_e32 v8, v162
	v_cvt_f32_f16_sdwa v135, v152 dst_sel:DWORD dst_unused:UNUSED_PAD src0_sel:WORD_1
	v_cvt_f32_f16_sdwa v134, v162 dst_sel:DWORD dst_unused:UNUSED_PAD src0_sel:WORD_1
	v_cvt_f32_i32_e32 v141, v163
	v_cvt_f32_i32_e32 v140, v176
	v_cvt_f32_f16_e32 v147, v150
	v_cvt_f32_f16_e32 v146, v154
	v_cvt_f32_f16_sdwa v149, v150 dst_sel:DWORD dst_unused:UNUSED_PAD src0_sel:WORD_1
	v_cvt_f32_f16_sdwa v148, v154 dst_sel:DWORD dst_unused:UNUSED_PAD src0_sel:WORD_1
	v_cvt_f32_i32_e32 v151, v155
	v_cvt_f32_i32_e32 v150, v4
	v_pk_add_f32 v[2:3], v[2:3], v[6:7]
	v_pk_fma_f32 v[6:7], v[8:9], v[140:141], v[134:135]
	v_mov_b32_e32 v140, 0
	v_pk_add_f32 v[2:3], v[2:3], v[6:7]
	v_pk_fma_f32 v[6:7], v[146:147], v[150:151], v[148:149]
	s_waitcnt lgkmcnt(0)
	v_dot4c_i32_i8_e32 v140, v20, v10
	v_pk_add_f32 v[134:135], v[2:3], v[6:7]
	v_add_u32_e32 v2, 0x4168, v37
	ds_read2_b32 v[2:3], v2 offset1:1
	v_add_u32_e32 v4, 0x4170, v37
	v_add_u32_e32 v8, 0x4178, v37
	;; [unrolled: 1-line block ×3, first 2 shown]
	v_dot4c_i32_i8_e32 v140, v21, v16
	ds_read2_b32 v[6:7], v4 offset1:1
	ds_read2_b32 v[8:9], v8 offset1:1
	ds_read2_b32 v[20:21], v20 offset1:1
	s_waitcnt lgkmcnt(3)
	v_dot4c_i32_i8_e32 v140, v2, v11
	v_add_u32_e32 v2, 0x61e8, v37
	v_dot4c_i32_i8_e32 v140, v3, v17
	ds_read2_b32 v[2:3], v2 offset1:1
	s_waitcnt lgkmcnt(3)
	v_dot4c_i32_i8_e32 v140, v6, v12
	v_add_u32_e32 v4, 0x61f0, v37
	v_dot4c_i32_i8_e32 v140, v7, v18
	ds_read2_b32 v[6:7], v4 offset1:1
	v_mov_b32_e32 v146, 0
	s_waitcnt lgkmcnt(3)
	v_dot4c_i32_i8_e32 v140, v8, v13
	s_waitcnt lgkmcnt(2)
	v_dot4c_i32_i8_e32 v146, v20, v10
	v_add_u32_e32 v4, 0x61f8, v37
	v_dot4c_i32_i8_e32 v140, v9, v19
	v_dot4c_i32_i8_e32 v146, v21, v16
	ds_read2_b32 v[8:9], v4 offset1:1
	s_waitcnt lgkmcnt(2)
	v_dot4c_i32_i8_e32 v146, v2, v11
	v_dot4c_i32_i8_e32 v146, v3, v17
	s_waitcnt lgkmcnt(1)
	v_dot4c_i32_i8_e32 v146, v6, v12
	v_dot4c_i32_i8_e32 v146, v7, v18
	;; [unrolled: 3-line block ×3, first 2 shown]
	v_cvt_f32_f16_e32 v7, v175
	v_cvt_f32_f16_e32 v6, v165
	v_cvt_f32_f16_sdwa v9, v175 dst_sel:DWORD dst_unused:UNUSED_PAD src0_sel:WORD_1
	v_cvt_f32_f16_sdwa v8, v165 dst_sel:DWORD dst_unused:UNUSED_PAD src0_sel:WORD_1
	v_cvt_f32_i32_e32 v11, v173
	v_cvt_f32_i32_e32 v10, v172
	v_cvt_f32_f16_e32 v142, v164
	v_cvt_f32_f16_e32 v143, v168
	v_cvt_f32_f16_sdwa v3, v168 dst_sel:DWORD dst_unused:UNUSED_PAD src0_sel:WORD_1
	v_cvt_f32_f16_sdwa v2, v164 dst_sel:DWORD dst_unused:UNUSED_PAD src0_sel:WORD_1
	v_pk_mul_f16 v141, v5, v15
	v_pk_mul_f16 v15, v5, v139
	v_pk_fma_f32 v[4:5], v[6:7], v[10:11], v[8:9]
	v_cvt_f32_f16_e32 v7, v138
	v_cvt_f32_f16_e32 v6, v14
	v_cvt_f32_f16_sdwa v9, v138 dst_sel:DWORD dst_unused:UNUSED_PAD src0_sel:WORD_1
	v_cvt_f32_f16_sdwa v8, v14 dst_sel:DWORD dst_unused:UNUSED_PAD src0_sel:WORD_1
	v_cvt_f32_i32_e32 v11, v177
	v_cvt_f32_i32_e32 v10, v166
	v_cvt_f32_f16_e32 v13, v15
	v_cvt_f32_f16_e32 v12, v141
	v_cvt_f32_f16_sdwa v15, v15 dst_sel:DWORD dst_unused:UNUSED_PAD src0_sel:WORD_1
	v_cvt_f32_f16_sdwa v14, v141 dst_sel:DWORD dst_unused:UNUSED_PAD src0_sel:WORD_1
	v_cvt_f32_i32_e32 v17, v146
	v_cvt_f32_i32_e32 v16, v140
	v_pk_fma_f32 v[2:3], v[142:143], v[144:145], v[2:3]
	s_cmp_ge_i32 s4, s5
	v_pk_add_f32 v[2:3], v[136:137], v[2:3]
	s_nop 0
	v_pk_add_f32 v[2:3], v[2:3], v[4:5]
	v_pk_fma_f32 v[4:5], v[6:7], v[10:11], v[8:9]
	s_barrier
	v_pk_add_f32 v[2:3], v[2:3], v[4:5]
	v_pk_fma_f32 v[4:5], v[12:13], v[16:17], v[14:15]
	s_nop 0
	v_pk_add_f32 v[136:137], v[2:3], v[4:5]
	s_cbranch_scc1 .LBB204_5
; %bb.13:                               ;   in Loop: Header=BB204_6 Depth=1
	v_add_u32_e32 v2, s20, v47
	v_cmp_gt_i32_e64 s[2:3], s8, v2
	s_and_b64 s[24:25], s[0:1], s[2:3]
	s_and_saveexec_b64 s[2:3], s[24:25]
	s_cbranch_execz .LBB204_15
; %bb.14:                               ;   in Loop: Header=BB204_6 Depth=1
	v_add_u32_e32 v2, s20, v49
	v_mad_i64_i32 v[2:3], s[24:25], v2, 36, v[58:59]
	global_load_dword v2, v[2:3], off offset:4
	s_waitcnt vmcnt(0)
	ds_write_b32 v29, v2
.LBB204_15:                             ;   in Loop: Header=BB204_6 Depth=1
	s_or_b64 exec, exec, s[2:3]
	s_and_saveexec_b64 s[24:25], vcc
	s_cbranch_execz .LBB204_4
; %bb.16:                               ;   in Loop: Header=BB204_6 Depth=1
	v_add3_u32 v2, v22, s20, 4
	v_cmp_gt_i32_e64 s[2:3], s8, v2
	s_and_b64 s[2:3], s[0:1], s[2:3]
	s_and_b64 exec, exec, s[2:3]
	s_cbranch_execz .LBB204_4
; %bb.17:                               ;   in Loop: Header=BB204_6 Depth=1
	global_load_dword v2, v[60:61], off
	s_waitcnt vmcnt(0)
	ds_write_b32 v31, v2
	s_branch .LBB204_4
.LBB204_18:
	v_mov_b32_e32 v2, 0
	v_mov_b32_e32 v4, 0
	v_mov_b32_e32 v6, 0
	s_mul_i32 s0, s10, s7
	s_waitcnt vmcnt(0)
	v_cmp_gt_i32_e32 vcc, s0, v1
	s_and_saveexec_b64 s[0:1], vcc
	s_cbranch_execnz .LBB204_21
.LBB204_19:
	s_endpgm
.LBB204_20:
	v_cvt_f16_f32_e32 v6, v134
	v_cvt_f16_f32_e32 v4, v135
	;; [unrolled: 1-line block ×4, first 2 shown]
	s_mul_i32 s0, s10, s7
	v_cmp_gt_i32_e32 vcc, s0, v1
	s_and_saveexec_b64 s[0:1], vcc
	s_cbranch_execz .LBB204_19
.LBB204_21:
	v_and_b32_e32 v0, 0x3ff, v0
	v_add_u32_e32 v5, s11, v0
	v_mul_lo_u32 v0, v1, s9
	v_cmp_gt_u32_e32 vcc, s9, v5
	s_and_saveexec_b64 s[0:1], vcc
	s_cbranch_execz .LBB204_23
; %bb.22:
	v_add_u32_e32 v8, v0, v5
	v_mov_b32_e32 v9, 0
	v_lshl_add_u64 v[8:9], v[8:9], 1, s[16:17]
	global_store_short v[8:9], v6, off
.LBB204_23:
	s_or_b64 exec, exec, s[0:1]
	v_add_u32_e32 v1, 32, v5
	v_cmp_gt_u32_e32 vcc, s9, v1
	s_and_saveexec_b64 s[0:1], vcc
	s_cbranch_execz .LBB204_25
; %bb.24:
	v_add_u32_e32 v6, v0, v1
	v_mov_b32_e32 v7, 0
	v_lshl_add_u64 v[6:7], v[6:7], 1, s[16:17]
	global_store_short v[6:7], v4, off
.LBB204_25:
	s_or_b64 exec, exec, s[0:1]
	v_add_u32_e32 v1, 64, v5
	;; [unrolled: 11-line block ×3, first 2 shown]
	v_cmp_gt_u32_e32 vcc, s9, v1
	s_and_b64 exec, exec, vcc
	s_cbranch_execz .LBB204_19
; %bb.28:
	v_add_u32_e32 v0, v0, v1
	v_mov_b32_e32 v1, 0
	v_lshl_add_u64 v[0:1], v[0:1], 1, s[16:17]
	global_store_short v[0:1], v3, off
	s_endpgm
	.section	.rodata,"a",@progbits
	.p2align	6, 0x0
	.amdhsa_kernel _ZL8moe_q5_1IN3c104HalfELb1EEvPKvS3_PT_PKiS7_S7_iiiiiii
		.amdhsa_group_segment_fixed_size 38656
		.amdhsa_private_segment_fixed_size 0
		.amdhsa_kernarg_size 76
		.amdhsa_user_sgpr_count 2
		.amdhsa_user_sgpr_dispatch_ptr 0
		.amdhsa_user_sgpr_queue_ptr 0
		.amdhsa_user_sgpr_kernarg_segment_ptr 1
		.amdhsa_user_sgpr_dispatch_id 0
		.amdhsa_user_sgpr_kernarg_preload_length 0
		.amdhsa_user_sgpr_kernarg_preload_offset 0
		.amdhsa_user_sgpr_private_segment_size 0
		.amdhsa_uses_dynamic_stack 0
		.amdhsa_enable_private_segment 0
		.amdhsa_system_sgpr_workgroup_id_x 1
		.amdhsa_system_sgpr_workgroup_id_y 1
		.amdhsa_system_sgpr_workgroup_id_z 0
		.amdhsa_system_sgpr_workgroup_info 0
		.amdhsa_system_vgpr_workitem_id 1
		.amdhsa_next_free_vgpr 178
		.amdhsa_next_free_sgpr 27
		.amdhsa_accum_offset 180
		.amdhsa_reserve_vcc 1
		.amdhsa_float_round_mode_32 0
		.amdhsa_float_round_mode_16_64 0
		.amdhsa_float_denorm_mode_32 3
		.amdhsa_float_denorm_mode_16_64 3
		.amdhsa_dx10_clamp 1
		.amdhsa_ieee_mode 1
		.amdhsa_fp16_overflow 0
		.amdhsa_tg_split 0
		.amdhsa_exception_fp_ieee_invalid_op 0
		.amdhsa_exception_fp_denorm_src 0
		.amdhsa_exception_fp_ieee_div_zero 0
		.amdhsa_exception_fp_ieee_overflow 0
		.amdhsa_exception_fp_ieee_underflow 0
		.amdhsa_exception_fp_ieee_inexact 0
		.amdhsa_exception_int_div_zero 0
	.end_amdhsa_kernel
	.section	.text._ZL8moe_q5_1IN3c104HalfELb1EEvPKvS3_PT_PKiS7_S7_iiiiiii,"axG",@progbits,_ZL8moe_q5_1IN3c104HalfELb1EEvPKvS3_PT_PKiS7_S7_iiiiiii,comdat
.Lfunc_end204:
	.size	_ZL8moe_q5_1IN3c104HalfELb1EEvPKvS3_PT_PKiS7_S7_iiiiiii, .Lfunc_end204-_ZL8moe_q5_1IN3c104HalfELb1EEvPKvS3_PT_PKiS7_S7_iiiiiii
                                        ; -- End function
	.section	.AMDGPU.csdata,"",@progbits
; Kernel info:
; codeLenInByte = 10892
; NumSgprs: 33
; NumVgprs: 178
; NumAgprs: 0
; TotalNumVgprs: 178
; ScratchSize: 0
; MemoryBound: 0
; FloatMode: 240
; IeeeMode: 1
; LDSByteSize: 38656 bytes/workgroup (compile time only)
; SGPRBlocks: 4
; VGPRBlocks: 22
; NumSGPRsForWavesPerEU: 33
; NumVGPRsForWavesPerEU: 178
; AccumOffset: 180
; Occupancy: 1
; WaveLimiterHint : 1
; COMPUTE_PGM_RSRC2:SCRATCH_EN: 0
; COMPUTE_PGM_RSRC2:USER_SGPR: 2
; COMPUTE_PGM_RSRC2:TRAP_HANDLER: 0
; COMPUTE_PGM_RSRC2:TGID_X_EN: 1
; COMPUTE_PGM_RSRC2:TGID_Y_EN: 1
; COMPUTE_PGM_RSRC2:TGID_Z_EN: 0
; COMPUTE_PGM_RSRC2:TIDIG_COMP_CNT: 1
; COMPUTE_PGM_RSRC3_GFX90A:ACCUM_OFFSET: 44
; COMPUTE_PGM_RSRC3_GFX90A:TG_SPLIT: 0
	.section	.text._ZL8moe_q8_0IN3c104HalfELb0EEvPKvS3_PT_PKiS7_S7_iiiiiii,"axG",@progbits,_ZL8moe_q8_0IN3c104HalfELb0EEvPKvS3_PT_PKiS7_S7_iiiiiii,comdat
	.globl	_ZL8moe_q8_0IN3c104HalfELb0EEvPKvS3_PT_PKiS7_S7_iiiiiii ; -- Begin function _ZL8moe_q8_0IN3c104HalfELb0EEvPKvS3_PT_PKiS7_S7_iiiiiii
	.p2align	8
	.type	_ZL8moe_q8_0IN3c104HalfELb0EEvPKvS3_PT_PKiS7_S7_iiiiiii,@function
_ZL8moe_q8_0IN3c104HalfELb0EEvPKvS3_PT_PKiS7_S7_iiiiiii: ; @_ZL8moe_q8_0IN3c104HalfELb0EEvPKvS3_PT_PKiS7_S7_iiiiiii
; %bb.0:
	s_load_dwordx4 s[4:7], s[0:1], 0x18
	s_mov_b32 s8, s3
	s_mov_b32 s9, 0
	s_lshl_b64 s[10:11], s[8:9], 2
	s_waitcnt lgkmcnt(0)
	s_add_u32 s6, s6, s10
	s_addc_u32 s7, s7, s11
	s_load_dword s3, s[6:7], 0x0
	s_waitcnt lgkmcnt(0)
	s_cmpk_gt_u32 s3, 0xff
	s_cbranch_scc1 .LBB205_12
; %bb.1:
	s_load_dwordx2 s[6:7], s[0:1], 0x28
	s_waitcnt lgkmcnt(0)
	s_load_dword s7, s[6:7], 0x0
	s_lshl_b32 s6, s8, 3
	s_waitcnt lgkmcnt(0)
	s_cmp_gt_u32 s6, s7
	s_cbranch_scc1 .LBB205_12
; %bb.2:
	v_bfe_u32 v4, v0, 10, 10
	v_mov_b32_e32 v6, s4
	v_mov_b32_e32 v7, s5
	v_add_u32_e32 v2, s6, v4
	v_mov_b32_e32 v3, 0
	v_lshl_add_u64 v[6:7], v[2:3], 2, v[6:7]
	global_load_dword v1, v[6:7], off
	s_load_dwordx2 s[14:15], s[0:1], 0x30
	s_load_dwordx2 s[12:13], s[0:1], 0x10
	s_load_dwordx4 s[4:7], s[0:1], 0x3c
	s_lshl_b32 s20, s2, 7
	s_mov_b32 s16, 0
	s_waitcnt lgkmcnt(0)
	s_cmp_lt_i32 s15, 32
	s_cbranch_scc1 .LBB205_11
; %bb.3:
	s_load_dwordx4 s[8:11], s[0:1], 0x0
	s_ashr_i32 s0, s15, 31
	s_lshr_b32 s0, s0, 27
	s_add_i32 s0, s15, s0
	s_ashr_i32 s21, s0, 5
	s_ashr_i32 s0, s5, 31
	s_lshr_b32 s0, s0, 27
	s_add_i32 s0, s5, s0
	v_and_b32_e32 v66, 0x3ff, v0
	s_ashr_i32 s5, s0, 5
	v_lshlrev_b32_e32 v5, 2, v66
	s_movk_i32 s0, 0x84
	v_mul_lo_u32 v6, s21, v4
	v_mad_u32_u24 v68, v4, s0, v5
	s_lshl_b32 s0, s21, 3
	v_add_u32_e32 v8, s0, v6
	v_add_u32_e32 v9, s0, v8
	;; [unrolled: 1-line block ×11, first 2 shown]
	v_and_b32_e32 v2, 28, v5
	v_add_u32_e32 v19, s0, v18
	v_lshlrev_b32_e32 v5, 3, v4
	v_lshrrev_b32_e32 v7, 2, v66
	v_add_u32_e32 v20, s0, v19
	v_add_u32_e32 v22, v7, v5
	v_add_u16_e32 v5, v7, v5
	v_add_u32_e32 v21, s0, v20
	v_and_b32_e32 v58, 3, v66
	v_lshrrev_b16_e32 v5, 1, v5
	v_add_u32_e32 v54, s0, v21
	v_and_b32_e32 v5, 0x1ffc, v5
	v_lshlrev_b32_e32 v7, 2, v58
	s_movk_i32 s0, 0x4200
	v_add3_u32 v62, v5, v7, s0
	v_add_u32_e32 v5, 64, v22
	v_mul_lo_u32 v56, s21, v22
	v_lshlrev_b32_e32 v63, 4, v22
	v_lshrrev_b32_e32 v22, 1, v5
	v_lshlrev_b32_e32 v65, 4, v5
	v_and_b32_e32 v5, 31, v66
	v_lshlrev_b32_e32 v84, 7, v4
	v_and_b32_e32 v22, 0x3ffc, v22
	v_lshl_or_b32 v5, v5, 2, v84
	v_lshrrev_b32_e32 v67, 3, v66
	v_add3_u32 v64, v22, v7, s0
	v_add_u32_e32 v85, 0x4a40, v5
	v_lshl_add_u32 v5, v4, 2, v66
	v_mov_b32_e32 v7, 0x4e40
	v_lshl_add_u32 v86, v5, 2, v7
	v_lshlrev_b32_e32 v87, 4, v4
	v_lshlrev_b32_e32 v4, 2, v67
	;; [unrolled: 1-line block ×3, first 2 shown]
	v_add3_u32 v89, v5, v4, s0
	v_add_u32_e32 v4, 32, v66
	v_lshrrev_b32_e32 v5, 1, v4
	v_and_b32_e32 v5, 0xfc, v5
	v_lshlrev_b32_e32 v4, 4, v4
	v_add3_u32 v90, v4, v5, s0
	v_add_u32_e32 v4, 64, v66
	v_lshrrev_b32_e32 v5, 1, v4
	s_mul_i32 s18, s3, s14
	v_and_b32_e32 v5, 0xfc, v5
	v_lshlrev_b32_e32 v4, 4, v4
	s_abs_i32 s3, s7
	v_add3_u32 v91, v4, v5, s0
	v_cvt_f32_u32_e32 v5, s3
	v_add_u32_e32 v4, 0x60, v66
	v_lshrrev_b32_e32 v7, 1, v4
	v_and_b32_e32 v7, 0xfc, v7
	v_rcp_iflag_f32_e32 v5, v5
	v_lshlrev_b32_e32 v4, 4, v4
	v_add3_u32 v92, v4, v7, s0
	s_sub_i32 s0, 0, s3
	v_mul_f32_e32 v5, 0x4f7ffffe, v5
	v_cvt_u32_f32_e32 v5, v5
	s_waitcnt vmcnt(0)
	v_sub_u32_e32 v7, 0, v1
	v_max_i32_e32 v7, v1, v7
	v_xor_b32_e32 v4, s7, v1
	v_mul_lo_u32 v24, s0, v5
	v_mul_hi_u32 v24, v5, v24
	v_add_u32_e32 v5, v5, v24
	v_mul_hi_u32 v5, v7, v5
	v_mul_lo_u32 v24, v5, s3
	v_sub_u32_e32 v7, v7, v24
	v_add_u32_e32 v24, 1, v5
	v_cmp_le_u32_e64 s[0:1], s3, v7
	v_ashrrev_i32_e32 v4, 31, v4
	s_mul_i32 s2, s21, s20
	v_cndmask_b32_e64 v5, v5, v24, s[0:1]
	v_subrev_u32_e32 v24, s3, v7
	v_cndmask_b32_e64 v7, v7, v24, s[0:1]
	v_add_u32_e32 v24, 1, v5
	v_cmp_le_u32_e64 s[0:1], s3, v7
	s_mul_hi_i32 s3, s2, 34
	s_mul_i32 s14, s2, 34
	v_cndmask_b32_e64 v5, v5, v24, s[0:1]
	v_xor_b32_e32 v5, v5, v4
	v_sub_u32_e32 v4, v5, v4
	v_cmp_gt_i32_e64 s[0:1], s4, v4
	v_mul_lo_u32 v93, v4, s5
	v_mov_b32_e32 v4, s14
	v_mov_b32_e32 v5, s3
	v_mad_u64_u32 v[4:5], s[22:23], v67, 34, v[4:5]
	v_mad_u64_u32 v[6:7], s[22:23], v6, 34, v[4:5]
	v_lshl_add_u64 v[6:7], v[6:7], 0, v[2:3]
	s_waitcnt lgkmcnt(0)
	v_lshl_add_u64 v[6:7], v[6:7], 0, s[8:9]
	v_lshl_add_u64 v[24:25], v[6:7], 0, 2
	v_mad_u64_u32 v[6:7], s[22:23], v8, 34, v[4:5]
	v_lshl_add_u64 v[6:7], v[6:7], 0, v[2:3]
	v_lshl_add_u64 v[6:7], v[6:7], 0, s[8:9]
	v_lshl_add_u64 v[26:27], v[6:7], 0, 2
	v_mad_u64_u32 v[6:7], s[22:23], v9, 34, v[4:5]
	v_lshl_add_u64 v[6:7], v[6:7], 0, v[2:3]
	;; [unrolled: 4-line block ×13, first 2 shown]
	v_lshl_add_u64 v[6:7], v[6:7], 0, s[8:9]
	v_lshl_add_u64 v[50:51], v[6:7], 0, 2
	v_mad_u64_u32 v[6:7], s[22:23], v21, 34, v[4:5]
	v_mad_u64_u32 v[4:5], s[22:23], v54, 34, v[4:5]
	v_lshl_add_u64 v[22:23], s[10:11], 0, v[2:3]
	v_lshl_add_u64 v[6:7], v[6:7], 0, v[2:3]
	;; [unrolled: 1-line block ×5, first 2 shown]
	v_mad_u64_u32 v[2:3], s[22:23], v56, 34, 0
	v_mad_i64_i32 v[2:3], s[22:23], s2, 34, v[2:3]
	v_lshl_add_u32 v59, s21, 6, v56
	v_mad_u64_u32 v[2:3], s[22:23], v58, 34, v[2:3]
	v_lshl_add_u64 v[56:57], s[8:9], 0, v[2:3]
	v_mad_u64_u32 v[2:3], s[22:23], v59, 34, 0
	v_mad_i64_i32 v[2:3], s[2:3], s2, 34, v[2:3]
	v_mul_u32_u24_e32 v88, 0x84, v66
	v_lshl_add_u64 v[6:7], v[6:7], 0, s[8:9]
	v_mad_u64_u32 v[2:3], s[2:3], v58, 34, v[2:3]
	s_mov_b32 s17, s16
	s_ashr_i32 s19, s18, 31
	v_add_u32_e32 v69, 0x420, v68
	v_add_u32_e32 v70, 0x840, v68
	;; [unrolled: 1-line block ×15, first 2 shown]
	v_cmp_gt_u32_e32 vcc, 4, v66
	v_lshl_add_u64 v[52:53], v[6:7], 0, 2
	v_lshl_add_u64 v[58:59], s[8:9], 0, v[2:3]
	v_mov_b64_e32 v[60:61], s[16:17]
	v_add_u32_e32 v94, v62, v63
	v_add_u32_e32 v95, v64, v65
	;; [unrolled: 1-line block ×20, first 2 shown]
	s_mov_b64 s[8:9], 0x88
	v_add_u32_e32 v114, 0x2130, v88
	v_add_u32_e32 v115, 0x2138, v88
	;; [unrolled: 1-line block ×6, first 2 shown]
	s_mov_b32 s14, 0
	v_mov_b64_e32 v[62:63], s[16:17]
	s_branch .LBB205_6
.LBB205_4:                              ;   in Loop: Header=BB205_6 Depth=1
	s_or_b64 exec, exec, s[2:3]
	s_waitcnt lgkmcnt(0)
	s_barrier
	ds_read_b128 v[2:5], v87 offset:20032
	ds_read2_b32 v[64:65], v88 offset1:1
	ds_read_b128 v[18:21], v84 offset:19008
	ds_read_b128 v[14:17], v84 offset:19024
	;; [unrolled: 1-line block ×4, first 2 shown]
	ds_read2_b32 v[122:123], v88 offset0:2 offset1:3
	v_mov_b32_e32 v120, 0
	s_waitcnt lgkmcnt(4)
	v_dot4c_i32_i8_e32 v120, v64, v18
	v_dot4c_i32_i8_e32 v120, v65, v19
	ds_read2_b32 v[64:65], v88 offset0:4 offset1:5
	ds_read2_b32 v[124:125], v88 offset0:6 offset1:7
	ds_read2_b32 v[126:127], v88 offset0:8 offset1:9
	s_waitcnt lgkmcnt(3)
	v_dot4c_i32_i8_e32 v120, v122, v20
	v_dot4c_i32_i8_e32 v120, v123, v21
	s_waitcnt lgkmcnt(2)
	v_dot4c_i32_i8_e32 v120, v64, v14
	v_dot4c_i32_i8_e32 v120, v65, v15
	ds_read2_b32 v[122:123], v96 offset1:1
	s_waitcnt lgkmcnt(2)
	v_dot4c_i32_i8_e32 v120, v124, v16
	v_dot4c_i32_i8_e32 v120, v125, v17
	ds_read2_b32 v[124:125], v97 offset1:1
	v_mov_b32_e32 v121, 0
	ds_read2_b32 v[64:65], v92 offset0:2 offset1:3
	s_waitcnt lgkmcnt(2)
	v_dot4c_i32_i8_e32 v121, v122, v18
	v_dot4c_i32_i8_e32 v121, v123, v19
	ds_read2_b32 v[122:123], v98 offset1:1
	ds_read2_b32 v[128:129], v99 offset1:1
	;; [unrolled: 1-line block ×3, first 2 shown]
	s_waitcnt lgkmcnt(4)
	v_dot4c_i32_i8_e32 v121, v124, v20
	v_dot4c_i32_i8_e32 v121, v125, v21
	s_waitcnt lgkmcnt(2)
	v_dot4c_i32_i8_e32 v121, v122, v14
	v_dot4c_i32_i8_e32 v121, v123, v15
	ds_read2_b32 v[122:123], v101 offset1:1
	v_mov_b32_e32 v136, 0
	s_waitcnt lgkmcnt(2)
	v_dot4c_i32_i8_e32 v121, v128, v16
	s_waitcnt lgkmcnt(1)
	v_dot4c_i32_i8_e32 v136, v130, v18
	v_dot4c_i32_i8_e32 v121, v129, v17
	;; [unrolled: 1-line block ×3, first 2 shown]
	ds_read2_b32 v[124:125], v102 offset1:1
	ds_read2_b32 v[128:129], v103 offset1:1
	;; [unrolled: 1-line block ×3, first 2 shown]
	s_waitcnt lgkmcnt(3)
	v_dot4c_i32_i8_e32 v136, v122, v20
	v_dot4c_i32_i8_e32 v136, v123, v21
	ds_read2_b32 v[122:123], v105 offset1:1
	s_waitcnt lgkmcnt(3)
	v_dot4c_i32_i8_e32 v136, v124, v14
	v_dot4c_i32_i8_e32 v136, v125, v15
	v_mov_b32_e32 v137, 0
	s_waitcnt lgkmcnt(2)
	v_dot4c_i32_i8_e32 v136, v128, v16
	s_waitcnt lgkmcnt(1)
	v_dot4c_i32_i8_e32 v137, v130, v18
	v_dot4c_i32_i8_e32 v136, v129, v17
	;; [unrolled: 1-line block ×3, first 2 shown]
	ds_read2_b32 v[18:19], v106 offset1:1
	ds_read2_b32 v[124:125], v107 offset1:1
	;; [unrolled: 1-line block ×3, first 2 shown]
	s_waitcnt lgkmcnt(3)
	v_dot4c_i32_i8_e32 v137, v122, v20
	v_dot4c_i32_i8_e32 v137, v123, v21
	s_waitcnt lgkmcnt(2)
	v_dot4c_i32_i8_e32 v137, v18, v14
	v_dot4c_i32_i8_e32 v137, v19, v15
	ds_read2_b32 v[14:15], v88 offset0:10 offset1:11
	v_mov_b32_e32 v138, 0
	s_waitcnt lgkmcnt(2)
	v_dot4c_i32_i8_e32 v137, v124, v16
	v_dot4c_i32_i8_e32 v138, v126, v10
	;; [unrolled: 1-line block ×4, first 2 shown]
	ds_read2_b32 v[16:17], v88 offset0:12 offset1:13
	ds_read2_b32 v[18:19], v88 offset0:14 offset1:15
	;; [unrolled: 1-line block ×3, first 2 shown]
	s_waitcnt lgkmcnt(3)
	v_dot4c_i32_i8_e32 v138, v14, v12
	v_dot4c_i32_i8_e32 v138, v15, v13
	ds_read2_b32 v[14:15], v109 offset1:1
	s_waitcnt lgkmcnt(3)
	v_dot4c_i32_i8_e32 v138, v16, v6
	v_dot4c_i32_i8_e32 v138, v17, v7
	v_mov_b32_e32 v139, 0
	s_waitcnt lgkmcnt(2)
	v_dot4c_i32_i8_e32 v138, v18, v8
	v_dot4c_i32_i8_e32 v139, v128, v10
	;; [unrolled: 1-line block ×4, first 2 shown]
	ds_read2_b32 v[16:17], v110 offset1:1
	ds_read2_b32 v[18:19], v111 offset1:1
	;; [unrolled: 1-line block ×3, first 2 shown]
	s_waitcnt lgkmcnt(3)
	v_dot4c_i32_i8_e32 v139, v14, v12
	v_dot4c_i32_i8_e32 v139, v15, v13
	s_waitcnt lgkmcnt(2)
	v_dot4c_i32_i8_e32 v139, v16, v6
	v_dot4c_i32_i8_e32 v139, v17, v7
	v_mov_b32_e32 v140, 0
	s_waitcnt lgkmcnt(1)
	v_dot4c_i32_i8_e32 v139, v18, v8
	s_waitcnt lgkmcnt(0)
	v_dot4c_i32_i8_e32 v140, v122, v10
	v_dot4c_i32_i8_e32 v139, v19, v9
	ds_read2_b32 v[14:15], v113 offset1:1
	v_dot4c_i32_i8_e32 v140, v123, v11
	ds_read2_b32 v[16:17], v114 offset1:1
	ds_read2_b32 v[18:19], v115 offset1:1
	ds_read2_b32 v[122:123], v116 offset1:1
	v_mov_b32_e32 v141, 0
	v_mov_b32_e32 v142, 0
	s_waitcnt lgkmcnt(3)
	v_dot4c_i32_i8_e32 v140, v14, v12
	v_dot4c_i32_i8_e32 v140, v15, v13
	s_waitcnt lgkmcnt(0)
	v_dot4c_i32_i8_e32 v141, v122, v10
	v_dot4c_i32_i8_e32 v141, v123, v11
	ds_read2_b32 v[10:11], v117 offset1:1
	v_dot4c_i32_i8_e32 v140, v16, v6
	v_dot4c_i32_i8_e32 v140, v17, v7
	;; [unrolled: 1-line block ×3, first 2 shown]
	v_add_u32_e32 v18, 0x10c0, v88
	v_dot4c_i32_i8_e32 v140, v19, v9
	ds_read2_b32 v[14:15], v118 offset1:1
	ds_read2_b32 v[16:17], v119 offset1:1
	;; [unrolled: 1-line block ×3, first 2 shown]
	s_waitcnt lgkmcnt(3)
	v_dot4c_i32_i8_e32 v141, v10, v12
	v_dot4c_i32_i8_e32 v141, v11, v13
	s_waitcnt lgkmcnt(2)
	v_dot4c_i32_i8_e32 v141, v14, v6
	v_dot4c_i32_i8_e32 v141, v15, v7
	;; [unrolled: 3-line block ×3, first 2 shown]
	ds_read_b128 v[8:11], v84 offset:19072
	ds_read_b128 v[12:15], v84 offset:19088
	ds_read2_b32 v[6:7], v91 offset1:1
	ds_read2_b32 v[16:17], v90 offset0:2 offset1:3
	ds_read2_b32 v[122:123], v90 offset1:1
	ds_read2_b32 v[124:125], v89 offset0:2 offset1:3
	ds_read2_b32 v[126:127], v88 offset0:18 offset1:19
	s_waitcnt lgkmcnt(6)
	v_dot4c_i32_i8_e32 v142, v20, v8
	v_dot4c_i32_i8_e32 v142, v21, v9
	ds_read2_b32 v[20:21], v88 offset0:20 offset1:21
	ds_read2_b32 v[128:129], v88 offset0:22 offset1:23
	;; [unrolled: 1-line block ×3, first 2 shown]
	v_mov_b32_e32 v143, 0
	s_waitcnt lgkmcnt(3)
	v_dot4c_i32_i8_e32 v142, v126, v10
	v_dot4c_i32_i8_e32 v143, v18, v8
	v_add_u32_e32 v18, 0x10c8, v88
	v_dot4c_i32_i8_e32 v142, v127, v11
	v_dot4c_i32_i8_e32 v143, v19, v9
	ds_read2_b32 v[18:19], v18 offset1:1
	s_waitcnt lgkmcnt(3)
	v_dot4c_i32_i8_e32 v142, v20, v12
	v_dot4c_i32_i8_e32 v142, v21, v13
	s_waitcnt lgkmcnt(2)
	v_dot4c_i32_i8_e32 v142, v128, v14
	v_add_u32_e32 v20, 0x10d0, v88
	v_add_u32_e32 v126, 0x10d8, v88
	;; [unrolled: 1-line block ×3, first 2 shown]
	v_dot4c_i32_i8_e32 v142, v129, v15
	ds_read2_b32 v[20:21], v20 offset1:1
	ds_read2_b32 v[126:127], v126 offset1:1
	;; [unrolled: 1-line block ×3, first 2 shown]
	s_waitcnt lgkmcnt(3)
	v_dot4c_i32_i8_e32 v143, v18, v10
	v_dot4c_i32_i8_e32 v143, v19, v11
	s_waitcnt lgkmcnt(2)
	v_dot4c_i32_i8_e32 v143, v20, v12
	v_dot4c_i32_i8_e32 v143, v21, v13
	v_mov_b32_e32 v144, 0
	s_waitcnt lgkmcnt(1)
	v_dot4c_i32_i8_e32 v143, v126, v14
	s_waitcnt lgkmcnt(0)
	v_dot4c_i32_i8_e32 v144, v128, v8
	v_add_u32_e32 v126, 0x2148, v88
	v_add_u32_e32 v128, 0x2150, v88
	;; [unrolled: 1-line block ×4, first 2 shown]
	v_dot4c_i32_i8_e32 v143, v127, v15
	ds_read2_b32 v[18:19], v92 offset1:1
	ds_read2_b32 v[20:21], v91 offset0:2 offset1:3
	v_dot4c_i32_i8_e32 v144, v129, v9
	ds_read2_b32 v[126:127], v126 offset1:1
	ds_read2_b32 v[128:129], v128 offset1:1
	;; [unrolled: 1-line block ×4, first 2 shown]
	v_mov_b32_e32 v145, 0
	v_mov_b32_e32 v146, 0
	;; [unrolled: 1-line block ×3, first 2 shown]
	s_waitcnt lgkmcnt(3)
	v_dot4c_i32_i8_e32 v144, v126, v10
	s_waitcnt lgkmcnt(0)
	v_dot4c_i32_i8_e32 v145, v134, v8
	v_add_u32_e32 v8, 0x31c8, v88
	v_dot4c_i32_i8_e32 v144, v127, v11
	v_dot4c_i32_i8_e32 v145, v135, v9
	ds_read2_b32 v[8:9], v8 offset1:1
	v_dot4c_i32_i8_e32 v144, v128, v12
	v_dot4c_i32_i8_e32 v144, v129, v13
	;; [unrolled: 1-line block ×3, first 2 shown]
	v_add_u32_e32 v126, 0x31d0, v88
	v_add_u32_e32 v128, 0x31d8, v88
	v_add_u32_e32 v132, 0x10e0, v88
	v_dot4c_i32_i8_e32 v144, v133, v15
	ds_read2_b32 v[126:127], v126 offset1:1
	ds_read2_b32 v[128:129], v128 offset1:1
	;; [unrolled: 1-line block ×3, first 2 shown]
	s_waitcnt lgkmcnt(3)
	v_dot4c_i32_i8_e32 v145, v8, v10
	v_dot4c_i32_i8_e32 v145, v9, v11
	ds_read_b128 v[8:11], v84 offset:19104
	s_waitcnt lgkmcnt(3)
	v_dot4c_i32_i8_e32 v145, v126, v12
	v_dot4c_i32_i8_e32 v145, v127, v13
	ds_read2_b32 v[126:127], v88 offset0:26 offset1:27
	s_waitcnt lgkmcnt(3)
	v_dot4c_i32_i8_e32 v145, v128, v14
	v_dot4c_i32_i8_e32 v145, v129, v15
	ds_read_b128 v[12:15], v84 offset:19120
	s_waitcnt lgkmcnt(2)
	v_dot4c_i32_i8_e32 v146, v130, v8
	v_dot4c_i32_i8_e32 v146, v131, v9
	ds_read2_b32 v[128:129], v88 offset0:28 offset1:29
	ds_read2_b32 v[130:131], v89 offset1:1
	ds_read2_b32 v[134:135], v88 offset0:30 offset1:31
	s_waitcnt lgkmcnt(4)
	v_dot4c_i32_i8_e32 v146, v126, v10
	v_add_u32_e32 v126, 0x10e8, v88
	v_dot4c_i32_i8_e32 v146, v127, v11
	ds_read2_b32 v[126:127], v126 offset1:1
	s_waitcnt lgkmcnt(3)
	v_dot4c_i32_i8_e32 v146, v128, v12
	v_dot4c_i32_i8_e32 v146, v129, v13
	s_waitcnt lgkmcnt(1)
	v_dot4c_i32_i8_e32 v146, v134, v14
	v_dot4c_i32_i8_e32 v147, v132, v8
	v_add_u32_e32 v128, 0x10f0, v88
	v_add_u32_e32 v132, 0x10f8, v88
	;; [unrolled: 1-line block ×3, first 2 shown]
	v_dot4c_i32_i8_e32 v146, v135, v15
	v_dot4c_i32_i8_e32 v147, v133, v9
	ds_read2_b32 v[128:129], v128 offset1:1
	ds_read2_b32 v[132:133], v132 offset1:1
	;; [unrolled: 1-line block ×3, first 2 shown]
	s_waitcnt lgkmcnt(3)
	v_dot4c_i32_i8_e32 v147, v126, v10
	v_dot4c_i32_i8_e32 v147, v127, v11
	s_waitcnt lgkmcnt(2)
	v_dot4c_i32_i8_e32 v147, v128, v12
	v_cvt_f32_i32_e32 v121, v121
	v_cvt_f32_i32_e32 v120, v120
	v_dot4c_i32_i8_e32 v147, v129, v13
	v_cvt_f32_i32_e32 v129, v139
	v_cvt_f32_i32_e32 v128, v138
	v_mov_b32_e32 v126, v130
	v_mov_b32_e32 v127, v122
	v_pk_mul_f32 v[126:127], v[2:3], v[126:127] op_sel_hi:[0,1]
	v_mov_b32_e32 v122, v131
	v_pk_fma_f32 v[60:61], v[126:127], v[120:121], v[60:61]
	v_pk_mul_f32 v[120:121], v[2:3], v[122:123] op_sel:[1,0]
	s_waitcnt lgkmcnt(1)
	v_dot4c_i32_i8_e32 v147, v132, v14
	v_pk_fma_f32 v[60:61], v[120:121], v[128:129], v[60:61]
	v_cvt_f32_i32_e32 v121, v143
	v_cvt_f32_i32_e32 v120, v142
	v_mov_b32_e32 v122, v124
	v_mov_b32_e32 v123, v16
	v_dot4c_i32_i8_e32 v147, v133, v15
	v_pk_mul_f32 v[122:123], v[4:5], v[122:123] op_sel_hi:[0,1]
	v_pk_fma_f32 v[60:61], v[122:123], v[120:121], v[60:61]
	v_cvt_f32_i32_e32 v120, v146
	v_cvt_f32_i32_e32 v121, v147
	v_mov_b32_e32 v122, v5
	v_mov_b32_e32 v16, v125
	v_pk_mul_f32 v[16:17], v[122:123], v[16:17] op_sel_hi:[0,1]
	v_add_u32_e32 v5, 0x2168, v88
	v_pk_fma_f32 v[60:61], v[16:17], v[120:121], v[60:61]
	ds_read2_b32 v[16:17], v5 offset1:1
	v_mov_b32_e32 v123, 0
	s_waitcnt lgkmcnt(1)
	v_dot4c_i32_i8_e32 v123, v134, v8
	v_add_u32_e32 v120, 0x2170, v88
	v_add_u32_e32 v124, 0x2178, v88
	v_dot4c_i32_i8_e32 v123, v135, v9
	v_add_u32_e32 v5, 0x31e0, v88
	ds_read2_b32 v[120:121], v120 offset1:1
	ds_read2_b32 v[124:125], v124 offset1:1
	;; [unrolled: 1-line block ×3, first 2 shown]
	s_waitcnt lgkmcnt(3)
	v_dot4c_i32_i8_e32 v123, v16, v10
	v_dot4c_i32_i8_e32 v123, v17, v11
	s_waitcnt lgkmcnt(2)
	v_dot4c_i32_i8_e32 v123, v120, v12
	v_dot4c_i32_i8_e32 v123, v121, v13
	s_waitcnt lgkmcnt(1)
	v_dot4c_i32_i8_e32 v123, v124, v14
	v_mov_b32_e32 v124, 0
	s_waitcnt lgkmcnt(0)
	v_dot4c_i32_i8_e32 v124, v126, v8
	v_add_u32_e32 v5, 0x31e8, v88
	v_dot4c_i32_i8_e32 v124, v127, v9
	ds_read2_b32 v[8:9], v5 offset1:1
	v_add_u32_e32 v5, 0x31f0, v88
	ds_read2_b32 v[16:17], v5 offset1:1
	v_add_u32_e32 v5, 0x31f8, v88
	ds_read2_b32 v[120:121], v5 offset1:1
	s_waitcnt lgkmcnt(2)
	v_dot4c_i32_i8_e32 v124, v8, v10
	v_dot4c_i32_i8_e32 v124, v9, v11
	s_waitcnt lgkmcnt(1)
	v_dot4c_i32_i8_e32 v124, v16, v12
	v_cvt_f32_i32_e32 v11, v137
	v_cvt_f32_i32_e32 v10, v136
	v_dot4c_i32_i8_e32 v124, v17, v13
	v_cvt_f32_i32_e32 v13, v141
	v_cvt_f32_i32_e32 v12, v140
	v_mov_b32_e32 v8, v6
	v_mov_b32_e32 v9, v18
	v_pk_mul_f32 v[8:9], v[2:3], v[8:9] op_sel_hi:[0,1]
	v_mov_b32_e32 v18, v7
	s_waitcnt lgkmcnt(0)
	v_dot4c_i32_i8_e32 v124, v120, v14
	v_pk_fma_f32 v[8:9], v[8:9], v[10:11], v[62:63]
	v_pk_mul_f32 v[2:3], v[2:3], v[18:19] op_sel:[1,0]
	v_dot4c_i32_i8_e32 v123, v125, v15
	v_dot4c_i32_i8_e32 v124, v121, v15
	v_pk_fma_f32 v[2:3], v[2:3], v[12:13], v[8:9]
	v_mov_b32_e32 v6, v20
	v_mov_b32_e32 v7, v64
	v_cvt_f32_i32_e32 v9, v145
	v_cvt_f32_i32_e32 v8, v144
	v_pk_mul_f32 v[4:5], v[4:5], v[6:7] op_sel_hi:[0,1]
	v_cvt_f32_i32_e32 v7, v124
	v_cvt_f32_i32_e32 v6, v123
	v_mov_b32_e32 v64, v21
	v_pk_fma_f32 v[2:3], v[4:5], v[8:9], v[2:3]
	v_pk_mul_f32 v[4:5], v[122:123], v[64:65] op_sel_hi:[0,1]
	v_pk_fma_f32 v[62:63], v[4:5], v[6:7], v[2:3]
	s_barrier
.LBB205_5:                              ;   in Loop: Header=BB205_6 Depth=1
	s_add_i32 s14, s14, 4
	s_addk_i32 s16, 0x80
	v_add_u32_e32 v66, 4, v66
	v_add_u32_e32 v67, 4, v67
	v_lshl_add_u64 v[24:25], v[24:25], 0, s[8:9]
	v_lshl_add_u64 v[26:27], v[26:27], 0, s[8:9]
	;; [unrolled: 1-line block ×17, first 2 shown]
	s_cmp_ge_i32 s14, s21
	v_lshl_add_u64 v[58:59], v[58:59], 0, s[8:9]
	s_cbranch_scc1 .LBB205_13
.LBB205_6:                              ; =>This Inner Loop Header: Depth=1
	v_lshl_add_u64 v[2:3], v[24:25], 0, s[18:19]
	global_load_dword v4, v[2:3], off
	v_lshl_add_u64 v[2:3], v[26:27], 0, s[18:19]
	global_load_dword v5, v[2:3], off
	;; [unrolled: 2-line block ×15, first 2 shown]
	v_lshl_add_u64 v[2:3], v[56:57], 0, s[18:19]
	global_load_ushort v19, v[2:3], off
	v_lshl_add_u64 v[2:3], v[58:59], 0, s[18:19]
	global_load_ushort v20, v[2:3], off
	v_lshl_add_u64 v[2:3], v[54:55], 0, s[18:19]
	global_load_dword v2, v[2:3], off
	s_cmp_lt_i32 s16, s15
	s_waitcnt vmcnt(17)
	ds_write_b32 v68, v4
	s_waitcnt vmcnt(16)
	ds_write_b32 v69, v5
	;; [unrolled: 2-line block ×14, first 2 shown]
	s_waitcnt vmcnt(2)
	v_cvt_f32_f16_e32 v3, v19
	s_waitcnt vmcnt(1)
	v_cvt_f32_f16_e32 v4, v20
	ds_write_b32 v82, v18
	s_waitcnt vmcnt(0)
	ds_write_b32 v83, v2
	ds_write_b32 v94, v3
	;; [unrolled: 1-line block ×3, first 2 shown]
	s_cbranch_scc0 .LBB205_5
; %bb.7:                                ;   in Loop: Header=BB205_6 Depth=1
	v_cmp_gt_i32_e64 s[2:3], s5, v67
	s_and_b64 s[22:23], s[0:1], s[2:3]
	s_and_saveexec_b64 s[2:3], s[22:23]
	s_cbranch_execz .LBB205_9
; %bb.8:                                ;   in Loop: Header=BB205_6 Depth=1
	v_add_u32_e32 v2, v93, v67
	v_mad_i64_i32 v[2:3], s[22:23], v2, 36, v[22:23]
	global_load_dword v2, v[2:3], off offset:4
	s_waitcnt vmcnt(0)
	ds_write_b32 v85, v2
.LBB205_9:                              ;   in Loop: Header=BB205_6 Depth=1
	s_or_b64 exec, exec, s[2:3]
	v_cmp_gt_i32_e64 s[2:3], s5, v66
	s_and_b64 s[2:3], s[0:1], s[2:3]
	s_and_b64 s[22:23], vcc, s[2:3]
	s_and_saveexec_b64 s[2:3], s[22:23]
	s_cbranch_execz .LBB205_4
; %bb.10:                               ;   in Loop: Header=BB205_6 Depth=1
	v_add_u32_e32 v2, v93, v66
	v_mad_i64_i32 v[2:3], s[22:23], v2, 36, s[10:11]
	global_load_dword v2, v[2:3], off
	s_waitcnt vmcnt(0)
	v_cvt_f32_f16_e32 v2, v2
	ds_write_b32 v86, v2
	s_branch .LBB205_4
.LBB205_11:
	v_mov_b32_e32 v2, 0
	s_mul_i32 s0, s7, s4
	s_waitcnt vmcnt(0)
	v_cmp_gt_i32_e32 vcc, s0, v1
	s_and_saveexec_b64 s[0:1], vcc
	s_cbranch_execnz .LBB205_14
.LBB205_12:
	s_endpgm
.LBB205_13:
	v_cvt_f16_f32_e32 v2, v61
	v_cvt_f16_f32_e32 v3, v60
	;; [unrolled: 1-line block ×4, first 2 shown]
	v_pack_b32_f16 v2, v3, v2
	v_pack_b32_f16 v3, v5, v4
	s_mul_i32 s0, s7, s4
	v_cmp_gt_i32_e32 vcc, s0, v1
	s_and_saveexec_b64 s[0:1], vcc
	s_cbranch_execz .LBB205_12
.LBB205_14:
	v_and_b32_e32 v0, 0x3ff, v0
	v_add_u32_e32 v4, s20, v0
	v_mul_lo_u32 v0, v1, s6
	v_cmp_gt_u32_e32 vcc, s6, v4
	s_and_saveexec_b64 s[0:1], vcc
	s_cbranch_execz .LBB205_16
; %bb.15:
	v_add_u32_e32 v6, v0, v4
	v_mov_b32_e32 v7, 0
	v_lshl_add_u64 v[6:7], v[6:7], 1, s[12:13]
	global_store_short v[6:7], v2, off
.LBB205_16:
	s_or_b64 exec, exec, s[0:1]
	v_add_u32_e32 v1, 32, v4
	v_cmp_gt_u32_e32 vcc, s6, v1
	s_and_saveexec_b64 s[0:1], vcc
	s_cbranch_execz .LBB205_18
; %bb.17:
	v_add_u32_e32 v6, v0, v1
	v_mov_b32_e32 v7, 0
	v_lshl_add_u64 v[6:7], v[6:7], 1, s[12:13]
	global_store_short_d16_hi v[6:7], v2, off
.LBB205_18:
	s_or_b64 exec, exec, s[0:1]
	v_add_u32_e32 v1, 64, v4
	v_cmp_gt_u32_e32 vcc, s6, v1
	s_and_saveexec_b64 s[0:1], vcc
	s_cbranch_execz .LBB205_20
; %bb.19:
	v_add_u32_e32 v6, v0, v1
	v_mov_b32_e32 v7, 0
	v_lshl_add_u64 v[6:7], v[6:7], 1, s[12:13]
	global_store_short v[6:7], v3, off
.LBB205_20:
	s_or_b64 exec, exec, s[0:1]
	v_add_u32_e32 v1, 0x60, v4
	v_cmp_gt_u32_e32 vcc, s6, v1
	s_and_b64 exec, exec, vcc
	s_cbranch_execz .LBB205_12
; %bb.21:
	v_add_u32_e32 v0, v0, v1
	v_mov_b32_e32 v1, 0
	v_lshl_add_u64 v[0:1], v[0:1], 1, s[12:13]
	global_store_short_d16_hi v[0:1], v3, off
	s_endpgm
	.section	.rodata,"a",@progbits
	.p2align	6, 0x0
	.amdhsa_kernel _ZL8moe_q8_0IN3c104HalfELb0EEvPKvS3_PT_PKiS7_S7_iiiiiii
		.amdhsa_group_segment_fixed_size 20160
		.amdhsa_private_segment_fixed_size 0
		.amdhsa_kernarg_size 76
		.amdhsa_user_sgpr_count 2
		.amdhsa_user_sgpr_dispatch_ptr 0
		.amdhsa_user_sgpr_queue_ptr 0
		.amdhsa_user_sgpr_kernarg_segment_ptr 1
		.amdhsa_user_sgpr_dispatch_id 0
		.amdhsa_user_sgpr_kernarg_preload_length 0
		.amdhsa_user_sgpr_kernarg_preload_offset 0
		.amdhsa_user_sgpr_private_segment_size 0
		.amdhsa_uses_dynamic_stack 0
		.amdhsa_enable_private_segment 0
		.amdhsa_system_sgpr_workgroup_id_x 1
		.amdhsa_system_sgpr_workgroup_id_y 1
		.amdhsa_system_sgpr_workgroup_id_z 0
		.amdhsa_system_sgpr_workgroup_info 0
		.amdhsa_system_vgpr_workitem_id 1
		.amdhsa_next_free_vgpr 148
		.amdhsa_next_free_sgpr 24
		.amdhsa_accum_offset 148
		.amdhsa_reserve_vcc 1
		.amdhsa_float_round_mode_32 0
		.amdhsa_float_round_mode_16_64 0
		.amdhsa_float_denorm_mode_32 3
		.amdhsa_float_denorm_mode_16_64 3
		.amdhsa_dx10_clamp 1
		.amdhsa_ieee_mode 1
		.amdhsa_fp16_overflow 0
		.amdhsa_tg_split 0
		.amdhsa_exception_fp_ieee_invalid_op 0
		.amdhsa_exception_fp_denorm_src 0
		.amdhsa_exception_fp_ieee_div_zero 0
		.amdhsa_exception_fp_ieee_overflow 0
		.amdhsa_exception_fp_ieee_underflow 0
		.amdhsa_exception_fp_ieee_inexact 0
		.amdhsa_exception_int_div_zero 0
	.end_amdhsa_kernel
	.section	.text._ZL8moe_q8_0IN3c104HalfELb0EEvPKvS3_PT_PKiS7_S7_iiiiiii,"axG",@progbits,_ZL8moe_q8_0IN3c104HalfELb0EEvPKvS3_PT_PKiS7_S7_iiiiiii,comdat
.Lfunc_end205:
	.size	_ZL8moe_q8_0IN3c104HalfELb0EEvPKvS3_PT_PKiS7_S7_iiiiiii, .Lfunc_end205-_ZL8moe_q8_0IN3c104HalfELb0EEvPKvS3_PT_PKiS7_S7_iiiiiii
                                        ; -- End function
	.section	.AMDGPU.csdata,"",@progbits
; Kernel info:
; codeLenInByte = 4692
; NumSgprs: 30
; NumVgprs: 148
; NumAgprs: 0
; TotalNumVgprs: 148
; ScratchSize: 0
; MemoryBound: 0
; FloatMode: 240
; IeeeMode: 1
; LDSByteSize: 20160 bytes/workgroup (compile time only)
; SGPRBlocks: 3
; VGPRBlocks: 18
; NumSGPRsForWavesPerEU: 30
; NumVGPRsForWavesPerEU: 148
; AccumOffset: 148
; Occupancy: 3
; WaveLimiterHint : 1
; COMPUTE_PGM_RSRC2:SCRATCH_EN: 0
; COMPUTE_PGM_RSRC2:USER_SGPR: 2
; COMPUTE_PGM_RSRC2:TRAP_HANDLER: 0
; COMPUTE_PGM_RSRC2:TGID_X_EN: 1
; COMPUTE_PGM_RSRC2:TGID_Y_EN: 1
; COMPUTE_PGM_RSRC2:TGID_Z_EN: 0
; COMPUTE_PGM_RSRC2:TIDIG_COMP_CNT: 1
; COMPUTE_PGM_RSRC3_GFX90A:ACCUM_OFFSET: 36
; COMPUTE_PGM_RSRC3_GFX90A:TG_SPLIT: 0
	.section	.text._ZL8moe_q8_0IN3c104HalfELb1EEvPKvS3_PT_PKiS7_S7_iiiiiii,"axG",@progbits,_ZL8moe_q8_0IN3c104HalfELb1EEvPKvS3_PT_PKiS7_S7_iiiiiii,comdat
	.globl	_ZL8moe_q8_0IN3c104HalfELb1EEvPKvS3_PT_PKiS7_S7_iiiiiii ; -- Begin function _ZL8moe_q8_0IN3c104HalfELb1EEvPKvS3_PT_PKiS7_S7_iiiiiii
	.p2align	8
	.type	_ZL8moe_q8_0IN3c104HalfELb1EEvPKvS3_PT_PKiS7_S7_iiiiiii,@function
_ZL8moe_q8_0IN3c104HalfELb1EEvPKvS3_PT_PKiS7_S7_iiiiiii: ; @_ZL8moe_q8_0IN3c104HalfELb1EEvPKvS3_PT_PKiS7_S7_iiiiiii
; %bb.0:
	s_load_dwordx4 s[4:7], s[0:1], 0x18
	s_mov_b32 s8, s3
	s_mov_b32 s9, 0
	s_lshl_b64 s[10:11], s[8:9], 2
	s_waitcnt lgkmcnt(0)
	s_add_u32 s6, s6, s10
	s_addc_u32 s7, s7, s11
	s_load_dword s3, s[6:7], 0x0
	s_waitcnt lgkmcnt(0)
	s_cmpk_gt_u32 s3, 0xff
	s_cbranch_scc1 .LBB206_12
; %bb.1:
	s_load_dwordx2 s[6:7], s[0:1], 0x28
	s_waitcnt lgkmcnt(0)
	s_load_dword s7, s[6:7], 0x0
	s_lshl_b32 s6, s8, 3
	s_waitcnt lgkmcnt(0)
	s_cmp_gt_u32 s6, s7
	s_cbranch_scc1 .LBB206_12
; %bb.2:
	v_bfe_u32 v4, v0, 10, 10
	v_mov_b32_e32 v6, s4
	v_mov_b32_e32 v7, s5
	v_add_u32_e32 v2, s6, v4
	v_mov_b32_e32 v3, 0
	v_lshl_add_u64 v[6:7], v[2:3], 2, v[6:7]
	global_load_dword v1, v[6:7], off
	s_load_dwordx8 s[4:11], s[0:1], 0x30
	s_load_dwordx2 s[16:17], s[0:1], 0x10
	s_waitcnt lgkmcnt(0)
	s_lshl_b32 s11, s2, 7
	s_mov_b32 s18, 0
	s_cmp_lt_i32 s5, 32
	s_cbranch_scc1 .LBB206_11
; %bb.3:
	s_load_dwordx4 s[12:15], s[0:1], 0x0
	s_ashr_i32 s0, s5, 31
	s_lshr_b32 s0, s0, 27
	s_add_i32 s0, s5, s0
	s_ashr_i32 s22, s0, 5
	s_ashr_i32 s0, s8, 31
	s_lshr_b32 s0, s0, 27
	s_add_i32 s0, s8, s0
	s_ashr_i32 s8, s0, 5
	s_not_b32 s0, s11
	s_mul_i32 s20, s3, s4
	s_add_i32 s3, s0, s6
	v_and_b32_e32 v98, 0x3ff, v0
	v_min_i32_e32 v5, s3, v4
	v_lshlrev_b32_e32 v6, 2, v98
	v_mul_lo_u32 v7, v5, s22
	s_movk_i32 s4, 0x84
	v_mad_u64_u32 v[22:23], s[0:1], v5, s4, v[6:7]
	v_add_u32_e32 v5, 8, v4
	v_min_i32_e32 v5, s3, v5
	v_mul_lo_u32 v8, v5, s22
	v_mad_u64_u32 v[24:25], s[0:1], v5, s4, v[6:7]
	v_add_u32_e32 v5, 16, v4
	v_min_i32_e32 v5, s3, v5
	v_mul_lo_u32 v9, v5, s22
	;; [unrolled: 4-line block ×15, first 2 shown]
	v_mad_u64_u32 v[52:53], s[0:1], v5, s4, v[6:7]
	v_lshrrev_b32_e32 v5, 2, v98
	v_lshl_add_u32 v5, v4, 3, v5
	v_and_b32_e32 v2, 28, v6
	v_min_i32_e32 v6, s3, v5
	v_ashrrev_i32_e32 v23, 31, v6
	v_add_u32_e32 v5, 64, v5
	v_lshrrev_b32_e32 v23, 29, v23
	v_min_i32_e32 v5, s3, v5
	v_mul_lo_u32 v47, v6, s22
	v_add_u32_e32 v23, v6, v23
	v_lshlrev_b32_e32 v51, 4, v6
	v_ashrrev_i32_e32 v6, 31, v5
	v_and_b32_e32 v45, 3, v98
	v_ashrrev_i32_e32 v23, 3, v23
	v_lshrrev_b32_e32 v6, 29, v6
	v_lshlrev_b32_e32 v23, 2, v23
	v_lshlrev_b32_e32 v25, 2, v45
	s_movk_i32 s0, 0x4200
	v_add_u32_e32 v6, v5, v6
	v_add3_u32 v49, v23, v25, s0
	v_mul_lo_u32 v53, v5, s22
	v_ashrrev_i32_e32 v6, 3, v6
	v_lshlrev_b32_e32 v95, 4, v5
	v_and_b32_e32 v5, 31, v98
	v_lshlrev_b32_e32 v23, 7, v4
	v_lshlrev_b32_e32 v6, 2, v6
	v_lshl_or_b32 v5, v5, 2, v23
	v_lshrrev_b32_e32 v99, 3, v98
	v_add3_u32 v94, v6, v25, s0
	v_add_u32_e32 v25, 0x4a40, v5
	v_lshl_add_u32 v5, v4, 2, v98
	v_mov_b32_e32 v6, 0x4e40
	v_lshl_add_u32 v27, v5, 2, v6
	v_lshlrev_b32_e32 v29, 4, v4
	v_lshlrev_b32_e32 v4, 2, v99
	;; [unrolled: 1-line block ×3, first 2 shown]
	v_add3_u32 v33, v5, v4, s0
	v_add_u32_e32 v4, 32, v98
	v_lshrrev_b32_e32 v5, 1, v4
	v_and_b32_e32 v5, 0xfc, v5
	v_lshlrev_b32_e32 v4, 4, v4
	v_add3_u32 v35, v4, v5, s0
	v_add_u32_e32 v4, 64, v98
	v_lshrrev_b32_e32 v5, 1, v4
	v_and_b32_e32 v5, 0xfc, v5
	v_lshlrev_b32_e32 v4, 4, v4
	s_abs_i32 s3, s10
	v_add3_u32 v37, v4, v5, s0
	v_cvt_f32_u32_e32 v5, s3
	v_add_u32_e32 v4, 0x60, v98
	v_lshrrev_b32_e32 v6, 1, v4
	v_and_b32_e32 v6, 0xfc, v6
	v_rcp_iflag_f32_e32 v5, v5
	v_lshlrev_b32_e32 v4, 4, v4
	v_add3_u32 v39, v4, v6, s0
	s_sub_i32 s0, 0, s3
	v_mul_f32_e32 v5, 0x4f7ffffe, v5
	v_cvt_u32_f32_e32 v5, v5
	s_waitcnt vmcnt(0)
	v_sub_u32_e32 v6, 0, v1
	v_max_i32_e32 v6, v1, v6
	v_xor_b32_e32 v4, s10, v1
	v_mul_lo_u32 v41, s0, v5
	v_mul_hi_u32 v41, v5, v41
	v_add_u32_e32 v5, v5, v41
	v_mul_hi_u32 v5, v6, v5
	v_mul_lo_u32 v41, v5, s3
	v_sub_u32_e32 v6, v6, v41
	v_add_u32_e32 v41, 1, v5
	v_cmp_le_u32_e64 s[0:1], s3, v6
	v_ashrrev_i32_e32 v4, 31, v4
	s_mul_i32 s2, s22, s11
	v_cndmask_b32_e64 v5, v5, v41, s[0:1]
	v_subrev_u32_e32 v41, s3, v6
	v_cndmask_b32_e64 v6, v6, v41, s[0:1]
	v_add_u32_e32 v41, 1, v5
	v_cmp_le_u32_e64 s[0:1], s3, v6
	s_mul_hi_i32 s3, s2, 34
	s_mul_i32 s4, s2, 34
	v_cndmask_b32_e64 v5, v5, v41, s[0:1]
	v_xor_b32_e32 v5, v5, v4
	v_sub_u32_e32 v4, v5, v4
	v_cmp_gt_i32_e64 s[0:1], s7, v4
	v_mul_lo_u32 v41, v4, s8
	v_mov_b32_e32 v4, s4
	v_mov_b32_e32 v5, s3
	v_mad_u64_u32 v[4:5], s[24:25], v99, 34, v[4:5]
	v_mad_i64_i32 v[6:7], s[24:25], v7, 34, v[4:5]
	v_lshl_add_u64 v[6:7], v[6:7], 0, v[2:3]
	s_waitcnt lgkmcnt(0)
	v_lshl_add_u64 v[6:7], v[6:7], 0, s[12:13]
	v_lshl_add_u64 v[56:57], v[6:7], 0, 2
	v_mad_i64_i32 v[6:7], s[24:25], v8, 34, v[4:5]
	v_lshl_add_u64 v[6:7], v[6:7], 0, v[2:3]
	v_lshl_add_u64 v[6:7], v[6:7], 0, s[12:13]
	v_lshl_add_u64 v[58:59], v[6:7], 0, 2
	v_mad_i64_i32 v[6:7], s[24:25], v9, 34, v[4:5]
	v_lshl_add_u64 v[6:7], v[6:7], 0, v[2:3]
	;; [unrolled: 4-line block ×13, first 2 shown]
	v_lshl_add_u64 v[6:7], v[6:7], 0, s[12:13]
	v_lshl_add_u64 v[82:83], v[6:7], 0, 2
	v_mad_i64_i32 v[6:7], s[24:25], v21, 34, v[4:5]
	v_mad_i64_i32 v[4:5], s[24:25], v43, 34, v[4:5]
	v_lshl_add_u64 v[54:55], s[14:15], 0, v[2:3]
	v_lshl_add_u64 v[6:7], v[6:7], 0, v[2:3]
	;; [unrolled: 1-line block ×5, first 2 shown]
	v_mad_i64_i32 v[2:3], s[24:25], v47, 34, 0
	v_mad_i64_i32 v[2:3], s[24:25], s2, 34, v[2:3]
	v_mad_u64_u32 v[2:3], s[24:25], v45, 34, v[2:3]
	v_lshl_add_u64 v[88:89], s[12:13], 0, v[2:3]
	v_mad_i64_i32 v[2:3], s[24:25], v53, 34, 0
	v_mad_i64_i32 v[2:3], s[2:3], s2, 34, v[2:3]
	v_mul_u32_u24_e32 v31, 0x84, v98
	v_lshl_add_u64 v[6:7], v[6:7], 0, s[12:13]
	v_mad_u64_u32 v[2:3], s[2:3], v45, 34, v[2:3]
	s_mov_b32 s19, s18
	s_ashr_i32 s21, s20, 31
	v_cmp_gt_u32_e32 vcc, 4, v98
	v_lshl_add_u64 v[84:85], v[6:7], 0, 2
	v_lshl_add_u64 v[90:91], s[12:13], 0, v[2:3]
	v_mov_b64_e32 v[92:93], s[18:19]
	v_add_u32_e32 v43, v49, v51
	v_add_u32_e32 v45, v94, v95
	;; [unrolled: 1-line block ×19, first 2 shown]
	s_mov_b64 s[12:13], 0x88
	v_add_u32_e32 v113, 0x2128, v31
	v_add_u32_e32 v114, 0x2130, v31
	;; [unrolled: 1-line block ×6, first 2 shown]
	s_mov_b32 s4, 0
	v_mov_b64_e32 v[94:95], s[18:19]
	s_branch .LBB206_6
.LBB206_4:                              ;   in Loop: Header=BB206_6 Depth=1
	s_or_b64 exec, exec, s[2:3]
	s_waitcnt lgkmcnt(0)
	s_barrier
	ds_read_b128 v[2:5], v29 offset:20032
	ds_read2_b32 v[96:97], v31 offset1:1
	ds_read_b128 v[18:21], v23 offset:19008
	ds_read_b128 v[14:17], v23 offset:19024
	;; [unrolled: 1-line block ×4, first 2 shown]
	ds_read2_b32 v[120:121], v31 offset0:2 offset1:3
	v_mov_b32_e32 v119, 0
	s_waitcnt lgkmcnt(4)
	v_dot4c_i32_i8_e32 v119, v96, v18
	v_dot4c_i32_i8_e32 v119, v97, v19
	ds_read2_b32 v[96:97], v31 offset0:4 offset1:5
	ds_read2_b32 v[122:123], v31 offset0:6 offset1:7
	;; [unrolled: 1-line block ×3, first 2 shown]
	s_waitcnt lgkmcnt(3)
	v_dot4c_i32_i8_e32 v119, v120, v20
	v_dot4c_i32_i8_e32 v119, v121, v21
	s_waitcnt lgkmcnt(2)
	v_dot4c_i32_i8_e32 v119, v96, v14
	v_dot4c_i32_i8_e32 v119, v97, v15
	ds_read2_b32 v[120:121], v47 offset1:1
	s_waitcnt lgkmcnt(2)
	v_dot4c_i32_i8_e32 v119, v122, v16
	v_dot4c_i32_i8_e32 v119, v123, v17
	ds_read2_b32 v[122:123], v49 offset1:1
	v_mov_b32_e32 v134, 0
	ds_read2_b32 v[96:97], v39 offset0:2 offset1:3
	s_waitcnt lgkmcnt(2)
	v_dot4c_i32_i8_e32 v134, v120, v18
	v_dot4c_i32_i8_e32 v134, v121, v19
	ds_read2_b32 v[120:121], v51 offset1:1
	ds_read2_b32 v[126:127], v53 offset1:1
	;; [unrolled: 1-line block ×3, first 2 shown]
	s_waitcnt lgkmcnt(4)
	v_dot4c_i32_i8_e32 v134, v122, v20
	v_dot4c_i32_i8_e32 v134, v123, v21
	s_waitcnt lgkmcnt(2)
	v_dot4c_i32_i8_e32 v134, v120, v14
	v_dot4c_i32_i8_e32 v134, v121, v15
	ds_read2_b32 v[120:121], v101 offset1:1
	v_mov_b32_e32 v135, 0
	s_waitcnt lgkmcnt(2)
	v_dot4c_i32_i8_e32 v134, v126, v16
	s_waitcnt lgkmcnt(1)
	v_dot4c_i32_i8_e32 v135, v128, v18
	v_dot4c_i32_i8_e32 v134, v127, v17
	;; [unrolled: 1-line block ×3, first 2 shown]
	ds_read2_b32 v[122:123], v102 offset1:1
	ds_read2_b32 v[126:127], v103 offset1:1
	;; [unrolled: 1-line block ×3, first 2 shown]
	s_waitcnt lgkmcnt(3)
	v_dot4c_i32_i8_e32 v135, v120, v20
	v_dot4c_i32_i8_e32 v135, v121, v21
	ds_read2_b32 v[120:121], v105 offset1:1
	s_waitcnt lgkmcnt(3)
	v_dot4c_i32_i8_e32 v135, v122, v14
	v_dot4c_i32_i8_e32 v135, v123, v15
	v_mov_b32_e32 v136, 0
	s_waitcnt lgkmcnt(2)
	v_dot4c_i32_i8_e32 v135, v126, v16
	s_waitcnt lgkmcnt(1)
	v_dot4c_i32_i8_e32 v136, v128, v18
	v_dot4c_i32_i8_e32 v135, v127, v17
	;; [unrolled: 1-line block ×3, first 2 shown]
	ds_read2_b32 v[18:19], v106 offset1:1
	ds_read2_b32 v[122:123], v107 offset1:1
	;; [unrolled: 1-line block ×3, first 2 shown]
	s_waitcnt lgkmcnt(3)
	v_dot4c_i32_i8_e32 v136, v120, v20
	v_dot4c_i32_i8_e32 v136, v121, v21
	s_waitcnt lgkmcnt(2)
	v_dot4c_i32_i8_e32 v136, v18, v14
	v_dot4c_i32_i8_e32 v136, v19, v15
	ds_read2_b32 v[14:15], v31 offset0:10 offset1:11
	v_mov_b32_e32 v137, 0
	s_waitcnt lgkmcnt(2)
	v_dot4c_i32_i8_e32 v136, v122, v16
	v_dot4c_i32_i8_e32 v137, v124, v10
	;; [unrolled: 1-line block ×4, first 2 shown]
	ds_read2_b32 v[16:17], v31 offset0:12 offset1:13
	ds_read2_b32 v[18:19], v31 offset0:14 offset1:15
	;; [unrolled: 1-line block ×3, first 2 shown]
	s_waitcnt lgkmcnt(3)
	v_dot4c_i32_i8_e32 v137, v14, v12
	v_dot4c_i32_i8_e32 v137, v15, v13
	ds_read2_b32 v[14:15], v109 offset1:1
	s_waitcnt lgkmcnt(3)
	v_dot4c_i32_i8_e32 v137, v16, v6
	v_dot4c_i32_i8_e32 v137, v17, v7
	v_mov_b32_e32 v138, 0
	s_waitcnt lgkmcnt(2)
	v_dot4c_i32_i8_e32 v137, v18, v8
	v_dot4c_i32_i8_e32 v138, v126, v10
	;; [unrolled: 1-line block ×4, first 2 shown]
	ds_read2_b32 v[16:17], v110 offset1:1
	ds_read2_b32 v[18:19], v111 offset1:1
	;; [unrolled: 1-line block ×3, first 2 shown]
	s_waitcnt lgkmcnt(3)
	v_dot4c_i32_i8_e32 v138, v14, v12
	v_dot4c_i32_i8_e32 v138, v15, v13
	s_waitcnt lgkmcnt(2)
	v_dot4c_i32_i8_e32 v138, v16, v6
	v_dot4c_i32_i8_e32 v138, v17, v7
	v_mov_b32_e32 v139, 0
	s_waitcnt lgkmcnt(1)
	v_dot4c_i32_i8_e32 v138, v18, v8
	s_waitcnt lgkmcnt(0)
	v_dot4c_i32_i8_e32 v139, v120, v10
	v_dot4c_i32_i8_e32 v138, v19, v9
	ds_read2_b32 v[14:15], v113 offset1:1
	v_dot4c_i32_i8_e32 v139, v121, v11
	ds_read2_b32 v[16:17], v114 offset1:1
	ds_read2_b32 v[18:19], v115 offset1:1
	;; [unrolled: 1-line block ×3, first 2 shown]
	v_mov_b32_e32 v140, 0
	v_mov_b32_e32 v141, 0
	s_waitcnt lgkmcnt(3)
	v_dot4c_i32_i8_e32 v139, v14, v12
	v_dot4c_i32_i8_e32 v139, v15, v13
	s_waitcnt lgkmcnt(0)
	v_dot4c_i32_i8_e32 v140, v120, v10
	v_dot4c_i32_i8_e32 v140, v121, v11
	ds_read2_b32 v[10:11], v117 offset1:1
	v_dot4c_i32_i8_e32 v139, v16, v6
	v_dot4c_i32_i8_e32 v139, v17, v7
	;; [unrolled: 1-line block ×3, first 2 shown]
	v_add_u32_e32 v16, 0x31b8, v31
	v_add_u32_e32 v18, 0x10c0, v31
	v_dot4c_i32_i8_e32 v139, v19, v9
	ds_read2_b32 v[14:15], v118 offset1:1
	ds_read2_b32 v[16:17], v16 offset1:1
	;; [unrolled: 1-line block ×3, first 2 shown]
	s_waitcnt lgkmcnt(3)
	v_dot4c_i32_i8_e32 v140, v10, v12
	v_dot4c_i32_i8_e32 v140, v11, v13
	s_waitcnt lgkmcnt(2)
	v_dot4c_i32_i8_e32 v140, v14, v6
	v_dot4c_i32_i8_e32 v140, v15, v7
	;; [unrolled: 3-line block ×3, first 2 shown]
	ds_read_b128 v[8:11], v23 offset:19072
	ds_read_b128 v[12:15], v23 offset:19088
	ds_read2_b32 v[6:7], v37 offset1:1
	ds_read2_b32 v[16:17], v35 offset0:2 offset1:3
	ds_read2_b32 v[120:121], v35 offset1:1
	ds_read2_b32 v[122:123], v33 offset0:2 offset1:3
	ds_read2_b32 v[124:125], v31 offset0:18 offset1:19
	s_waitcnt lgkmcnt(6)
	v_dot4c_i32_i8_e32 v141, v20, v8
	v_dot4c_i32_i8_e32 v141, v21, v9
	ds_read2_b32 v[20:21], v31 offset0:20 offset1:21
	ds_read2_b32 v[126:127], v31 offset0:22 offset1:23
	;; [unrolled: 1-line block ×3, first 2 shown]
	v_mov_b32_e32 v142, 0
	s_waitcnt lgkmcnt(3)
	v_dot4c_i32_i8_e32 v141, v124, v10
	v_dot4c_i32_i8_e32 v142, v18, v8
	v_add_u32_e32 v18, 0x10c8, v31
	v_dot4c_i32_i8_e32 v141, v125, v11
	v_dot4c_i32_i8_e32 v142, v19, v9
	ds_read2_b32 v[18:19], v18 offset1:1
	s_waitcnt lgkmcnt(3)
	v_dot4c_i32_i8_e32 v141, v20, v12
	v_dot4c_i32_i8_e32 v141, v21, v13
	s_waitcnt lgkmcnt(2)
	v_dot4c_i32_i8_e32 v141, v126, v14
	v_add_u32_e32 v20, 0x10d0, v31
	v_add_u32_e32 v124, 0x10d8, v31
	;; [unrolled: 1-line block ×3, first 2 shown]
	v_dot4c_i32_i8_e32 v141, v127, v15
	ds_read2_b32 v[20:21], v20 offset1:1
	ds_read2_b32 v[124:125], v124 offset1:1
	;; [unrolled: 1-line block ×3, first 2 shown]
	s_waitcnt lgkmcnt(3)
	v_dot4c_i32_i8_e32 v142, v18, v10
	v_dot4c_i32_i8_e32 v142, v19, v11
	s_waitcnt lgkmcnt(2)
	v_dot4c_i32_i8_e32 v142, v20, v12
	v_dot4c_i32_i8_e32 v142, v21, v13
	v_mov_b32_e32 v143, 0
	s_waitcnt lgkmcnt(1)
	v_dot4c_i32_i8_e32 v142, v124, v14
	s_waitcnt lgkmcnt(0)
	v_dot4c_i32_i8_e32 v143, v126, v8
	v_add_u32_e32 v124, 0x2148, v31
	v_add_u32_e32 v126, 0x2150, v31
	;; [unrolled: 1-line block ×4, first 2 shown]
	v_dot4c_i32_i8_e32 v142, v125, v15
	ds_read2_b32 v[18:19], v39 offset1:1
	ds_read2_b32 v[20:21], v37 offset0:2 offset1:3
	v_dot4c_i32_i8_e32 v143, v127, v9
	ds_read2_b32 v[124:125], v124 offset1:1
	ds_read2_b32 v[126:127], v126 offset1:1
	;; [unrolled: 1-line block ×4, first 2 shown]
	v_mov_b32_e32 v144, 0
	v_mov_b32_e32 v145, 0
	v_mov_b32_e32 v146, 0
	s_waitcnt lgkmcnt(3)
	v_dot4c_i32_i8_e32 v143, v124, v10
	s_waitcnt lgkmcnt(0)
	v_dot4c_i32_i8_e32 v144, v132, v8
	v_add_u32_e32 v8, 0x31c8, v31
	v_dot4c_i32_i8_e32 v143, v125, v11
	v_dot4c_i32_i8_e32 v144, v133, v9
	ds_read2_b32 v[8:9], v8 offset1:1
	v_dot4c_i32_i8_e32 v143, v126, v12
	v_dot4c_i32_i8_e32 v143, v127, v13
	;; [unrolled: 1-line block ×3, first 2 shown]
	v_add_u32_e32 v124, 0x31d0, v31
	v_add_u32_e32 v126, 0x31d8, v31
	;; [unrolled: 1-line block ×3, first 2 shown]
	v_dot4c_i32_i8_e32 v143, v131, v15
	ds_read2_b32 v[124:125], v124 offset1:1
	ds_read2_b32 v[126:127], v126 offset1:1
	;; [unrolled: 1-line block ×3, first 2 shown]
	s_waitcnt lgkmcnt(3)
	v_dot4c_i32_i8_e32 v144, v8, v10
	v_dot4c_i32_i8_e32 v144, v9, v11
	ds_read_b128 v[8:11], v23 offset:19104
	s_waitcnt lgkmcnt(3)
	v_dot4c_i32_i8_e32 v144, v124, v12
	v_dot4c_i32_i8_e32 v144, v125, v13
	ds_read2_b32 v[124:125], v31 offset0:26 offset1:27
	s_waitcnt lgkmcnt(3)
	v_dot4c_i32_i8_e32 v144, v126, v14
	v_dot4c_i32_i8_e32 v144, v127, v15
	ds_read_b128 v[12:15], v23 offset:19120
	s_waitcnt lgkmcnt(2)
	v_dot4c_i32_i8_e32 v145, v128, v8
	v_dot4c_i32_i8_e32 v145, v129, v9
	ds_read2_b32 v[126:127], v31 offset0:28 offset1:29
	ds_read2_b32 v[128:129], v33 offset1:1
	ds_read2_b32 v[132:133], v31 offset0:30 offset1:31
	s_waitcnt lgkmcnt(4)
	v_dot4c_i32_i8_e32 v145, v124, v10
	v_add_u32_e32 v124, 0x10e8, v31
	v_dot4c_i32_i8_e32 v145, v125, v11
	ds_read2_b32 v[124:125], v124 offset1:1
	s_waitcnt lgkmcnt(3)
	v_dot4c_i32_i8_e32 v145, v126, v12
	v_dot4c_i32_i8_e32 v145, v127, v13
	s_waitcnt lgkmcnt(1)
	v_dot4c_i32_i8_e32 v145, v132, v14
	v_dot4c_i32_i8_e32 v146, v130, v8
	v_add_u32_e32 v126, 0x10f0, v31
	v_add_u32_e32 v130, 0x10f8, v31
	;; [unrolled: 1-line block ×3, first 2 shown]
	v_dot4c_i32_i8_e32 v145, v133, v15
	v_dot4c_i32_i8_e32 v146, v131, v9
	ds_read2_b32 v[126:127], v126 offset1:1
	ds_read2_b32 v[130:131], v130 offset1:1
	;; [unrolled: 1-line block ×3, first 2 shown]
	s_waitcnt lgkmcnt(3)
	v_dot4c_i32_i8_e32 v146, v124, v10
	v_dot4c_i32_i8_e32 v146, v125, v11
	s_waitcnt lgkmcnt(2)
	v_dot4c_i32_i8_e32 v146, v126, v12
	v_dot4c_i32_i8_e32 v146, v127, v13
	s_waitcnt lgkmcnt(1)
	v_dot4c_i32_i8_e32 v146, v130, v14
	v_cvt_f32_i32_e32 v127, v134
	v_cvt_f32_i32_e32 v126, v119
	v_dot4c_i32_i8_e32 v146, v131, v15
	v_cvt_f32_i32_e32 v131, v138
	v_cvt_f32_i32_e32 v130, v137
	v_mov_b32_e32 v124, v128
	v_mov_b32_e32 v125, v120
	v_pk_mul_f32 v[124:125], v[2:3], v[124:125] op_sel_hi:[0,1]
	v_mov_b32_e32 v120, v129
	v_pk_fma_f32 v[92:93], v[124:125], v[126:127], v[92:93]
	v_pk_mul_f32 v[120:121], v[2:3], v[120:121] op_sel:[1,0]
	v_mov_b32_e32 v124, v122
	v_pk_fma_f32 v[92:93], v[120:121], v[130:131], v[92:93]
	v_cvt_f32_i32_e32 v121, v142
	v_cvt_f32_i32_e32 v120, v141
	v_mov_b32_e32 v125, v16
	v_pk_mul_f32 v[124:125], v[4:5], v[124:125] op_sel_hi:[0,1]
	v_mov_b32_e32 v122, v5
	v_pk_fma_f32 v[92:93], v[124:125], v[120:121], v[92:93]
	v_cvt_f32_i32_e32 v121, v146
	v_cvt_f32_i32_e32 v120, v145
	v_mov_b32_e32 v16, v123
	v_pk_mul_f32 v[16:17], v[122:123], v[16:17] op_sel_hi:[0,1]
	v_add_u32_e32 v5, 0x2168, v31
	v_pk_fma_f32 v[92:93], v[16:17], v[120:121], v[92:93]
	v_add_u32_e32 v120, 0x2170, v31
	v_add_u32_e32 v123, 0x2178, v31
	ds_read2_b32 v[16:17], v5 offset1:1
	v_add_u32_e32 v5, 0x31e0, v31
	ds_read2_b32 v[120:121], v120 offset1:1
	ds_read2_b32 v[124:125], v123 offset1:1
	;; [unrolled: 1-line block ×3, first 2 shown]
	v_mov_b32_e32 v119, 0
	v_mov_b32_e32 v123, 0
	s_waitcnt lgkmcnt(4)
	v_dot4c_i32_i8_e32 v119, v132, v8
	v_add_u32_e32 v5, 0x31e8, v31
	s_waitcnt lgkmcnt(0)
	v_dot4c_i32_i8_e32 v123, v126, v8
	v_dot4c_i32_i8_e32 v119, v133, v9
	;; [unrolled: 1-line block ×3, first 2 shown]
	ds_read2_b32 v[8:9], v5 offset1:1
	v_dot4c_i32_i8_e32 v119, v16, v10
	v_add_u32_e32 v5, 0x31f0, v31
	v_dot4c_i32_i8_e32 v119, v17, v11
	ds_read2_b32 v[16:17], v5 offset1:1
	v_dot4c_i32_i8_e32 v119, v120, v12
	v_add_u32_e32 v5, 0x31f8, v31
	s_waitcnt lgkmcnt(1)
	v_dot4c_i32_i8_e32 v123, v8, v10
	v_dot4c_i32_i8_e32 v119, v121, v13
	ds_read2_b32 v[120:121], v5 offset1:1
	v_dot4c_i32_i8_e32 v123, v9, v11
	s_waitcnt lgkmcnt(1)
	v_dot4c_i32_i8_e32 v123, v16, v12
	v_cvt_f32_i32_e32 v11, v136
	v_cvt_f32_i32_e32 v10, v135
	v_dot4c_i32_i8_e32 v123, v17, v13
	v_cvt_f32_i32_e32 v13, v140
	v_cvt_f32_i32_e32 v12, v139
	v_mov_b32_e32 v8, v6
	v_mov_b32_e32 v9, v18
	v_pk_mul_f32 v[8:9], v[2:3], v[8:9] op_sel_hi:[0,1]
	v_mov_b32_e32 v18, v7
	v_dot4c_i32_i8_e32 v119, v124, v14
	s_waitcnt lgkmcnt(0)
	v_dot4c_i32_i8_e32 v123, v120, v14
	v_pk_fma_f32 v[8:9], v[8:9], v[10:11], v[94:95]
	v_pk_mul_f32 v[2:3], v[2:3], v[18:19] op_sel:[1,0]
	v_dot4c_i32_i8_e32 v119, v125, v15
	v_dot4c_i32_i8_e32 v123, v121, v15
	v_pk_fma_f32 v[2:3], v[2:3], v[12:13], v[8:9]
	v_mov_b32_e32 v6, v20
	v_mov_b32_e32 v7, v96
	v_cvt_f32_i32_e32 v9, v144
	v_cvt_f32_i32_e32 v8, v143
	v_pk_mul_f32 v[4:5], v[4:5], v[6:7] op_sel_hi:[0,1]
	v_cvt_f32_i32_e32 v7, v123
	v_cvt_f32_i32_e32 v6, v119
	v_mov_b32_e32 v96, v21
	v_pk_fma_f32 v[2:3], v[4:5], v[8:9], v[2:3]
	v_pk_mul_f32 v[4:5], v[122:123], v[96:97] op_sel_hi:[0,1]
	v_pk_fma_f32 v[94:95], v[4:5], v[6:7], v[2:3]
	s_barrier
.LBB206_5:                              ;   in Loop: Header=BB206_6 Depth=1
	s_add_i32 s4, s4, 4
	s_addk_i32 s18, 0x80
	v_add_u32_e32 v98, 4, v98
	v_add_u32_e32 v99, 4, v99
	v_lshl_add_u64 v[56:57], v[56:57], 0, s[12:13]
	v_lshl_add_u64 v[58:59], v[58:59], 0, s[12:13]
	;; [unrolled: 1-line block ×17, first 2 shown]
	s_cmp_ge_i32 s4, s22
	v_lshl_add_u64 v[90:91], v[90:91], 0, s[12:13]
	s_cbranch_scc1 .LBB206_13
.LBB206_6:                              ; =>This Inner Loop Header: Depth=1
	v_lshl_add_u64 v[2:3], v[56:57], 0, s[20:21]
	global_load_dword v4, v[2:3], off
	v_lshl_add_u64 v[2:3], v[58:59], 0, s[20:21]
	global_load_dword v5, v[2:3], off
	;; [unrolled: 2-line block ×15, first 2 shown]
	v_lshl_add_u64 v[2:3], v[88:89], 0, s[20:21]
	global_load_ushort v19, v[2:3], off
	v_lshl_add_u64 v[2:3], v[90:91], 0, s[20:21]
	global_load_ushort v20, v[2:3], off
	v_lshl_add_u64 v[2:3], v[86:87], 0, s[20:21]
	global_load_dword v2, v[2:3], off
	s_cmp_lt_i32 s18, s5
	s_waitcnt vmcnt(17)
	ds_write_b32 v22, v4
	s_waitcnt vmcnt(16)
	ds_write_b32 v24, v5
	;; [unrolled: 2-line block ×14, first 2 shown]
	s_waitcnt vmcnt(2)
	v_cvt_f32_f16_e32 v3, v19
	s_waitcnt vmcnt(1)
	v_cvt_f32_f16_e32 v4, v20
	ds_write_b32 v50, v18
	s_waitcnt vmcnt(0)
	ds_write_b32 v52, v2
	ds_write_b32 v43, v3
	;; [unrolled: 1-line block ×3, first 2 shown]
	s_cbranch_scc0 .LBB206_5
; %bb.7:                                ;   in Loop: Header=BB206_6 Depth=1
	v_cmp_gt_i32_e64 s[2:3], s8, v99
	s_and_b64 s[24:25], s[0:1], s[2:3]
	s_and_saveexec_b64 s[2:3], s[24:25]
	s_cbranch_execz .LBB206_9
; %bb.8:                                ;   in Loop: Header=BB206_6 Depth=1
	v_add_u32_e32 v2, v41, v99
	v_mad_i64_i32 v[2:3], s[24:25], v2, 36, v[54:55]
	global_load_dword v2, v[2:3], off offset:4
	s_waitcnt vmcnt(0)
	ds_write_b32 v25, v2
.LBB206_9:                              ;   in Loop: Header=BB206_6 Depth=1
	s_or_b64 exec, exec, s[2:3]
	v_cmp_gt_i32_e64 s[2:3], s8, v98
	s_and_b64 s[2:3], s[0:1], s[2:3]
	s_and_b64 s[24:25], vcc, s[2:3]
	s_and_saveexec_b64 s[2:3], s[24:25]
	s_cbranch_execz .LBB206_4
; %bb.10:                               ;   in Loop: Header=BB206_6 Depth=1
	v_add_u32_e32 v2, v41, v98
	v_mad_i64_i32 v[2:3], s[24:25], v2, 36, s[14:15]
	global_load_dword v2, v[2:3], off
	s_waitcnt vmcnt(0)
	v_cvt_f32_f16_e32 v2, v2
	ds_write_b32 v27, v2
	s_branch .LBB206_4
.LBB206_11:
	v_mov_b32_e32 v2, 0
	s_mul_i32 s0, s10, s7
	s_waitcnt vmcnt(0)
	v_cmp_gt_i32_e32 vcc, s0, v1
	s_and_saveexec_b64 s[0:1], vcc
	s_cbranch_execnz .LBB206_14
.LBB206_12:
	s_endpgm
.LBB206_13:
	v_cvt_f16_f32_e32 v2, v93
	v_cvt_f16_f32_e32 v3, v92
	v_cvt_f16_f32_e32 v4, v95
	v_cvt_f16_f32_e32 v5, v94
	v_pack_b32_f16 v2, v3, v2
	v_pack_b32_f16 v3, v5, v4
	s_mul_i32 s0, s10, s7
	v_cmp_gt_i32_e32 vcc, s0, v1
	s_and_saveexec_b64 s[0:1], vcc
	s_cbranch_execz .LBB206_12
.LBB206_14:
	v_and_b32_e32 v0, 0x3ff, v0
	v_add_u32_e32 v4, s11, v0
	v_mul_lo_u32 v0, v1, s9
	v_cmp_gt_u32_e32 vcc, s9, v4
	s_and_saveexec_b64 s[0:1], vcc
	s_cbranch_execz .LBB206_16
; %bb.15:
	v_add_u32_e32 v6, v0, v4
	v_mov_b32_e32 v7, 0
	v_lshl_add_u64 v[6:7], v[6:7], 1, s[16:17]
	global_store_short v[6:7], v2, off
.LBB206_16:
	s_or_b64 exec, exec, s[0:1]
	v_add_u32_e32 v1, 32, v4
	v_cmp_gt_u32_e32 vcc, s9, v1
	s_and_saveexec_b64 s[0:1], vcc
	s_cbranch_execz .LBB206_18
; %bb.17:
	v_add_u32_e32 v6, v0, v1
	v_mov_b32_e32 v7, 0
	v_lshl_add_u64 v[6:7], v[6:7], 1, s[16:17]
	global_store_short_d16_hi v[6:7], v2, off
.LBB206_18:
	s_or_b64 exec, exec, s[0:1]
	v_add_u32_e32 v1, 64, v4
	v_cmp_gt_u32_e32 vcc, s9, v1
	s_and_saveexec_b64 s[0:1], vcc
	s_cbranch_execz .LBB206_20
; %bb.19:
	v_add_u32_e32 v6, v0, v1
	v_mov_b32_e32 v7, 0
	v_lshl_add_u64 v[6:7], v[6:7], 1, s[16:17]
	global_store_short v[6:7], v3, off
.LBB206_20:
	s_or_b64 exec, exec, s[0:1]
	v_add_u32_e32 v1, 0x60, v4
	v_cmp_gt_u32_e32 vcc, s9, v1
	s_and_b64 exec, exec, vcc
	s_cbranch_execz .LBB206_12
; %bb.21:
	v_add_u32_e32 v0, v0, v1
	v_mov_b32_e32 v1, 0
	v_lshl_add_u64 v[0:1], v[0:1], 1, s[16:17]
	global_store_short_d16_hi v[0:1], v3, off
	s_endpgm
	.section	.rodata,"a",@progbits
	.p2align	6, 0x0
	.amdhsa_kernel _ZL8moe_q8_0IN3c104HalfELb1EEvPKvS3_PT_PKiS7_S7_iiiiiii
		.amdhsa_group_segment_fixed_size 20160
		.amdhsa_private_segment_fixed_size 0
		.amdhsa_kernarg_size 76
		.amdhsa_user_sgpr_count 2
		.amdhsa_user_sgpr_dispatch_ptr 0
		.amdhsa_user_sgpr_queue_ptr 0
		.amdhsa_user_sgpr_kernarg_segment_ptr 1
		.amdhsa_user_sgpr_dispatch_id 0
		.amdhsa_user_sgpr_kernarg_preload_length 0
		.amdhsa_user_sgpr_kernarg_preload_offset 0
		.amdhsa_user_sgpr_private_segment_size 0
		.amdhsa_uses_dynamic_stack 0
		.amdhsa_enable_private_segment 0
		.amdhsa_system_sgpr_workgroup_id_x 1
		.amdhsa_system_sgpr_workgroup_id_y 1
		.amdhsa_system_sgpr_workgroup_id_z 0
		.amdhsa_system_sgpr_workgroup_info 0
		.amdhsa_system_vgpr_workitem_id 1
		.amdhsa_next_free_vgpr 147
		.amdhsa_next_free_sgpr 26
		.amdhsa_accum_offset 148
		.amdhsa_reserve_vcc 1
		.amdhsa_float_round_mode_32 0
		.amdhsa_float_round_mode_16_64 0
		.amdhsa_float_denorm_mode_32 3
		.amdhsa_float_denorm_mode_16_64 3
		.amdhsa_dx10_clamp 1
		.amdhsa_ieee_mode 1
		.amdhsa_fp16_overflow 0
		.amdhsa_tg_split 0
		.amdhsa_exception_fp_ieee_invalid_op 0
		.amdhsa_exception_fp_denorm_src 0
		.amdhsa_exception_fp_ieee_div_zero 0
		.amdhsa_exception_fp_ieee_overflow 0
		.amdhsa_exception_fp_ieee_underflow 0
		.amdhsa_exception_fp_ieee_inexact 0
		.amdhsa_exception_int_div_zero 0
	.end_amdhsa_kernel
	.section	.text._ZL8moe_q8_0IN3c104HalfELb1EEvPKvS3_PT_PKiS7_S7_iiiiiii,"axG",@progbits,_ZL8moe_q8_0IN3c104HalfELb1EEvPKvS3_PT_PKiS7_S7_iiiiiii,comdat
.Lfunc_end206:
	.size	_ZL8moe_q8_0IN3c104HalfELb1EEvPKvS3_PT_PKiS7_S7_iiiiiii, .Lfunc_end206-_ZL8moe_q8_0IN3c104HalfELb1EEvPKvS3_PT_PKiS7_S7_iiiiiii
                                        ; -- End function
	.section	.AMDGPU.csdata,"",@progbits
; Kernel info:
; codeLenInByte = 4908
; NumSgprs: 32
; NumVgprs: 147
; NumAgprs: 0
; TotalNumVgprs: 147
; ScratchSize: 0
; MemoryBound: 0
; FloatMode: 240
; IeeeMode: 1
; LDSByteSize: 20160 bytes/workgroup (compile time only)
; SGPRBlocks: 3
; VGPRBlocks: 18
; NumSGPRsForWavesPerEU: 32
; NumVGPRsForWavesPerEU: 147
; AccumOffset: 148
; Occupancy: 3
; WaveLimiterHint : 1
; COMPUTE_PGM_RSRC2:SCRATCH_EN: 0
; COMPUTE_PGM_RSRC2:USER_SGPR: 2
; COMPUTE_PGM_RSRC2:TRAP_HANDLER: 0
; COMPUTE_PGM_RSRC2:TGID_X_EN: 1
; COMPUTE_PGM_RSRC2:TGID_Y_EN: 1
; COMPUTE_PGM_RSRC2:TGID_Z_EN: 0
; COMPUTE_PGM_RSRC2:TIDIG_COMP_CNT: 1
; COMPUTE_PGM_RSRC3_GFX90A:ACCUM_OFFSET: 36
; COMPUTE_PGM_RSRC3_GFX90A:TG_SPLIT: 0
	.section	.text._ZL8moe_q2_KIN3c104HalfELb0EEvPKvS3_PT_PKiS7_S7_iiiiiii,"axG",@progbits,_ZL8moe_q2_KIN3c104HalfELb0EEvPKvS3_PT_PKiS7_S7_iiiiiii,comdat
	.globl	_ZL8moe_q2_KIN3c104HalfELb0EEvPKvS3_PT_PKiS7_S7_iiiiiii ; -- Begin function _ZL8moe_q2_KIN3c104HalfELb0EEvPKvS3_PT_PKiS7_S7_iiiiiii
	.p2align	8
	.type	_ZL8moe_q2_KIN3c104HalfELb0EEvPKvS3_PT_PKiS7_S7_iiiiiii,@function
_ZL8moe_q2_KIN3c104HalfELb0EEvPKvS3_PT_PKiS7_S7_iiiiiii: ; @_ZL8moe_q2_KIN3c104HalfELb0EEvPKvS3_PT_PKiS7_S7_iiiiiii
; %bb.0:
	s_load_dwordx4 s[4:7], s[0:1], 0x18
	s_mov_b32 s8, s3
	s_mov_b32 s9, 0
	s_lshl_b64 s[10:11], s[8:9], 2
	s_waitcnt lgkmcnt(0)
	s_add_u32 s6, s6, s10
	s_addc_u32 s7, s7, s11
	s_load_dword s3, s[6:7], 0x0
	s_waitcnt lgkmcnt(0)
	s_cmpk_gt_u32 s3, 0xff
	s_cbranch_scc1 .LBB207_39
; %bb.1:
	s_load_dwordx2 s[6:7], s[0:1], 0x28
	s_waitcnt lgkmcnt(0)
	s_load_dword s7, s[6:7], 0x0
	s_lshl_b32 s6, s8, 3
	s_waitcnt lgkmcnt(0)
	s_cmp_gt_u32 s6, s7
	s_cbranch_scc1 .LBB207_39
; %bb.2:
	v_bfe_u32 v4, v0, 10, 10
	v_mov_b32_e32 v6, s4
	v_mov_b32_e32 v7, s5
	v_add_u32_e32 v2, s6, v4
	v_mov_b32_e32 v3, 0
	v_lshl_add_u64 v[6:7], v[2:3], 2, v[6:7]
	global_load_dword v1, v[6:7], off
	s_load_dwordx2 s[14:15], s[0:1], 0x30
	s_load_dwordx2 s[12:13], s[0:1], 0x10
	s_load_dwordx4 s[4:7], s[0:1], 0x3c
	s_lshl_b32 s24, s2, 7
	s_mov_b32 s16, 0
	s_waitcnt lgkmcnt(0)
	s_cmpk_lt_i32 s15, 0x100
	s_cbranch_scc1 .LBB207_38
; %bb.3:
	s_load_dwordx4 s[8:11], s[0:1], 0x0
	s_ashr_i32 s0, s15, 31
	s_lshr_b32 s0, s0, 24
	s_add_i32 s0, s15, s0
	s_ashr_i32 s25, s0, 8
	s_ashr_i32 s0, s5, 31
	s_lshr_b32 s0, s0, 27
	s_add_i32 s0, s5, s0
	s_mul_i32 s3, s3, s14
	s_ashr_i32 s5, s0, 5
	s_ashr_i32 s0, s3, 31
	s_waitcnt lgkmcnt(0)
	s_add_u32 s1, s8, s3
	s_mul_i32 s2, s25, s24
	s_addc_u32 s0, s9, s0
	s_mul_hi_i32 s3, s2, 0x54
	s_mulk_i32 s2, 0x54
	s_add_u32 s26, s1, s2
	s_addc_u32 s27, s0, s3
	s_lshl_b32 s1, s25, 3
	v_mov_b32_e32 v3, s1
	v_mad_i32_i24 v16, s25, v4, v3
	v_add_u32_e32 v18, s1, v16
	v_add_u32_e32 v20, s1, v18
	;; [unrolled: 1-line block ×9, first 2 shown]
	v_and_b32_e32 v11, 0x3ff, v0
	v_add_u32_e32 v36, s1, v34
	v_add_u32_e32 v38, s1, v36
	v_lshlrev_b32_e32 v5, 4, v4
	v_lshrrev_b32_e32 v3, 1, v11
	v_add_u32_e32 v40, s1, v38
	v_and_b32_e32 v46, 1, v11
	v_add_u32_e32 v3, v3, v5
	v_add_u32_e32 v42, s1, v40
	v_and_b32_e32 v6, 0x7f, v3
	v_lshlrev_b32_e32 v7, 2, v46
	v_lshrrev_b32_e32 v3, 2, v3
	v_add_u32_e32 v44, s1, v42
	v_mul_i32_i24_e32 v48, s25, v6
	v_lshl_or_b32 v6, v6, 3, v7
	v_and_b32_e32 v3, 28, v3
	s_movk_i32 s1, 0x5280
	v_add3_u32 v47, v6, v3, s1
	v_lshlrev_b32_e32 v6, 2, v4
	v_lshrrev_b32_e32 v49, 3, v11
	v_add_u32_e32 v3, v49, v6
	s_lshl_b32 s3, s25, 5
	v_and_b32_e32 v7, 7, v11
	v_add_u32_e32 v51, 32, v3
	v_mov_b32_e32 v55, s3
	v_mov_b32_e32 v13, 0
	v_lshlrev_b32_e32 v2, 2, v11
	s_movk_i32 s0, 0x84
	v_cmp_lt_u32_e32 vcc, 3, v7
	v_mul_i32_i24_e32 v54, s25, v3
	v_and_b32_e32 v8, 0x1ffc, v3
	v_lshlrev_b32_e32 v7, 2, v7
	s_movk_i32 s2, 0x4200
	v_lshlrev_b32_e32 v9, 5, v3
	v_mad_i32_i24 v56, s25, v3, v55
	v_and_b32_e32 v55, 0x3ffc, v51
	v_lshlrev_b32_e32 v69, 5, v51
	v_add_u32_e32 v51, 64, v3
	v_add_u32_e32 v3, 0x60, v3
	v_and_b32_e32 v12, 60, v2
	v_mad_u32_u24 v15, v4, s0, v2
	v_and_b32_e32 v52, 12, v2
	v_add3_u32 v68, v55, v7, s2
	v_and_b32_e32 v55, 0x3ffc, v51
	v_lshlrev_b32_e32 v96, 5, v51
	v_and_b32_e32 v51, 0x3ffc, v3
	v_lshlrev_b32_e32 v97, 5, v3
	v_and_b32_e32 v2, 28, v2
	v_mov_b32_e32 v3, v13
	v_add3_u32 v8, v8, v7, s2
	v_add3_u32 v70, v55, v7, s2
	v_add3_u32 v7, v51, v7, s2
	v_and_b32_e32 v51, 31, v11
	v_lshl_add_u64 v[62:63], s[10:11], 0, v[2:3]
	v_lshlrev_b32_e32 v2, 7, v4
	v_lshl_or_b32 v3, v51, 2, v2
	v_lshrrev_b32_e32 v10, 4, v11
	v_mul_i32_i24_e32 v14, s25, v4
	v_add_u32_e32 v51, 0x56a0, v3
	v_or_b32_e32 v3, v6, v11
	v_mov_b32_e32 v4, 0x5aa0
	v_lshl_add_u32 v55, v3, 2, v4
	v_lshlrev_b32_e32 v3, 3, v11
	v_lshlrev_b32_e32 v59, 2, v10
	v_add_u32_e32 v4, 32, v11
	v_add3_u32 v59, v59, v3, s1
	v_mov_b32_e32 v3, 0x1080
	v_mad_u32_u24 v61, v11, s0, v3
	v_lshrrev_b32_e32 v3, 2, v4
	v_lshlrev_b32_e32 v6, 3, v4
	v_and_b32_e32 v3, 0x7c, v3
	v_add_u32_e32 v66, 64, v11
	v_add3_u32 v71, v6, v3, s1
	v_mov_b32_e32 v3, 0x2100
	v_mad_u32_u24 v72, v11, s0, v3
	v_lshrrev_b32_e32 v3, 2, v66
	s_abs_i32 s2, s7
	v_lshlrev_b32_e32 v64, 3, v66
	v_and_b32_e32 v3, 0x7c, v3
	v_cvt_f32_u32_e32 v6, s2
	v_add_u32_e32 v67, 0x60, v11
	v_add3_u32 v73, v64, v3, s1
	v_mov_b32_e32 v3, 0x3180
	v_mad_u32_u24 v74, v11, s0, v3
	v_lshrrev_b32_e32 v3, 2, v67
	v_lshlrev_b32_e32 v65, 3, v67
	v_and_b32_e32 v3, 0x7c, v3
	v_add3_u32 v75, v65, v3, s1
	v_rcp_iflag_f32_e32 v3, v6
	s_sub_i32 s0, 0, s2
	s_waitcnt vmcnt(0)
	v_sub_u32_e32 v64, 0, v1
	v_max_i32_e32 v64, v1, v64
	v_mul_f32_e32 v3, 0x4f7ffffe, v3
	v_cvt_u32_f32_e32 v3, v3
	v_xor_b32_e32 v6, s7, v1
	s_add_u32 s8, s10, 0x90
	v_ashrrev_i32_e32 v6, 31, v6
	v_mul_lo_u32 v65, s0, v3
	v_mul_hi_u32 v65, v3, v65
	v_add_u32_e32 v3, v3, v65
	v_mul_hi_u32 v3, v64, v3
	v_mul_lo_u32 v65, v3, s2
	v_sub_u32_e32 v64, v64, v65
	v_add_u32_e32 v65, 1, v3
	v_cmp_le_u32_e64 s[0:1], s2, v64
	s_addc_u32 s9, s11, 0
	s_add_u32 s18, s10, 0x120
	v_cndmask_b32_e64 v3, v3, v65, s[0:1]
	v_subrev_u32_e32 v65, s2, v64
	v_cndmask_b32_e64 v64, v64, v65, s[0:1]
	v_add_u32_e32 v65, 1, v3
	v_cmp_le_u32_e64 s[0:1], s2, v64
	s_addc_u32 s19, s11, 0
	s_mov_b32 s17, s16
	v_cndmask_b32_e64 v3, v3, v65, s[0:1]
	v_xor_b32_e32 v3, v3, v6
	v_sub_u32_e32 v3, v3, v6
	v_add_u32_e32 v58, s3, v56
	v_lshrrev_b32_e32 v77, 3, v66
	v_lshrrev_b32_e32 v78, 3, v67
	v_mul_lo_u32 v64, v3, s5
	s_add_u32 s20, s10, 0x1b0
	v_and_b32_e32 v79, 0x1fc, v67
	v_lshlrev_b32_e32 v80, 5, v11
	v_and_b32_e32 v81, 0x1fc, v66
	v_and_b32_e32 v82, 0x1fc, v4
	;; [unrolled: 1-line block ×3, first 2 shown]
	v_mov_b64_e32 v[66:67], s[16:17]
	s_movk_i32 s14, 0x54
	v_add_u32_e32 v17, 0x420, v15
	v_add_u32_e32 v19, 0x840, v15
	v_add_u32_e32 v21, 0xc60, v15
	v_add_u32_e32 v23, 0x1080, v15
	v_add_u32_e32 v25, 0x14a0, v15
	v_add_u32_e32 v27, 0x18c0, v15
	v_add_u32_e32 v29, 0x1ce0, v15
	v_add_u32_e32 v31, 0x2100, v15
	v_add_u32_e32 v33, 0x2520, v15
	v_add_u32_e32 v35, 0x2940, v15
	v_add_u32_e32 v37, 0x2d60, v15
	v_add_u32_e32 v39, 0x3180, v15
	v_add_u32_e32 v41, 0x35a0, v15
	v_add_u32_e32 v43, 0x39c0, v15
	v_add_u32_e32 v45, 0x3de0, v15
	v_cndmask_b32_e64 v50, 0, 1, vcc
	v_mov_b32_e32 v53, v13
	v_add_u32_e32 v60, s3, v58
	v_cmp_gt_u32_e32 vcc, 4, v11
	v_mul_u32_u24_e32 v57, 0x84, v11
	v_lshrrev_b32_e32 v76, 3, v4
	v_cmp_gt_i32_e64 s[0:1], s4, v3
	v_ashrrev_i32_e32 v65, 31, v64
	s_addc_u32 s21, s11, 0
	v_add_u32_e32 v84, 0x56a0, v2
	v_add_u32_e32 v85, 0x5aa0, v5
	;; [unrolled: 1-line block ×14, first 2 shown]
	s_mov_b32 s17, 0x1010101
	v_mov_b32_e32 v98, 4
	v_mov_b32_e32 v99, 15
	v_mov_b64_e32 v[68:69], v[66:67]
	s_branch .LBB207_5
.LBB207_4:                              ;   in Loop: Header=BB207_5 Depth=1
	s_add_i32 s16, s16, 2
	s_cmp_ge_i32 s16, s25
	s_cbranch_scc1 .LBB207_40
.LBB207_5:                              ; =>This Loop Header: Depth=1
                                        ;     Child Loop BB207_12 Depth 2
                                        ;     Child Loop BB207_20 Depth 2
	;; [unrolled: 1-line block ×4, first 2 shown]
	s_mul_i32 s2, s16, 0x54
	s_mul_hi_u32 s3, s16, 0x54
	s_add_u32 s2, s26, s2
	s_addc_u32 s3, s27, s3
	v_mov_b64_e32 v[2:3], s[2:3]
	v_mad_u64_u32 v[4:5], s[2:3], v10, s14, v[2:3]
	v_lshl_add_u64 v[4:5], v[4:5], 0, v[12:13]
	v_lshl_add_u64 v[4:5], v[4:5], 0, 16
	v_mad_u64_u32 v[6:7], s[2:3], v14, s14, v[4:5]
	v_mad_u64_u32 v[8:9], s[2:3], v16, s14, v[4:5]
	;; [unrolled: 1-line block ×8, first 2 shown]
	global_load_dword v70, v[6:7], off
	global_load_dword v112, v[8:9], off
	;; [unrolled: 1-line block ×8, first 2 shown]
	v_mad_u64_u32 v[6:7], s[2:3], v30, s14, v[4:5]
	v_mad_u64_u32 v[8:9], s[2:3], v32, s14, v[4:5]
	;; [unrolled: 1-line block ×8, first 2 shown]
	global_load_dword v110, v[6:7], off
	global_load_dword v111, v[8:9], off
	;; [unrolled: 1-line block ×8, first 2 shown]
	v_mad_u64_u32 v[4:5], s[2:3], v48, s14, v[2:3]
	v_mad_u64_u32 v[2:3], s[2:3], v50, s14, v[2:3]
	v_lshl_add_u64 v[2:3], v[2:3], 0, v[52:53]
	v_mad_u64_u32 v[4:5], s[2:3], v46, s14, v[4:5]
	v_mad_u64_u32 v[6:7], s[2:3], v54, s14, v[2:3]
	;; [unrolled: 1-line block ×5, first 2 shown]
	global_load_dword v102, v[4:5], off offset:80
	global_load_dword v103, v[6:7], off
	global_load_dword v104, v[8:9], off
	;; [unrolled: 1-line block ×3, first 2 shown]
	s_lshl_b32 s29, s16, 8
	global_load_dword v2, v[2:3], off
	s_cmp_lt_i32 s29, s15
	s_waitcnt vmcnt(20)
	ds_write_b32 v15, v70
	s_waitcnt vmcnt(19)
	ds_write_b32 v17, v112
	s_waitcnt vmcnt(18)
	ds_write_b32 v19, v113
	s_waitcnt vmcnt(17)
	ds_write_b32 v21, v114
	s_waitcnt vmcnt(16)
	ds_write_b32 v23, v115
	s_waitcnt vmcnt(15)
	ds_write_b32 v25, v116
	s_waitcnt vmcnt(14)
	ds_write_b32 v27, v117
	s_waitcnt vmcnt(13)
	ds_write_b32 v29, v118
	s_waitcnt vmcnt(12)
	ds_write_b32 v31, v110
	s_waitcnt vmcnt(11)
	ds_write_b32 v33, v111
	s_waitcnt vmcnt(10)
	ds_write_b32 v35, v119
	s_waitcnt vmcnt(9)
	ds_write_b32 v37, v120
	s_waitcnt vmcnt(8)
	ds_write_b32 v39, v121
	s_waitcnt vmcnt(7)
	ds_write_b32 v41, v122
	s_waitcnt vmcnt(6)
	ds_write_b32 v43, v123
	s_waitcnt vmcnt(5)
	ds_write_b32 v45, v124
	s_waitcnt vmcnt(4)
	ds_write_b32 v47, v102
	s_waitcnt vmcnt(3)
	ds_write_b32 v94, v103
	s_waitcnt vmcnt(2)
	ds_write_b32 v95, v104
	s_waitcnt vmcnt(1)
	ds_write_b32 v96, v105
	s_waitcnt vmcnt(0)
	ds_write_b32 v97, v2
	s_cbranch_scc0 .LBB207_4
; %bb.6:                                ;   in Loop: Header=BB207_5 Depth=1
	s_lshl_b32 s28, s16, 3
	v_add_u32_e32 v2, s28, v49
	v_cmp_gt_i32_e64 s[2:3], s5, v2
	s_and_b64 s[22:23], s[0:1], s[2:3]
	s_and_saveexec_b64 s[2:3], s[22:23]
	s_cbranch_execz .LBB207_8
; %bb.7:                                ;   in Loop: Header=BB207_5 Depth=1
	v_add_u32_e32 v2, v64, v2
	v_mad_i64_i32 v[2:3], s[22:23], v2, 36, v[62:63]
	global_load_dword v2, v[2:3], off offset:4
	s_waitcnt vmcnt(0)
	ds_write_b32 v51, v2
.LBB207_8:                              ;   in Loop: Header=BB207_5 Depth=1
	s_or_b64 exec, exec, s[2:3]
	s_and_saveexec_b64 s[22:23], vcc
	s_cbranch_execz .LBB207_11
; %bb.9:                                ;   in Loop: Header=BB207_5 Depth=1
	v_or_b32_e32 v2, s28, v11
	v_cmp_gt_i32_e64 s[2:3], s5, v2
	s_and_b64 s[2:3], s[0:1], s[2:3]
	s_and_b64 exec, exec, s[2:3]
	s_cbranch_execz .LBB207_11
; %bb.10:                               ;   in Loop: Header=BB207_5 Depth=1
	v_add_u32_e32 v2, v64, v2
	v_mad_i64_i32 v[2:3], s[2:3], v2, 36, s[10:11]
	global_load_dword v2, v[2:3], off
	s_waitcnt vmcnt(0)
	v_cvt_f32_f16_e32 v2, v2
	ds_write_b32 v55, v2
.LBB207_11:                             ;   in Loop: Header=BB207_5 Depth=1
	s_or_b64 exec, exec, s[22:23]
	s_mov_b32 s2, 0
	s_mov_b32 s3, -2
	v_mov_b32_e32 v100, v85
	v_mov_b32_e32 v101, v84
	s_waitcnt lgkmcnt(0)
	s_barrier
.LBB207_12:                             ;   Parent Loop BB207_5 Depth=1
                                        ; =>  This Inner Loop Header: Depth=2
	s_and_b32 s23, s2, -16
	s_add_i32 s22, s3, 2
	v_add_u32_e32 v102, s23, v80
	s_and_b32 s23, s22, 0x3ffffff8
	s_lshr_b32 s30, s22, 2
	s_lshl_b32 s23, s23, 2
	s_and_b32 s30, s30, 0x3ffffffc
	v_add3_u32 v114, v83, s3, v102
	v_add3_u32 v118, v82, s3, v102
	;; [unrolled: 1-line block ×4, first 2 shown]
	v_add_u32_e32 v108, s23, v57
	v_add_u32_e32 v115, s30, v59
	;; [unrolled: 1-line block ×8, first 2 shown]
	ds_read_b32 v70, v100
	ds_read_b128 v[6:9], v101
	ds_read_b128 v[2:5], v101 offset:16
	ds_read2_b32 v[102:103], v108 offset1:1
	ds_read2_b32 v[104:105], v108 offset0:2 offset1:3
	ds_read2_b32 v[106:107], v108 offset0:4 offset1:5
	ds_read2_b32 v[108:109], v108 offset0:6 offset1:7
	ds_read2_b32 v[110:111], v116 offset1:1
	ds_read2_b32 v[112:113], v116 offset0:2 offset1:3
	ds_read_b32 v148, v115
	ds_read_u16 v149, v114 offset:16898
	ds_read2_b32 v[114:115], v116 offset0:4 offset1:5
	ds_read2_b32 v[116:117], v116 offset0:6 offset1:7
	ds_read_b32 v150, v119
	ds_read_u16 v151, v118 offset:17922
	ds_read2_b32 v[118:119], v124 offset1:1
	ds_read2_b32 v[120:121], v124 offset0:2 offset1:3
	ds_read2_b32 v[122:123], v124 offset0:4 offset1:5
	;; [unrolled: 1-line block ×3, first 2 shown]
	ds_read2_b32 v[126:127], v132 offset1:1
	ds_read2_b32 v[128:129], v132 offset0:2 offset1:3
	ds_read_b32 v152, v131
	ds_read_u16 v153, v130 offset:18946
	ds_read2_b32 v[130:131], v132 offset0:4 offset1:5
	ds_read2_b32 v[132:133], v132 offset0:6 offset1:7
	ds_read_b32 v147, v147
	ds_read_u16 v146, v146 offset:19970
	s_waitcnt lgkmcnt(14)
	v_ashrrev_i32_e32 v154, s22, v102
	v_ashrrev_i32_e32 v156, s22, v104
	;; [unrolled: 1-line block ×4, first 2 shown]
	v_bfe_u32 v162, v149, 4, 4
	s_waitcnt lgkmcnt(12)
	v_bfe_u32 v164, v151, 4, 4
	v_cvt_f32_f16_e32 v102, v148
	v_cvt_f32_f16_sdwa v104, v148 dst_sel:DWORD dst_unused:UNUSED_PAD src0_sel:WORD_1
	s_waitcnt lgkmcnt(4)
	v_bfe_u32 v148, v153, 4, 4
	s_waitcnt lgkmcnt(0)
	v_bfe_u32 v168, v146, 4, 4
	v_mov_b32_e32 v138, 0
	v_mov_b32_e32 v139, 0
	v_mov_b32_e32 v144, 0
	v_mov_b32_e32 v145, 0
	v_ashrrev_i32_e32 v159, s22, v107
	v_ashrrev_i32_e32 v161, s22, v109
	v_cvt_f32_f16_e32 v107, v147
	v_cvt_f32_f16_sdwa v109, v147 dst_sel:DWORD dst_unused:UNUSED_PAD src0_sel:WORD_1
	v_and_b32_e32 v147, 0x3030303, v154
	v_and_b32_e32 v154, 0x3030303, v156
	v_and_b32_e32 v156, 0x3030303, v158
	v_and_b32_e32 v158, 0x3030303, v160
	v_mul_lo_u32 v160, v162, s17
	v_mul_lo_u32 v162, v164, s17
	;; [unrolled: 1-line block ×4, first 2 shown]
	v_ashrrev_i32_e32 v110, s22, v110
	v_dot4c_i32_i8_e32 v138, v160, v6
	v_dot4c_i32_i8_e32 v139, v162, v6
	;; [unrolled: 1-line block ×4, first 2 shown]
	v_mov_b32_e32 v134, 0
	v_mov_b32_e32 v136, 0
	v_ashrrev_i32_e32 v155, s22, v103
	v_ashrrev_i32_e32 v111, s22, v111
	;; [unrolled: 1-line block ×5, first 2 shown]
	v_and_b32_e32 v110, 0x3030303, v110
	v_dot4c_i32_i8_e32 v138, v160, v7
	v_dot4c_i32_i8_e32 v139, v162, v7
	;; [unrolled: 1-line block ×4, first 2 shown]
	v_mov_b32_e32 v135, 0
	v_mov_b32_e32 v137, 0
	;; [unrolled: 1-line block ×4, first 2 shown]
	v_ashrrev_i32_e32 v157, s22, v105
	v_ashrrev_i32_e32 v112, s22, v112
	;; [unrolled: 1-line block ×3, first 2 shown]
	v_lshrrev_b32_sdwa v163, v98, v149 dst_sel:DWORD dst_unused:UNUSED_PAD src0_sel:DWORD src1_sel:BYTE_1
	v_lshrrev_b32_sdwa v167, v98, v151 dst_sel:DWORD dst_unused:UNUSED_PAD src0_sel:DWORD src1_sel:BYTE_1
	v_cvt_f32_f16_e32 v103, v150
	v_cvt_f32_f16_sdwa v105, v150 dst_sel:DWORD dst_unused:UNUSED_PAD src0_sel:WORD_1
	v_ashrrev_i32_e32 v119, s22, v119
	v_ashrrev_i32_e32 v122, s22, v122
	;; [unrolled: 1-line block ×4, first 2 shown]
	v_lshrrev_b32_sdwa v150, v98, v153 dst_sel:DWORD dst_unused:UNUSED_PAD src0_sel:DWORD src1_sel:BYTE_1
	v_lshrrev_b32_sdwa v171, v98, v146 dst_sel:DWORD dst_unused:UNUSED_PAD src0_sel:DWORD src1_sel:BYTE_1
	v_cvt_f32_f16_e32 v106, v152
	v_cvt_f32_f16_sdwa v108, v152 dst_sel:DWORD dst_unused:UNUSED_PAD src0_sel:WORD_1
	v_and_b32_e32 v152, 0x3030303, v155
	v_and_b32_e32 v111, 0x3030303, v111
	;; [unrolled: 1-line block ×5, first 2 shown]
	v_dot4c_i32_i8_e32 v134, v147, v6
	v_dot4c_i32_i8_e32 v136, v110, v6
	v_dot4c_i32_i8_e32 v138, v160, v8
	v_dot4c_i32_i8_e32 v139, v162, v8
	v_dot4c_i32_i8_e32 v144, v148, v8
	v_dot4c_i32_i8_e32 v145, v164, v8
	v_mov_b32_e32 v141, 0
	v_mov_b32_e32 v143, 0
	v_ashrrev_i32_e32 v113, s22, v113
	v_ashrrev_i32_e32 v116, s22, v116
	;; [unrolled: 1-line block ×6, first 2 shown]
	v_and_b32_e32 v155, 0x3030303, v157
	v_and_b32_e32 v157, 0x3030303, v159
	;; [unrolled: 1-line block ×5, first 2 shown]
	v_mul_lo_u32 v161, v163, s17
	v_mul_lo_u32 v163, v167, s17
	v_and_b32_e32 v119, 0x3030303, v119
	v_and_b32_e32 v122, 0x3030303, v122
	;; [unrolled: 1-line block ×4, first 2 shown]
	v_mul_lo_u32 v150, v150, s17
	v_mul_lo_u32 v167, v171, s17
	v_dot4c_i32_i8_e32 v135, v156, v2
	v_dot4c_i32_i8_e32 v137, v114, v2
	;; [unrolled: 1-line block ×10, first 2 shown]
	v_ashrrev_i32_e32 v117, s22, v117
	v_ashrrev_i32_e32 v121, s22, v121
	v_ashrrev_i32_e32 v124, s22, v124
	v_ashrrev_i32_e32 v129, s22, v129
	v_ashrrev_i32_e32 v132, s22, v132
	v_and_b32_e32 v113, 0x3030303, v113
	v_and_b32_e32 v116, 0x3030303, v116
	;; [unrolled: 1-line block ×6, first 2 shown]
	v_dot4c_i32_i8_e32 v141, v122, v2
	v_dot4c_i32_i8_e32 v143, v130, v2
	;; [unrolled: 1-line block ×12, first 2 shown]
	v_and_b32_e32 v165, 15, v149
	v_and_b32_e32 v166, 15, v151
	v_ashrrev_i32_e32 v125, s22, v125
	v_ashrrev_i32_e32 v133, s22, v133
	v_and_b32_e32 v117, 0x3030303, v117
	v_and_b32_e32 v121, 0x3030303, v121
	;; [unrolled: 1-line block ×5, first 2 shown]
	v_dot4c_i32_i8_e32 v141, v123, v3
	v_dot4c_i32_i8_e32 v143, v131, v3
	;; [unrolled: 1-line block ×12, first 2 shown]
	s_add_i32 s2, s2, 2
	v_and_b32_sdwa v151, v151, v99 dst_sel:DWORD dst_unused:UNUSED_PAD src0_sel:BYTE_1 src1_sel:DWORD
	v_and_b32_sdwa v149, v149, v99 dst_sel:DWORD dst_unused:UNUSED_PAD src0_sel:BYTE_1 src1_sel:DWORD
	v_and_b32_e32 v169, 15, v153
	v_and_b32_e32 v170, 15, v146
	v_and_b32_e32 v125, 0x3030303, v125
	v_and_b32_e32 v133, 0x3030303, v133
	v_dot4c_i32_i8_e32 v141, v124, v4
	v_dot4c_i32_i8_e32 v143, v132, v4
	;; [unrolled: 1-line block ×6, first 2 shown]
	v_mul_lo_u32 v6, v166, v136
	v_mul_lo_u32 v8, v165, v134
	v_dot4c_i32_i8_e32 v138, v161, v4
	v_dot4c_i32_i8_e32 v139, v163, v4
	;; [unrolled: 1-line block ×4, first 2 shown]
	s_mov_b32 s3, s22
	s_cmp_lt_u32 s22, 6
	v_and_b32_sdwa v146, v146, v99 dst_sel:DWORD dst_unused:UNUSED_PAD src0_sel:BYTE_1 src1_sel:DWORD
	v_and_b32_sdwa v153, v153, v99 dst_sel:DWORD dst_unused:UNUSED_PAD src0_sel:BYTE_1 src1_sel:DWORD
	v_dot4c_i32_i8_e32 v141, v125, v5
	v_dot4c_i32_i8_e32 v143, v133, v5
	v_mul_lo_u32 v110, v170, v142
	v_mul_lo_u32 v112, v169, v140
	v_mad_u64_u32 v[8:9], s[22:23], v149, v135, v[8:9]
	v_mad_u64_u32 v[6:7], s[22:23], v151, v137, v[6:7]
	v_dot4c_i32_i8_e32 v138, v161, v5
	v_dot4c_i32_i8_e32 v139, v163, v5
	;; [unrolled: 1-line block ×4, first 2 shown]
	v_mad_u64_u32 v[2:3], s[22:23], v153, v141, v[112:113]
	v_mad_u64_u32 v[110:111], s[22:23], v146, v143, v[110:111]
	v_cvt_f32_i32_e32 v7, v6
	v_cvt_f32_i32_e32 v6, v8
	;; [unrolled: 1-line block ×8, first 2 shown]
	v_pk_mul_f32 v[4:5], v[104:105], v[4:5]
	v_pk_mul_f32 v[8:9], v[108:109], v[8:9]
	v_pk_fma_f32 v[4:5], v[102:103], v[6:7], v[4:5] neg_lo:[0,0,1] neg_hi:[0,0,1]
	v_pk_fma_f32 v[2:3], v[106:107], v[2:3], v[8:9] neg_lo:[0,0,1] neg_hi:[0,0,1]
	v_add_u32_e32 v101, 32, v101
	v_add_u32_e32 v100, 4, v100
	v_pk_fma_f32 v[66:67], v[70:71], v[4:5], v[66:67] op_sel_hi:[0,1,1]
	v_pk_fma_f32 v[68:69], v[70:71], v[2:3], v[68:69] op_sel_hi:[0,1,1]
	s_cbranch_scc1 .LBB207_12
; %bb.13:                               ;   in Loop: Header=BB207_5 Depth=1
	s_or_b32 s2, s29, 0x80
	s_cmp_ge_i32 s2, s15
	s_barrier
	s_cbranch_scc1 .LBB207_4
; %bb.14:                               ;   in Loop: Header=BB207_5 Depth=1
	v_add_u32_e32 v2, s28, v76
	v_cmp_gt_i32_e64 s[2:3], s5, v2
	s_and_b64 s[22:23], s[0:1], s[2:3]
	s_and_saveexec_b64 s[2:3], s[22:23]
	s_cbranch_execz .LBB207_16
; %bb.15:                               ;   in Loop: Header=BB207_5 Depth=1
	v_add_u32_e32 v2, v64, v2
	v_mad_i64_i32 v[2:3], s[22:23], v2, 36, v[62:63]
	global_load_dword v2, v[2:3], off offset:4
	s_waitcnt vmcnt(0)
	ds_write_b32 v51, v2
.LBB207_16:                             ;   in Loop: Header=BB207_5 Depth=1
	s_or_b64 exec, exec, s[2:3]
	s_and_saveexec_b64 s[22:23], vcc
	s_cbranch_execz .LBB207_19
; %bb.17:                               ;   in Loop: Header=BB207_5 Depth=1
	v_or_b32_e32 v2, s28, v11
	v_or_b32_e32 v3, 4, v2
	v_cmp_gt_i32_e64 s[2:3], s5, v3
	s_and_b64 s[2:3], s[0:1], s[2:3]
	s_and_b64 exec, exec, s[2:3]
	s_cbranch_execz .LBB207_19
; %bb.18:                               ;   in Loop: Header=BB207_5 Depth=1
	v_ashrrev_i32_e32 v3, 31, v2
	v_lshl_add_u64 v[2:3], v[64:65], 0, v[2:3]
	v_mad_u64_u32 v[4:5], s[2:3], v2, 36, s[8:9]
	v_mad_i32_i24 v5, v3, 36, v5
	global_load_dword v2, v[4:5], off
	s_waitcnt vmcnt(0)
	v_cvt_f32_f16_e32 v2, v2
	ds_write_b32 v55, v2
.LBB207_19:                             ;   in Loop: Header=BB207_5 Depth=1
	s_or_b64 exec, exec, s[22:23]
	s_mov_b32 s2, 8
	s_mov_b32 s3, 0
	v_mov_b32_e32 v100, v84
	v_mov_b32_e32 v101, v85
	s_waitcnt lgkmcnt(0)
	s_barrier
.LBB207_20:                             ;   Parent Loop BB207_5 Depth=1
                                        ; =>  This Inner Loop Header: Depth=2
	s_add_i32 s22, s3, 8
	s_and_b32 s23, s2, -16
	v_add_u32_e32 v102, s3, v80
	s_and_b32 s30, s22, 0x3ffffff8
	s_lshr_b32 s31, s22, 2
	v_add3_u32 v114, v89, s23, v102
	v_add3_u32 v118, v88, s23, v102
	v_add3_u32 v130, v87, s23, v102
	v_add3_u32 v146, v86, s23, v102
	s_lshl_b32 s23, s30, 2
	s_and_b32 s30, s31, 0x3ffffffc
	v_add_u32_e32 v108, s23, v57
	v_add_u32_e32 v115, s30, v59
	;; [unrolled: 1-line block ×8, first 2 shown]
	ds_read_b32 v70, v101
	ds_read_b128 v[6:9], v100
	ds_read_b128 v[2:5], v100 offset:16
	ds_read2_b32 v[102:103], v108 offset1:1
	ds_read2_b32 v[104:105], v108 offset0:2 offset1:3
	ds_read2_b32 v[106:107], v108 offset0:4 offset1:5
	;; [unrolled: 1-line block ×3, first 2 shown]
	ds_read2_b32 v[110:111], v116 offset1:1
	ds_read2_b32 v[112:113], v116 offset0:2 offset1:3
	ds_read_b32 v148, v115
	ds_read_u16 v149, v114
	ds_read2_b32 v[114:115], v116 offset0:4 offset1:5
	ds_read2_b32 v[116:117], v116 offset0:6 offset1:7
	ds_read_b32 v150, v119
	ds_read_u16 v151, v118
	ds_read2_b32 v[118:119], v124 offset1:1
	ds_read2_b32 v[120:121], v124 offset0:2 offset1:3
	ds_read2_b32 v[122:123], v124 offset0:4 offset1:5
	;; [unrolled: 1-line block ×3, first 2 shown]
	ds_read2_b32 v[126:127], v132 offset1:1
	ds_read2_b32 v[128:129], v132 offset0:2 offset1:3
	ds_read_b32 v152, v131
	ds_read_u16 v153, v130
	ds_read2_b32 v[130:131], v132 offset0:4 offset1:5
	ds_read2_b32 v[132:133], v132 offset0:6 offset1:7
	ds_read_b32 v147, v147
	ds_read_u16 v146, v146
	s_waitcnt lgkmcnt(14)
	v_ashrrev_i32_e32 v154, s3, v102
	v_ashrrev_i32_e32 v155, s3, v103
	;; [unrolled: 1-line block ×8, first 2 shown]
	v_bfe_u32 v162, v149, 4, 4
	v_lshrrev_b32_sdwa v164, v98, v149 dst_sel:DWORD dst_unused:UNUSED_PAD src0_sel:DWORD src1_sel:BYTE_1
	s_waitcnt lgkmcnt(12)
	v_bfe_u32 v165, v151, 4, 4
	v_lshrrev_b32_sdwa v167, v98, v151 dst_sel:DWORD dst_unused:UNUSED_PAD src0_sel:DWORD src1_sel:BYTE_1
	v_cvt_f32_f16_e32 v102, v148
	v_cvt_f32_f16_sdwa v104, v148 dst_sel:DWORD dst_unused:UNUSED_PAD src0_sel:WORD_1
	s_waitcnt lgkmcnt(4)
	v_bfe_u32 v148, v153, 4, 4
	s_waitcnt lgkmcnt(0)
	v_bfe_u32 v169, v146, 4, 4
	v_mov_b32_e32 v135, 0
	v_mov_b32_e32 v138, 0
	;; [unrolled: 1-line block ×4, first 2 shown]
	v_cvt_f32_f16_e32 v107, v147
	v_cvt_f32_f16_e32 v106, v152
	v_cvt_f32_f16_sdwa v109, v147 dst_sel:DWORD dst_unused:UNUSED_PAD src0_sel:WORD_1
	v_cvt_f32_f16_sdwa v108, v152 dst_sel:DWORD dst_unused:UNUSED_PAD src0_sel:WORD_1
	v_and_b32_e32 v147, 0x3030303, v154
	v_and_b32_e32 v152, 0x3030303, v155
	;; [unrolled: 1-line block ×8, first 2 shown]
	v_mul_lo_u32 v160, v162, s17
	v_mul_lo_u32 v161, v164, s17
	;; [unrolled: 1-line block ×6, first 2 shown]
	v_ashrrev_i32_e32 v110, s3, v110
	v_dot4c_i32_i8_e32 v135, v160, v6
	v_dot4c_i32_i8_e32 v138, v162, v6
	;; [unrolled: 1-line block ×4, first 2 shown]
	v_mov_b32_e32 v134, 0
	v_mov_b32_e32 v137, 0
	v_ashrrev_i32_e32 v111, s3, v111
	v_ashrrev_i32_e32 v114, s3, v114
	;; [unrolled: 1-line block ×4, first 2 shown]
	v_and_b32_e32 v110, 0x3030303, v110
	v_dot4c_i32_i8_e32 v135, v160, v7
	v_dot4c_i32_i8_e32 v138, v162, v7
	;; [unrolled: 1-line block ×4, first 2 shown]
	v_mov_b32_e32 v136, 0
	v_mov_b32_e32 v139, 0
	;; [unrolled: 1-line block ×4, first 2 shown]
	v_ashrrev_i32_e32 v112, s3, v112
	v_ashrrev_i32_e32 v115, s3, v115
	;; [unrolled: 1-line block ×4, first 2 shown]
	v_lshrrev_b32_sdwa v168, v98, v153 dst_sel:DWORD dst_unused:UNUSED_PAD src0_sel:DWORD src1_sel:BYTE_1
	v_ashrrev_i32_e32 v127, s3, v127
	v_ashrrev_i32_e32 v130, s3, v130
	v_lshrrev_b32_sdwa v171, v98, v146 dst_sel:DWORD dst_unused:UNUSED_PAD src0_sel:DWORD src1_sel:BYTE_1
	v_and_b32_e32 v111, 0x3030303, v111
	v_and_b32_e32 v114, 0x3030303, v114
	;; [unrolled: 1-line block ×4, first 2 shown]
	v_dot4c_i32_i8_e32 v134, v147, v6
	v_dot4c_i32_i8_e32 v137, v110, v6
	;; [unrolled: 1-line block ×6, first 2 shown]
	v_mov_b32_e32 v142, 0
	v_mov_b32_e32 v145, 0
	v_ashrrev_i32_e32 v113, s3, v113
	v_ashrrev_i32_e32 v116, s3, v116
	;; [unrolled: 1-line block ×6, first 2 shown]
	v_and_b32_e32 v112, 0x3030303, v112
	v_and_b32_e32 v115, 0x3030303, v115
	;; [unrolled: 1-line block ×4, first 2 shown]
	v_mul_lo_u32 v165, v168, s17
	v_and_b32_e32 v127, 0x3030303, v127
	v_and_b32_e32 v130, 0x3030303, v130
	v_mul_lo_u32 v168, v171, s17
	v_dot4c_i32_i8_e32 v136, v156, v2
	v_dot4c_i32_i8_e32 v139, v114, v2
	;; [unrolled: 1-line block ×10, first 2 shown]
	v_ashrrev_i32_e32 v117, s3, v117
	v_ashrrev_i32_e32 v121, s3, v121
	;; [unrolled: 1-line block ×5, first 2 shown]
	v_and_b32_e32 v113, 0x3030303, v113
	v_and_b32_e32 v116, 0x3030303, v116
	;; [unrolled: 1-line block ×6, first 2 shown]
	v_dot4c_i32_i8_e32 v142, v122, v2
	v_dot4c_i32_i8_e32 v145, v130, v2
	;; [unrolled: 1-line block ×12, first 2 shown]
	v_and_b32_e32 v163, 15, v149
	v_and_b32_e32 v166, 15, v151
	v_ashrrev_i32_e32 v125, s3, v125
	v_ashrrev_i32_e32 v133, s3, v133
	v_and_b32_e32 v117, 0x3030303, v117
	v_and_b32_e32 v121, 0x3030303, v121
	;; [unrolled: 1-line block ×5, first 2 shown]
	v_dot4c_i32_i8_e32 v142, v123, v3
	v_dot4c_i32_i8_e32 v145, v131, v3
	;; [unrolled: 1-line block ×12, first 2 shown]
	s_add_i32 s2, s2, 2
	v_and_b32_sdwa v149, v149, v99 dst_sel:DWORD dst_unused:UNUSED_PAD src0_sel:BYTE_1 src1_sel:DWORD
	v_and_b32_sdwa v151, v151, v99 dst_sel:DWORD dst_unused:UNUSED_PAD src0_sel:BYTE_1 src1_sel:DWORD
	v_cvt_f32_f16_e32 v103, v150
	v_cvt_f32_f16_sdwa v105, v150 dst_sel:DWORD dst_unused:UNUSED_PAD src0_sel:WORD_1
	v_and_b32_e32 v150, 15, v153
	v_and_b32_e32 v170, 15, v146
	s_add_i32 s3, s3, 2
	v_and_b32_e32 v125, 0x3030303, v125
	v_and_b32_e32 v133, 0x3030303, v133
	v_dot4c_i32_i8_e32 v142, v124, v4
	v_dot4c_i32_i8_e32 v145, v132, v4
	;; [unrolled: 1-line block ×6, first 2 shown]
	v_mul_lo_u32 v6, v163, v134
	v_mul_lo_u32 v8, v166, v137
	v_dot4c_i32_i8_e32 v135, v161, v4
	v_dot4c_i32_i8_e32 v138, v164, v4
	v_dot4c_i32_i8_e32 v141, v165, v4
	v_dot4c_i32_i8_e32 v144, v168, v4
	v_and_b32_sdwa v153, v153, v99 dst_sel:DWORD dst_unused:UNUSED_PAD src0_sel:BYTE_1 src1_sel:DWORD
	v_and_b32_sdwa v146, v146, v99 dst_sel:DWORD dst_unused:UNUSED_PAD src0_sel:BYTE_1 src1_sel:DWORD
	s_cmp_lt_u32 s22, 14
	v_dot4c_i32_i8_e32 v142, v125, v5
	v_dot4c_i32_i8_e32 v145, v133, v5
	v_mul_lo_u32 v110, v150, v140
	v_mul_lo_u32 v112, v170, v143
	v_mad_u64_u32 v[6:7], s[22:23], v149, v136, v[6:7]
	v_mad_u64_u32 v[8:9], s[22:23], v151, v139, v[8:9]
	v_dot4c_i32_i8_e32 v135, v161, v5
	v_dot4c_i32_i8_e32 v138, v164, v5
	;; [unrolled: 1-line block ×4, first 2 shown]
	v_mad_u64_u32 v[110:111], s[22:23], v153, v142, v[110:111]
	v_mad_u64_u32 v[2:3], s[22:23], v146, v145, v[112:113]
	v_cvt_f32_i32_e32 v7, v8
	v_cvt_f32_i32_e32 v5, v138
	;; [unrolled: 1-line block ×8, first 2 shown]
	v_pk_mul_f32 v[4:5], v[104:105], v[4:5]
	v_pk_mul_f32 v[8:9], v[108:109], v[8:9]
	v_pk_fma_f32 v[4:5], v[102:103], v[6:7], v[4:5] neg_lo:[0,0,1] neg_hi:[0,0,1]
	v_pk_fma_f32 v[2:3], v[106:107], v[2:3], v[8:9] neg_lo:[0,0,1] neg_hi:[0,0,1]
	v_add_u32_e32 v101, 4, v101
	v_add_u32_e32 v100, 32, v100
	v_pk_fma_f32 v[66:67], v[70:71], v[4:5], v[66:67] op_sel_hi:[0,1,1]
	v_pk_fma_f32 v[68:69], v[70:71], v[2:3], v[68:69] op_sel_hi:[0,1,1]
	s_cbranch_scc1 .LBB207_20
; %bb.21:                               ;   in Loop: Header=BB207_5 Depth=1
	s_or_b32 s2, s29, 0x100
	s_cmp_ge_i32 s2, s15
	s_barrier
	s_cbranch_scc1 .LBB207_4
; %bb.22:                               ;   in Loop: Header=BB207_5 Depth=1
	v_add_u32_e32 v2, s28, v77
	v_cmp_gt_i32_e64 s[2:3], s5, v2
	s_and_b64 s[22:23], s[0:1], s[2:3]
	s_and_saveexec_b64 s[2:3], s[22:23]
	s_cbranch_execz .LBB207_24
; %bb.23:                               ;   in Loop: Header=BB207_5 Depth=1
	v_add_u32_e32 v2, v64, v2
	v_mad_i64_i32 v[2:3], s[22:23], v2, 36, v[62:63]
	global_load_dword v2, v[2:3], off offset:4
	s_waitcnt vmcnt(0)
	ds_write_b32 v51, v2
.LBB207_24:                             ;   in Loop: Header=BB207_5 Depth=1
	s_or_b64 exec, exec, s[2:3]
	s_and_saveexec_b64 s[22:23], vcc
	s_cbranch_execz .LBB207_27
; %bb.25:                               ;   in Loop: Header=BB207_5 Depth=1
	v_or_b32_e32 v2, s28, v11
	v_or_b32_e32 v3, 8, v2
	v_cmp_gt_i32_e64 s[2:3], s5, v3
	s_and_b64 s[2:3], s[0:1], s[2:3]
	s_and_b64 exec, exec, s[2:3]
	s_cbranch_execz .LBB207_27
; %bb.26:                               ;   in Loop: Header=BB207_5 Depth=1
	v_ashrrev_i32_e32 v3, 31, v2
	v_lshl_add_u64 v[2:3], v[64:65], 0, v[2:3]
	v_mad_u64_u32 v[4:5], s[2:3], v2, 36, s[18:19]
	v_mad_i32_i24 v5, v3, 36, v5
	global_load_dword v2, v[4:5], off
	s_waitcnt vmcnt(0)
	v_cvt_f32_f16_e32 v2, v2
	ds_write_b32 v55, v2
.LBB207_27:                             ;   in Loop: Header=BB207_5 Depth=1
	s_or_b64 exec, exec, s[22:23]
	s_mov_b32 s2, 16
	s_mov_b32 s3, 14
	v_mov_b32_e32 v100, v84
	v_mov_b32_e32 v101, v85
	s_waitcnt lgkmcnt(0)
	s_barrier
.LBB207_28:                             ;   Parent Loop BB207_5 Depth=1
                                        ; =>  This Inner Loop Header: Depth=2
	s_add_i32 s23, s3, 2
	s_and_b32 s30, s2, -16
	s_and_b32 s31, s23, 0x3ffffff8
	s_lshr_b32 s33, s23, 2
	s_add_i32 s30, s3, s30
	s_lshl_b32 s31, s31, 2
	s_and_b32 s33, s33, 0x3ffffffc
	v_add_u32_e32 v114, s30, v93
	v_add_u32_e32 v118, s30, v92
	;; [unrolled: 1-line block ×12, first 2 shown]
	ds_read_b32 v70, v101
	ds_read_b128 v[6:9], v100
	ds_read_b128 v[2:5], v100 offset:16
	ds_read2_b32 v[102:103], v108 offset1:1
	ds_read2_b32 v[104:105], v108 offset0:2 offset1:3
	ds_read2_b32 v[106:107], v108 offset0:4 offset1:5
	;; [unrolled: 1-line block ×3, first 2 shown]
	ds_read2_b32 v[110:111], v116 offset1:1
	ds_read2_b32 v[112:113], v116 offset0:2 offset1:3
	ds_read_b32 v148, v115
	ds_read_u16 v149, v114 offset:16882
	ds_read2_b32 v[114:115], v116 offset0:4 offset1:5
	ds_read2_b32 v[116:117], v116 offset0:6 offset1:7
	ds_read_b32 v150, v119
	ds_read_u16 v151, v118 offset:17906
	ds_read2_b32 v[118:119], v124 offset1:1
	ds_read2_b32 v[120:121], v124 offset0:2 offset1:3
	ds_read2_b32 v[122:123], v124 offset0:4 offset1:5
	;; [unrolled: 1-line block ×3, first 2 shown]
	ds_read2_b32 v[126:127], v132 offset1:1
	ds_read2_b32 v[128:129], v132 offset0:2 offset1:3
	ds_read_b32 v152, v131
	ds_read_u16 v153, v130 offset:18930
	ds_read2_b32 v[130:131], v132 offset0:4 offset1:5
	ds_read2_b32 v[132:133], v132 offset0:6 offset1:7
	ds_read_b32 v147, v147
	ds_read_u16 v146, v146 offset:19954
	s_add_i32 s22, s3, -14
	s_waitcnt lgkmcnt(14)
	v_ashrrev_i32_e32 v154, s22, v102
	v_ashrrev_i32_e32 v155, s22, v103
	;; [unrolled: 1-line block ×8, first 2 shown]
	v_bfe_u32 v162, v149, 4, 4
	v_lshrrev_b32_sdwa v164, v98, v149 dst_sel:DWORD dst_unused:UNUSED_PAD src0_sel:DWORD src1_sel:BYTE_1
	s_waitcnt lgkmcnt(12)
	v_bfe_u32 v165, v151, 4, 4
	v_lshrrev_b32_sdwa v167, v98, v151 dst_sel:DWORD dst_unused:UNUSED_PAD src0_sel:DWORD src1_sel:BYTE_1
	v_cvt_f32_f16_e32 v102, v148
	v_cvt_f32_f16_sdwa v104, v148 dst_sel:DWORD dst_unused:UNUSED_PAD src0_sel:WORD_1
	s_waitcnt lgkmcnt(4)
	v_bfe_u32 v148, v153, 4, 4
	s_waitcnt lgkmcnt(0)
	v_bfe_u32 v169, v146, 4, 4
	v_mov_b32_e32 v135, 0
	v_mov_b32_e32 v138, 0
	;; [unrolled: 1-line block ×4, first 2 shown]
	v_cvt_f32_f16_e32 v107, v147
	v_cvt_f32_f16_e32 v106, v152
	v_cvt_f32_f16_sdwa v109, v147 dst_sel:DWORD dst_unused:UNUSED_PAD src0_sel:WORD_1
	v_cvt_f32_f16_sdwa v108, v152 dst_sel:DWORD dst_unused:UNUSED_PAD src0_sel:WORD_1
	v_and_b32_e32 v147, 0x3030303, v154
	v_and_b32_e32 v152, 0x3030303, v155
	;; [unrolled: 1-line block ×8, first 2 shown]
	v_mul_lo_u32 v160, v162, s17
	v_mul_lo_u32 v161, v164, s17
	;; [unrolled: 1-line block ×6, first 2 shown]
	v_ashrrev_i32_e32 v110, s22, v110
	v_dot4c_i32_i8_e32 v135, v160, v6
	v_dot4c_i32_i8_e32 v138, v162, v6
	;; [unrolled: 1-line block ×4, first 2 shown]
	v_mov_b32_e32 v134, 0
	v_mov_b32_e32 v137, 0
	v_ashrrev_i32_e32 v111, s22, v111
	v_ashrrev_i32_e32 v114, s22, v114
	;; [unrolled: 1-line block ×4, first 2 shown]
	v_and_b32_e32 v110, 0x3030303, v110
	v_dot4c_i32_i8_e32 v135, v160, v7
	v_dot4c_i32_i8_e32 v138, v162, v7
	;; [unrolled: 1-line block ×4, first 2 shown]
	v_mov_b32_e32 v136, 0
	v_mov_b32_e32 v139, 0
	;; [unrolled: 1-line block ×4, first 2 shown]
	v_ashrrev_i32_e32 v112, s22, v112
	v_ashrrev_i32_e32 v115, s22, v115
	;; [unrolled: 1-line block ×4, first 2 shown]
	v_lshrrev_b32_sdwa v168, v98, v153 dst_sel:DWORD dst_unused:UNUSED_PAD src0_sel:DWORD src1_sel:BYTE_1
	v_ashrrev_i32_e32 v127, s22, v127
	v_ashrrev_i32_e32 v130, s22, v130
	v_lshrrev_b32_sdwa v171, v98, v146 dst_sel:DWORD dst_unused:UNUSED_PAD src0_sel:DWORD src1_sel:BYTE_1
	v_and_b32_e32 v111, 0x3030303, v111
	v_and_b32_e32 v114, 0x3030303, v114
	;; [unrolled: 1-line block ×4, first 2 shown]
	v_dot4c_i32_i8_e32 v134, v147, v6
	v_dot4c_i32_i8_e32 v137, v110, v6
	;; [unrolled: 1-line block ×6, first 2 shown]
	v_mov_b32_e32 v142, 0
	v_mov_b32_e32 v145, 0
	v_ashrrev_i32_e32 v113, s22, v113
	v_ashrrev_i32_e32 v116, s22, v116
	;; [unrolled: 1-line block ×6, first 2 shown]
	v_and_b32_e32 v112, 0x3030303, v112
	v_and_b32_e32 v115, 0x3030303, v115
	;; [unrolled: 1-line block ×4, first 2 shown]
	v_mul_lo_u32 v165, v168, s17
	v_and_b32_e32 v127, 0x3030303, v127
	v_and_b32_e32 v130, 0x3030303, v130
	v_mul_lo_u32 v168, v171, s17
	v_dot4c_i32_i8_e32 v136, v156, v2
	v_dot4c_i32_i8_e32 v139, v114, v2
	;; [unrolled: 1-line block ×10, first 2 shown]
	v_ashrrev_i32_e32 v117, s22, v117
	v_ashrrev_i32_e32 v121, s22, v121
	v_ashrrev_i32_e32 v124, s22, v124
	v_ashrrev_i32_e32 v129, s22, v129
	v_ashrrev_i32_e32 v132, s22, v132
	v_and_b32_e32 v113, 0x3030303, v113
	v_and_b32_e32 v116, 0x3030303, v116
	;; [unrolled: 1-line block ×6, first 2 shown]
	v_dot4c_i32_i8_e32 v142, v122, v2
	v_dot4c_i32_i8_e32 v145, v130, v2
	v_dot4c_i32_i8_e32 v136, v157, v3
	v_dot4c_i32_i8_e32 v139, v115, v3
	v_dot4c_i32_i8_e32 v140, v119, v7
	v_dot4c_i32_i8_e32 v143, v127, v7
	v_dot4c_i32_i8_e32 v134, v154, v8
	v_dot4c_i32_i8_e32 v137, v112, v8
	v_dot4c_i32_i8_e32 v135, v161, v2
	v_dot4c_i32_i8_e32 v138, v164, v2
	v_dot4c_i32_i8_e32 v141, v165, v2
	v_dot4c_i32_i8_e32 v144, v168, v2
	v_and_b32_e32 v163, 15, v149
	v_and_b32_e32 v166, 15, v151
	v_ashrrev_i32_e32 v125, s22, v125
	v_ashrrev_i32_e32 v133, s22, v133
	v_and_b32_e32 v117, 0x3030303, v117
	v_and_b32_e32 v121, 0x3030303, v121
	;; [unrolled: 1-line block ×5, first 2 shown]
	v_dot4c_i32_i8_e32 v142, v123, v3
	v_dot4c_i32_i8_e32 v145, v131, v3
	;; [unrolled: 1-line block ×12, first 2 shown]
	s_add_i32 s2, s2, 2
	v_and_b32_sdwa v149, v149, v99 dst_sel:DWORD dst_unused:UNUSED_PAD src0_sel:BYTE_1 src1_sel:DWORD
	v_and_b32_sdwa v151, v151, v99 dst_sel:DWORD dst_unused:UNUSED_PAD src0_sel:BYTE_1 src1_sel:DWORD
	v_cvt_f32_f16_e32 v103, v150
	v_cvt_f32_f16_sdwa v105, v150 dst_sel:DWORD dst_unused:UNUSED_PAD src0_sel:WORD_1
	v_and_b32_e32 v150, 15, v153
	v_and_b32_e32 v170, 15, v146
	;; [unrolled: 1-line block ×4, first 2 shown]
	v_dot4c_i32_i8_e32 v142, v124, v4
	v_dot4c_i32_i8_e32 v145, v132, v4
	;; [unrolled: 1-line block ×6, first 2 shown]
	v_mul_lo_u32 v6, v166, v137
	v_mul_lo_u32 v8, v163, v134
	v_dot4c_i32_i8_e32 v135, v161, v4
	v_dot4c_i32_i8_e32 v138, v164, v4
	;; [unrolled: 1-line block ×4, first 2 shown]
	s_mov_b32 s3, s23
	s_cmp_lt_u32 s23, 22
	v_and_b32_sdwa v153, v153, v99 dst_sel:DWORD dst_unused:UNUSED_PAD src0_sel:BYTE_1 src1_sel:DWORD
	v_and_b32_sdwa v146, v146, v99 dst_sel:DWORD dst_unused:UNUSED_PAD src0_sel:BYTE_1 src1_sel:DWORD
	v_dot4c_i32_i8_e32 v142, v125, v5
	v_dot4c_i32_i8_e32 v145, v133, v5
	v_mul_lo_u32 v2, v170, v143
	v_mul_lo_u32 v110, v150, v140
	v_mad_u64_u32 v[8:9], s[22:23], v149, v136, v[8:9]
	v_mad_u64_u32 v[6:7], s[22:23], v151, v139, v[6:7]
	v_dot4c_i32_i8_e32 v135, v161, v5
	v_dot4c_i32_i8_e32 v138, v164, v5
	v_dot4c_i32_i8_e32 v141, v165, v5
	v_dot4c_i32_i8_e32 v144, v168, v5
	v_mad_u64_u32 v[110:111], s[22:23], v153, v142, v[110:111]
	v_mad_u64_u32 v[2:3], s[22:23], v146, v145, v[2:3]
	v_cvt_f32_i32_e32 v7, v6
	v_cvt_f32_i32_e32 v6, v8
	;; [unrolled: 1-line block ×8, first 2 shown]
	v_pk_mul_f32 v[4:5], v[104:105], v[4:5]
	v_pk_mul_f32 v[8:9], v[108:109], v[8:9]
	v_pk_fma_f32 v[4:5], v[102:103], v[6:7], v[4:5] neg_lo:[0,0,1] neg_hi:[0,0,1]
	v_pk_fma_f32 v[2:3], v[106:107], v[2:3], v[8:9] neg_lo:[0,0,1] neg_hi:[0,0,1]
	v_add_u32_e32 v101, 4, v101
	v_add_u32_e32 v100, 32, v100
	v_pk_fma_f32 v[66:67], v[70:71], v[4:5], v[66:67] op_sel_hi:[0,1,1]
	v_pk_fma_f32 v[68:69], v[70:71], v[2:3], v[68:69] op_sel_hi:[0,1,1]
	s_cbranch_scc1 .LBB207_28
; %bb.29:                               ;   in Loop: Header=BB207_5 Depth=1
	s_or_b32 s2, s29, 0x180
	s_cmp_ge_i32 s2, s15
	s_barrier
	s_cbranch_scc1 .LBB207_4
; %bb.30:                               ;   in Loop: Header=BB207_5 Depth=1
	v_add_u32_e32 v2, s28, v78
	v_cmp_gt_i32_e64 s[2:3], s5, v2
	s_and_b64 s[22:23], s[0:1], s[2:3]
	s_and_saveexec_b64 s[2:3], s[22:23]
	s_cbranch_execz .LBB207_32
; %bb.31:                               ;   in Loop: Header=BB207_5 Depth=1
	v_add_u32_e32 v2, v64, v2
	v_mad_i64_i32 v[2:3], s[22:23], v2, 36, v[62:63]
	global_load_dword v2, v[2:3], off offset:4
	s_waitcnt vmcnt(0)
	ds_write_b32 v51, v2
.LBB207_32:                             ;   in Loop: Header=BB207_5 Depth=1
	s_or_b64 exec, exec, s[2:3]
	s_and_saveexec_b64 s[22:23], vcc
	s_cbranch_execz .LBB207_35
; %bb.33:                               ;   in Loop: Header=BB207_5 Depth=1
	v_or_b32_e32 v2, s28, v11
	v_or_b32_e32 v3, 12, v2
	v_cmp_gt_i32_e64 s[2:3], s5, v3
	s_and_b64 s[2:3], s[0:1], s[2:3]
	s_and_b64 exec, exec, s[2:3]
	s_cbranch_execz .LBB207_35
; %bb.34:                               ;   in Loop: Header=BB207_5 Depth=1
	v_ashrrev_i32_e32 v3, 31, v2
	v_lshl_add_u64 v[2:3], v[64:65], 0, v[2:3]
	v_mad_u64_u32 v[4:5], s[2:3], v2, 36, s[20:21]
	v_mad_i32_i24 v5, v3, 36, v5
	global_load_dword v2, v[4:5], off
	s_waitcnt vmcnt(0)
	v_cvt_f32_f16_e32 v2, v2
	ds_write_b32 v55, v2
.LBB207_35:                             ;   in Loop: Header=BB207_5 Depth=1
	s_or_b64 exec, exec, s[22:23]
	s_mov_b32 s2, 24
	s_mov_b32 s3, 22
	v_mov_b32_e32 v100, v84
	v_mov_b32_e32 v101, v85
	s_waitcnt lgkmcnt(0)
	s_barrier
.LBB207_36:                             ;   Parent Loop BB207_5 Depth=1
                                        ; =>  This Inner Loop Header: Depth=2
	s_add_i32 s23, s3, 2
	s_and_b32 s28, s2, -16
	s_and_b32 s29, s23, 0x3ffffff8
	s_lshr_b32 s30, s23, 2
	s_add_i32 s28, s3, s28
	s_lshl_b32 s29, s29, 2
	s_and_b32 s30, s30, 0x3ffffffc
	v_add_u32_e32 v114, s28, v93
	v_add_u32_e32 v118, s28, v92
	;; [unrolled: 1-line block ×12, first 2 shown]
	ds_read_b32 v70, v101
	ds_read_b128 v[6:9], v100
	ds_read_b128 v[2:5], v100 offset:16
	ds_read2_b32 v[102:103], v108 offset1:1
	ds_read2_b32 v[104:105], v108 offset0:2 offset1:3
	ds_read2_b32 v[106:107], v108 offset0:4 offset1:5
	;; [unrolled: 1-line block ×3, first 2 shown]
	ds_read2_b32 v[110:111], v116 offset1:1
	ds_read2_b32 v[112:113], v116 offset0:2 offset1:3
	ds_read_b32 v148, v115
	ds_read_u16 v149, v114 offset:16882
	ds_read2_b32 v[114:115], v116 offset0:4 offset1:5
	ds_read2_b32 v[116:117], v116 offset0:6 offset1:7
	ds_read_b32 v150, v119
	ds_read_u16 v151, v118 offset:17906
	ds_read2_b32 v[118:119], v124 offset1:1
	ds_read2_b32 v[120:121], v124 offset0:2 offset1:3
	ds_read2_b32 v[122:123], v124 offset0:4 offset1:5
	ds_read2_b32 v[124:125], v124 offset0:6 offset1:7
	ds_read2_b32 v[126:127], v132 offset1:1
	ds_read2_b32 v[128:129], v132 offset0:2 offset1:3
	ds_read_b32 v152, v131
	ds_read_u16 v153, v130 offset:18930
	ds_read2_b32 v[130:131], v132 offset0:4 offset1:5
	ds_read2_b32 v[132:133], v132 offset0:6 offset1:7
	ds_read_b32 v147, v147
	ds_read_u16 v146, v146 offset:19954
	s_sub_i32 s22, s3, 22
	s_waitcnt lgkmcnt(14)
	v_ashrrev_i32_e32 v154, s22, v102
	v_ashrrev_i32_e32 v156, s22, v104
	;; [unrolled: 1-line block ×4, first 2 shown]
	v_bfe_u32 v162, v149, 4, 4
	s_waitcnt lgkmcnt(12)
	v_bfe_u32 v164, v151, 4, 4
	v_cvt_f32_f16_e32 v102, v148
	v_cvt_f32_f16_sdwa v104, v148 dst_sel:DWORD dst_unused:UNUSED_PAD src0_sel:WORD_1
	s_waitcnt lgkmcnt(4)
	v_bfe_u32 v148, v153, 4, 4
	s_waitcnt lgkmcnt(0)
	v_bfe_u32 v168, v146, 4, 4
	v_mov_b32_e32 v138, 0
	v_mov_b32_e32 v139, 0
	;; [unrolled: 1-line block ×4, first 2 shown]
	v_ashrrev_i32_e32 v159, s22, v107
	v_ashrrev_i32_e32 v161, s22, v109
	v_cvt_f32_f16_e32 v107, v147
	v_cvt_f32_f16_sdwa v109, v147 dst_sel:DWORD dst_unused:UNUSED_PAD src0_sel:WORD_1
	v_and_b32_e32 v147, 0x3030303, v154
	v_and_b32_e32 v154, 0x3030303, v156
	;; [unrolled: 1-line block ×4, first 2 shown]
	v_mul_lo_u32 v160, v162, s17
	v_mul_lo_u32 v162, v164, s17
	;; [unrolled: 1-line block ×4, first 2 shown]
	v_ashrrev_i32_e32 v110, s22, v110
	v_dot4c_i32_i8_e32 v138, v160, v6
	v_dot4c_i32_i8_e32 v139, v162, v6
	;; [unrolled: 1-line block ×4, first 2 shown]
	v_mov_b32_e32 v134, 0
	v_mov_b32_e32 v136, 0
	v_ashrrev_i32_e32 v155, s22, v103
	v_ashrrev_i32_e32 v111, s22, v111
	;; [unrolled: 1-line block ×5, first 2 shown]
	v_and_b32_e32 v110, 0x3030303, v110
	v_dot4c_i32_i8_e32 v138, v160, v7
	v_dot4c_i32_i8_e32 v139, v162, v7
	;; [unrolled: 1-line block ×4, first 2 shown]
	v_mov_b32_e32 v135, 0
	v_mov_b32_e32 v137, 0
	;; [unrolled: 1-line block ×4, first 2 shown]
	v_ashrrev_i32_e32 v157, s22, v105
	v_ashrrev_i32_e32 v112, s22, v112
	;; [unrolled: 1-line block ×3, first 2 shown]
	v_lshrrev_b32_sdwa v163, v98, v149 dst_sel:DWORD dst_unused:UNUSED_PAD src0_sel:DWORD src1_sel:BYTE_1
	v_lshrrev_b32_sdwa v167, v98, v151 dst_sel:DWORD dst_unused:UNUSED_PAD src0_sel:DWORD src1_sel:BYTE_1
	v_cvt_f32_f16_e32 v103, v150
	v_cvt_f32_f16_sdwa v105, v150 dst_sel:DWORD dst_unused:UNUSED_PAD src0_sel:WORD_1
	v_ashrrev_i32_e32 v119, s22, v119
	v_ashrrev_i32_e32 v122, s22, v122
	;; [unrolled: 1-line block ×4, first 2 shown]
	v_lshrrev_b32_sdwa v150, v98, v153 dst_sel:DWORD dst_unused:UNUSED_PAD src0_sel:DWORD src1_sel:BYTE_1
	v_lshrrev_b32_sdwa v171, v98, v146 dst_sel:DWORD dst_unused:UNUSED_PAD src0_sel:DWORD src1_sel:BYTE_1
	v_cvt_f32_f16_e32 v106, v152
	v_cvt_f32_f16_sdwa v108, v152 dst_sel:DWORD dst_unused:UNUSED_PAD src0_sel:WORD_1
	v_and_b32_e32 v152, 0x3030303, v155
	v_and_b32_e32 v111, 0x3030303, v111
	;; [unrolled: 1-line block ×5, first 2 shown]
	v_dot4c_i32_i8_e32 v134, v147, v6
	v_dot4c_i32_i8_e32 v136, v110, v6
	;; [unrolled: 1-line block ×6, first 2 shown]
	v_mov_b32_e32 v141, 0
	v_mov_b32_e32 v143, 0
	v_ashrrev_i32_e32 v113, s22, v113
	v_ashrrev_i32_e32 v116, s22, v116
	;; [unrolled: 1-line block ×6, first 2 shown]
	v_and_b32_e32 v155, 0x3030303, v157
	v_and_b32_e32 v157, 0x3030303, v159
	v_and_b32_e32 v159, 0x3030303, v161
	v_and_b32_e32 v112, 0x3030303, v112
	v_and_b32_e32 v115, 0x3030303, v115
	v_mul_lo_u32 v161, v163, s17
	v_mul_lo_u32 v163, v167, s17
	v_and_b32_e32 v119, 0x3030303, v119
	v_and_b32_e32 v122, 0x3030303, v122
	;; [unrolled: 1-line block ×4, first 2 shown]
	v_mul_lo_u32 v150, v150, s17
	v_mul_lo_u32 v167, v171, s17
	v_dot4c_i32_i8_e32 v135, v156, v2
	v_dot4c_i32_i8_e32 v137, v114, v2
	;; [unrolled: 1-line block ×10, first 2 shown]
	v_ashrrev_i32_e32 v117, s22, v117
	v_ashrrev_i32_e32 v121, s22, v121
	;; [unrolled: 1-line block ×5, first 2 shown]
	v_and_b32_e32 v113, 0x3030303, v113
	v_and_b32_e32 v116, 0x3030303, v116
	;; [unrolled: 1-line block ×6, first 2 shown]
	v_dot4c_i32_i8_e32 v141, v122, v2
	v_dot4c_i32_i8_e32 v143, v130, v2
	;; [unrolled: 1-line block ×12, first 2 shown]
	v_and_b32_e32 v165, 15, v149
	v_and_b32_e32 v166, 15, v151
	v_ashrrev_i32_e32 v125, s22, v125
	v_ashrrev_i32_e32 v133, s22, v133
	v_and_b32_e32 v117, 0x3030303, v117
	v_and_b32_e32 v121, 0x3030303, v121
	;; [unrolled: 1-line block ×5, first 2 shown]
	v_dot4c_i32_i8_e32 v141, v123, v3
	v_dot4c_i32_i8_e32 v143, v131, v3
	;; [unrolled: 1-line block ×12, first 2 shown]
	s_add_i32 s2, s2, 2
	v_and_b32_sdwa v151, v151, v99 dst_sel:DWORD dst_unused:UNUSED_PAD src0_sel:BYTE_1 src1_sel:DWORD
	v_and_b32_sdwa v149, v149, v99 dst_sel:DWORD dst_unused:UNUSED_PAD src0_sel:BYTE_1 src1_sel:DWORD
	v_and_b32_e32 v169, 15, v153
	v_and_b32_e32 v170, 15, v146
	;; [unrolled: 1-line block ×4, first 2 shown]
	v_dot4c_i32_i8_e32 v141, v124, v4
	v_dot4c_i32_i8_e32 v143, v132, v4
	;; [unrolled: 1-line block ×6, first 2 shown]
	v_mul_lo_u32 v6, v166, v136
	v_mul_lo_u32 v8, v165, v134
	v_dot4c_i32_i8_e32 v138, v161, v4
	v_dot4c_i32_i8_e32 v139, v163, v4
	;; [unrolled: 1-line block ×4, first 2 shown]
	s_mov_b32 s3, s23
	s_cmp_lt_u32 s23, 30
	v_and_b32_sdwa v146, v146, v99 dst_sel:DWORD dst_unused:UNUSED_PAD src0_sel:BYTE_1 src1_sel:DWORD
	v_and_b32_sdwa v153, v153, v99 dst_sel:DWORD dst_unused:UNUSED_PAD src0_sel:BYTE_1 src1_sel:DWORD
	v_dot4c_i32_i8_e32 v141, v125, v5
	v_dot4c_i32_i8_e32 v143, v133, v5
	v_mul_lo_u32 v110, v170, v142
	v_mul_lo_u32 v112, v169, v140
	v_mad_u64_u32 v[8:9], s[22:23], v149, v135, v[8:9]
	v_mad_u64_u32 v[6:7], s[22:23], v151, v137, v[6:7]
	v_dot4c_i32_i8_e32 v138, v161, v5
	v_dot4c_i32_i8_e32 v139, v163, v5
	v_dot4c_i32_i8_e32 v144, v150, v5
	v_dot4c_i32_i8_e32 v145, v167, v5
	v_mad_u64_u32 v[2:3], s[22:23], v153, v141, v[112:113]
	v_mad_u64_u32 v[110:111], s[22:23], v146, v143, v[110:111]
	v_cvt_f32_i32_e32 v7, v6
	v_cvt_f32_i32_e32 v6, v8
	;; [unrolled: 1-line block ×8, first 2 shown]
	v_pk_mul_f32 v[4:5], v[104:105], v[4:5]
	v_pk_mul_f32 v[8:9], v[108:109], v[8:9]
	v_pk_fma_f32 v[4:5], v[102:103], v[6:7], v[4:5] neg_lo:[0,0,1] neg_hi:[0,0,1]
	v_pk_fma_f32 v[2:3], v[106:107], v[2:3], v[8:9] neg_lo:[0,0,1] neg_hi:[0,0,1]
	v_add_u32_e32 v101, 4, v101
	v_add_u32_e32 v100, 32, v100
	v_pk_fma_f32 v[66:67], v[70:71], v[4:5], v[66:67] op_sel_hi:[0,1,1]
	v_pk_fma_f32 v[68:69], v[70:71], v[2:3], v[68:69] op_sel_hi:[0,1,1]
	s_cbranch_scc1 .LBB207_36
; %bb.37:                               ;   in Loop: Header=BB207_5 Depth=1
	s_barrier
	s_branch .LBB207_4
.LBB207_38:
	v_mov_b32_e32 v2, 0
	s_mul_i32 s0, s7, s4
	s_waitcnt vmcnt(0)
	v_cmp_gt_i32_e32 vcc, s0, v1
	s_and_saveexec_b64 s[0:1], vcc
	s_cbranch_execnz .LBB207_41
.LBB207_39:
	s_endpgm
.LBB207_40:
	v_cvt_f16_f32_e32 v2, v67
	v_cvt_f16_f32_e32 v3, v66
	;; [unrolled: 1-line block ×4, first 2 shown]
	v_pack_b32_f16 v2, v3, v2
	v_pack_b32_f16 v3, v5, v4
	s_mul_i32 s0, s7, s4
	v_cmp_gt_i32_e32 vcc, s0, v1
	s_and_saveexec_b64 s[0:1], vcc
	s_cbranch_execz .LBB207_39
.LBB207_41:
	v_and_b32_e32 v0, 0x3ff, v0
	v_add_u32_e32 v4, s24, v0
	v_mul_lo_u32 v0, v1, s6
	v_cmp_gt_u32_e32 vcc, s6, v4
	s_and_saveexec_b64 s[0:1], vcc
	s_cbranch_execz .LBB207_43
; %bb.42:
	v_add_u32_e32 v6, v0, v4
	v_mov_b32_e32 v7, 0
	v_lshl_add_u64 v[6:7], v[6:7], 1, s[12:13]
	global_store_short v[6:7], v2, off
.LBB207_43:
	s_or_b64 exec, exec, s[0:1]
	v_add_u32_e32 v1, 32, v4
	v_cmp_gt_u32_e32 vcc, s6, v1
	s_and_saveexec_b64 s[0:1], vcc
	s_cbranch_execz .LBB207_45
; %bb.44:
	v_add_u32_e32 v6, v0, v1
	v_mov_b32_e32 v7, 0
	v_lshl_add_u64 v[6:7], v[6:7], 1, s[12:13]
	global_store_short_d16_hi v[6:7], v2, off
.LBB207_45:
	s_or_b64 exec, exec, s[0:1]
	v_add_u32_e32 v1, 64, v4
	v_cmp_gt_u32_e32 vcc, s6, v1
	s_and_saveexec_b64 s[0:1], vcc
	s_cbranch_execz .LBB207_47
; %bb.46:
	v_add_u32_e32 v6, v0, v1
	v_mov_b32_e32 v7, 0
	v_lshl_add_u64 v[6:7], v[6:7], 1, s[12:13]
	global_store_short v[6:7], v3, off
.LBB207_47:
	s_or_b64 exec, exec, s[0:1]
	v_add_u32_e32 v1, 0x60, v4
	v_cmp_gt_u32_e32 vcc, s6, v1
	s_and_b64 exec, exec, vcc
	s_cbranch_execz .LBB207_39
; %bb.48:
	v_add_u32_e32 v0, v0, v1
	v_mov_b32_e32 v1, 0
	v_lshl_add_u64 v[0:1], v[0:1], 1, s[12:13]
	global_store_short_d16_hi v[0:1], v3, off
	s_endpgm
	.section	.rodata,"a",@progbits
	.p2align	6, 0x0
	.amdhsa_kernel _ZL8moe_q2_KIN3c104HalfELb0EEvPKvS3_PT_PKiS7_S7_iiiiiii
		.amdhsa_group_segment_fixed_size 23328
		.amdhsa_private_segment_fixed_size 0
		.amdhsa_kernarg_size 76
		.amdhsa_user_sgpr_count 2
		.amdhsa_user_sgpr_dispatch_ptr 0
		.amdhsa_user_sgpr_queue_ptr 0
		.amdhsa_user_sgpr_kernarg_segment_ptr 1
		.amdhsa_user_sgpr_dispatch_id 0
		.amdhsa_user_sgpr_kernarg_preload_length 0
		.amdhsa_user_sgpr_kernarg_preload_offset 0
		.amdhsa_user_sgpr_private_segment_size 0
		.amdhsa_uses_dynamic_stack 0
		.amdhsa_enable_private_segment 0
		.amdhsa_system_sgpr_workgroup_id_x 1
		.amdhsa_system_sgpr_workgroup_id_y 1
		.amdhsa_system_sgpr_workgroup_id_z 0
		.amdhsa_system_sgpr_workgroup_info 0
		.amdhsa_system_vgpr_workitem_id 1
		.amdhsa_next_free_vgpr 172
		.amdhsa_next_free_sgpr 34
		.amdhsa_accum_offset 172
		.amdhsa_reserve_vcc 1
		.amdhsa_float_round_mode_32 0
		.amdhsa_float_round_mode_16_64 0
		.amdhsa_float_denorm_mode_32 3
		.amdhsa_float_denorm_mode_16_64 3
		.amdhsa_dx10_clamp 1
		.amdhsa_ieee_mode 1
		.amdhsa_fp16_overflow 0
		.amdhsa_tg_split 0
		.amdhsa_exception_fp_ieee_invalid_op 0
		.amdhsa_exception_fp_denorm_src 0
		.amdhsa_exception_fp_ieee_div_zero 0
		.amdhsa_exception_fp_ieee_overflow 0
		.amdhsa_exception_fp_ieee_underflow 0
		.amdhsa_exception_fp_ieee_inexact 0
		.amdhsa_exception_int_div_zero 0
	.end_amdhsa_kernel
	.section	.text._ZL8moe_q2_KIN3c104HalfELb0EEvPKvS3_PT_PKiS7_S7_iiiiiii,"axG",@progbits,_ZL8moe_q2_KIN3c104HalfELb0EEvPKvS3_PT_PKiS7_S7_iiiiiii,comdat
.Lfunc_end207:
	.size	_ZL8moe_q2_KIN3c104HalfELb0EEvPKvS3_PT_PKiS7_S7_iiiiiii, .Lfunc_end207-_ZL8moe_q2_KIN3c104HalfELb0EEvPKvS3_PT_PKiS7_S7_iiiiiii
                                        ; -- End function
	.section	.AMDGPU.csdata,"",@progbits
; Kernel info:
; codeLenInByte = 8648
; NumSgprs: 40
; NumVgprs: 172
; NumAgprs: 0
; TotalNumVgprs: 172
; ScratchSize: 0
; MemoryBound: 0
; FloatMode: 240
; IeeeMode: 1
; LDSByteSize: 23328 bytes/workgroup (compile time only)
; SGPRBlocks: 4
; VGPRBlocks: 21
; NumSGPRsForWavesPerEU: 40
; NumVGPRsForWavesPerEU: 172
; AccumOffset: 172
; Occupancy: 2
; WaveLimiterHint : 1
; COMPUTE_PGM_RSRC2:SCRATCH_EN: 0
; COMPUTE_PGM_RSRC2:USER_SGPR: 2
; COMPUTE_PGM_RSRC2:TRAP_HANDLER: 0
; COMPUTE_PGM_RSRC2:TGID_X_EN: 1
; COMPUTE_PGM_RSRC2:TGID_Y_EN: 1
; COMPUTE_PGM_RSRC2:TGID_Z_EN: 0
; COMPUTE_PGM_RSRC2:TIDIG_COMP_CNT: 1
; COMPUTE_PGM_RSRC3_GFX90A:ACCUM_OFFSET: 42
; COMPUTE_PGM_RSRC3_GFX90A:TG_SPLIT: 0
	.section	.text._ZL8moe_q2_KIN3c104HalfELb1EEvPKvS3_PT_PKiS7_S7_iiiiiii,"axG",@progbits,_ZL8moe_q2_KIN3c104HalfELb1EEvPKvS3_PT_PKiS7_S7_iiiiiii,comdat
	.globl	_ZL8moe_q2_KIN3c104HalfELb1EEvPKvS3_PT_PKiS7_S7_iiiiiii ; -- Begin function _ZL8moe_q2_KIN3c104HalfELb1EEvPKvS3_PT_PKiS7_S7_iiiiiii
	.p2align	8
	.type	_ZL8moe_q2_KIN3c104HalfELb1EEvPKvS3_PT_PKiS7_S7_iiiiiii,@function
_ZL8moe_q2_KIN3c104HalfELb1EEvPKvS3_PT_PKiS7_S7_iiiiiii: ; @_ZL8moe_q2_KIN3c104HalfELb1EEvPKvS3_PT_PKiS7_S7_iiiiiii
; %bb.0:
	s_load_dwordx4 s[4:7], s[0:1], 0x18
	s_mov_b32 s8, s3
	s_mov_b32 s9, 0
	s_lshl_b64 s[10:11], s[8:9], 2
	s_waitcnt lgkmcnt(0)
	s_add_u32 s6, s6, s10
	s_addc_u32 s7, s7, s11
	s_load_dword s3, s[6:7], 0x0
	s_waitcnt lgkmcnt(0)
	s_cmpk_gt_u32 s3, 0xff
	s_cbranch_scc1 .LBB208_39
; %bb.1:
	s_load_dwordx2 s[6:7], s[0:1], 0x28
	s_waitcnt lgkmcnt(0)
	s_load_dword s7, s[6:7], 0x0
	s_lshl_b32 s6, s8, 3
	s_waitcnt lgkmcnt(0)
	s_cmp_gt_u32 s6, s7
	s_cbranch_scc1 .LBB208_39
; %bb.2:
	v_bfe_u32 v4, v0, 10, 10
	v_mov_b32_e32 v6, s4
	v_mov_b32_e32 v7, s5
	v_add_u32_e32 v2, s6, v4
	v_mov_b32_e32 v3, 0
	v_lshl_add_u64 v[6:7], v[2:3], 2, v[6:7]
	global_load_dword v1, v[6:7], off
	s_load_dwordx8 s[4:11], s[0:1], 0x30
	s_load_dwordx2 s[16:17], s[0:1], 0x10
	s_waitcnt lgkmcnt(0)
	s_lshl_b32 s11, s2, 7
	s_mov_b32 s18, 0
	s_cmpk_lt_i32 s5, 0x100
	s_cbranch_scc1 .LBB208_38
; %bb.3:
	s_load_dwordx4 s[12:15], s[0:1], 0x0
	s_ashr_i32 s0, s5, 31
	s_lshr_b32 s0, s0, 24
	s_add_i32 s0, s5, s0
	s_ashr_i32 s26, s0, 8
	s_ashr_i32 s0, s8, 31
	s_lshr_b32 s0, s0, 27
	s_add_i32 s0, s8, s0
	s_mul_i32 s3, s3, s4
	s_ashr_i32 s8, s0, 5
	s_ashr_i32 s0, s3, 31
	s_waitcnt lgkmcnt(0)
	s_add_u32 s1, s12, s3
	s_mul_i32 s2, s26, s11
	s_addc_u32 s0, s13, s0
	s_mul_hi_i32 s3, s2, 0x54
	s_mulk_i32 s2, 0x54
	s_add_u32 s27, s1, s2
	s_addc_u32 s28, s0, s3
	s_not_b32 s0, s11
	s_add_i32 s2, s0, s6
	v_and_b32_e32 v11, 0x3ff, v0
	v_lshlrev_b32_e32 v2, 2, v11
	v_min_i32_e32 v3, s2, v4
	s_movk_i32 s3, 0x84
	v_mul_lo_u32 v14, v3, s26
	v_mad_u64_u32 v[16:17], s[0:1], v3, s3, v[2:3]
	v_add_u32_e32 v3, 8, v4
	v_min_i32_e32 v3, s2, v3
	v_mul_lo_u32 v18, v3, s26
	v_mad_u64_u32 v[20:21], s[0:1], v3, s3, v[2:3]
	v_add_u32_e32 v3, 16, v4
	v_min_i32_e32 v3, s2, v3
	;; [unrolled: 4-line block ×15, first 2 shown]
	v_mul_lo_u32 v74, v3, s26
	v_mad_u64_u32 v[76:77], s[0:1], v3, s3, v[2:3]
	v_lshlrev_b32_e32 v5, 4, v4
	v_lshrrev_b32_e32 v3, 1, v11
	v_add_u32_e32 v3, v3, v5
	v_and_b32_e32 v3, 0x7f, v3
	v_min_i32_e32 v3, s2, v3
	v_ashrrev_i32_e32 v6, 31, v3
	v_lshrrev_b32_e32 v6, 28, v6
	v_add_u32_e32 v6, v3, v6
	v_and_b32_e32 v78, 1, v11
	v_ashrrev_i32_e32 v6, 4, v6
	v_lshlrev_b32_e32 v6, 2, v6
	v_lshlrev_b32_e32 v7, 2, v78
	s_movk_i32 s0, 0x5280
	v_lshlrev_b32_e32 v8, 2, v4
	v_lshrrev_b32_e32 v15, 3, v11
	v_mul_lo_u32 v80, v3, s26
	v_add3_u32 v6, v6, v7, s0
	v_lshlrev_b32_e32 v7, 3, v3
	v_add_u32_e32 v3, v15, v8
	v_min_i32_e32 v17, s2, v3
	v_ashrrev_i32_e32 v19, 31, v17
	v_lshrrev_b32_e32 v19, 30, v19
	v_and_b32_e32 v9, 7, v11
	v_mul_lo_u32 v86, v17, s26
	v_add_u32_e32 v19, v17, v19
	v_lshlrev_b32_e32 v77, 5, v17
	v_add_u32_e32 v17, 32, v3
	v_cmp_lt_u32_e32 vcc, 3, v9
	v_and_b32_e32 v19, -4, v19
	v_lshlrev_b32_e32 v9, 2, v9
	s_movk_i32 s1, 0x4200
	v_min_i32_e32 v17, s2, v17
	v_add3_u32 v75, v19, v9, s1
	v_ashrrev_i32_e32 v19, 31, v17
	v_lshrrev_b32_e32 v19, 30, v19
	v_mul_lo_u32 v88, v17, s26
	v_add_u32_e32 v19, v17, v19
	v_lshlrev_b32_e32 v81, 5, v17
	v_add_u32_e32 v17, 64, v3
	v_and_b32_e32 v19, -4, v19
	v_min_i32_e32 v17, s2, v17
	v_add3_u32 v79, v19, v9, s1
	v_ashrrev_i32_e32 v19, 31, v17
	v_add_u32_e32 v3, 0x60, v3
	v_lshrrev_b32_e32 v19, 30, v19
	v_min_i32_e32 v3, s2, v3
	v_mul_lo_u32 v90, v17, s26
	v_add_u32_e32 v19, v17, v19
	v_lshlrev_b32_e32 v87, 5, v17
	v_ashrrev_i32_e32 v17, 31, v3
	v_lshrrev_b32_e32 v17, 30, v17
	v_mov_b32_e32 v13, 0
	v_add_u32_e32 v17, v3, v17
	v_and_b32_e32 v12, 60, v2
	v_and_b32_e32 v84, 12, v2
	v_and_b32_e32 v19, -4, v19
	v_mul_lo_u32 v92, v3, s26
	v_and_b32_e32 v17, -4, v17
	v_lshlrev_b32_e32 v89, 5, v3
	v_and_b32_e32 v2, 28, v2
	v_mov_b32_e32 v3, v13
	v_add3_u32 v83, v19, v9, s1
	v_add3_u32 v9, v17, v9, s1
	v_and_b32_e32 v17, 31, v11
	v_lshl_add_u64 v[94:95], s[14:15], 0, v[2:3]
	v_lshlrev_b32_e32 v2, 7, v4
	v_lshl_or_b32 v3, v17, 2, v2
	v_lshrrev_b32_e32 v10, 4, v11
	v_add_u32_e32 v17, 0x56a0, v3
	v_or_b32_e32 v3, v8, v11
	v_mov_b32_e32 v4, 0x5aa0
	v_lshl_add_u32 v19, v3, 2, v4
	v_lshlrev_b32_e32 v3, 3, v11
	v_lshlrev_b32_e32 v23, 2, v10
	v_add_u32_e32 v4, 32, v11
	v_add3_u32 v23, v23, v3, s0
	v_mov_b32_e32 v3, 0x1080
	v_mad_u32_u24 v25, v11, s3, v3
	v_lshrrev_b32_e32 v3, 2, v4
	v_lshlrev_b32_e32 v8, 3, v4
	v_and_b32_e32 v3, 0x7c, v3
	v_add_u32_e32 v47, 64, v11
	v_add3_u32 v27, v8, v3, s0
	v_mov_b32_e32 v3, 0x2100
	v_mad_u32_u24 v29, v11, s3, v3
	v_lshrrev_b32_e32 v3, 2, v47
	s_abs_i32 s2, s10
	v_lshlrev_b32_e32 v31, 3, v47
	v_and_b32_e32 v3, 0x7c, v3
	v_cvt_f32_u32_e32 v8, s2
	v_add_u32_e32 v43, 0x60, v11
	v_add3_u32 v31, v31, v3, s0
	v_mov_b32_e32 v3, 0x3180
	v_mad_u32_u24 v33, v11, s3, v3
	v_lshrrev_b32_e32 v3, 2, v43
	v_lshlrev_b32_e32 v35, 3, v43
	v_and_b32_e32 v3, 0x7c, v3
	v_add3_u32 v35, v35, v3, s0
	v_rcp_iflag_f32_e32 v3, v8
	s_sub_i32 s0, 0, s2
	s_waitcnt vmcnt(0)
	v_sub_u32_e32 v45, 0, v1
	v_max_i32_e32 v45, v1, v45
	v_mul_f32_e32 v3, 0x4f7ffffe, v3
	v_cvt_u32_f32_e32 v3, v3
	v_xor_b32_e32 v8, s10, v1
	s_add_u32 s12, s14, 0x90
	v_ashrrev_i32_e32 v8, 31, v8
	v_mul_lo_u32 v49, s0, v3
	v_mul_hi_u32 v49, v3, v49
	v_add_u32_e32 v3, v3, v49
	v_mul_hi_u32 v3, v45, v3
	v_mul_lo_u32 v49, v3, s2
	v_sub_u32_e32 v45, v45, v49
	v_add_u32_e32 v49, 1, v3
	v_cmp_le_u32_e64 s[0:1], s2, v45
	s_addc_u32 s13, s15, 0
	s_add_u32 s20, s14, 0x120
	v_cndmask_b32_e64 v3, v3, v49, s[0:1]
	v_subrev_u32_e32 v49, s2, v45
	v_cndmask_b32_e64 v45, v45, v49, s[0:1]
	v_add_u32_e32 v49, 1, v3
	v_cmp_le_u32_e64 s[0:1], s2, v45
	s_addc_u32 s21, s15, 0
	v_lshrrev_b32_e32 v39, 3, v47
	v_cndmask_b32_e64 v3, v3, v49, s[0:1]
	v_xor_b32_e32 v3, v3, v8
	v_sub_u32_e32 v3, v3, v8
	v_lshrrev_b32_e32 v41, 3, v43
	v_mul_lo_u32 v96, v3, s8
	s_add_u32 s22, s14, 0x1b0
	v_and_b32_e32 v43, 0x1fc, v43
	v_lshlrev_b32_e32 v45, 5, v11
	v_and_b32_e32 v47, 0x1fc, v47
	v_and_b32_e32 v49, 0x1fc, v4
	;; [unrolled: 1-line block ×3, first 2 shown]
	s_mov_b32 s19, s18
	s_movk_i32 s4, 0x54
	v_cndmask_b32_e64 v82, 0, 1, vcc
	v_mov_b32_e32 v85, v13
	v_cmp_gt_u32_e32 vcc, 4, v11
	v_mul_u32_u24_e32 v21, 0x84, v11
	v_lshrrev_b32_e32 v37, 3, v4
	v_cmp_gt_i32_e64 s[0:1], s7, v3
	v_ashrrev_i32_e32 v97, 31, v96
	s_addc_u32 s23, s15, 0
	v_add_u32_e32 v53, 0x56a0, v2
	v_add_u32_e32 v55, 0x5aa0, v5
	v_add_u32_e32 v57, 0x4e08, v43
	v_add_u32_e32 v59, 0x4a08, v47
	v_add_u32_e32 v61, 0x4608, v49
	v_add_u32_e32 v63, 0x4208, v51
	v_add_u32_e32 v65, v45, v43
	v_add_u32_e32 v67, v45, v47
	v_add_u32_e32 v69, v45, v49
	v_add_u32_e32 v71, v45, v51
	v_mov_b64_e32 v[98:99], s[18:19]
	v_add_u32_e32 v73, v6, v7
	v_add_u32_e32 v75, v75, v77
	;; [unrolled: 1-line block ×5, first 2 shown]
	s_mov_b32 s6, 0x1010101
	v_mov_b32_e32 v83, 4
	v_mov_b32_e32 v87, 15
	v_mov_b64_e32 v[100:101], s[18:19]
	s_branch .LBB208_5
.LBB208_4:                              ;   in Loop: Header=BB208_5 Depth=1
	s_add_i32 s18, s18, 2
	s_cmp_ge_i32 s18, s26
	s_cbranch_scc1 .LBB208_40
.LBB208_5:                              ; =>This Loop Header: Depth=1
                                        ;     Child Loop BB208_12 Depth 2
                                        ;     Child Loop BB208_20 Depth 2
	;; [unrolled: 1-line block ×4, first 2 shown]
	s_mul_i32 s2, s18, 0x54
	s_mul_hi_u32 s3, s18, 0x54
	s_add_u32 s2, s27, s2
	s_addc_u32 s3, s28, s3
	v_mov_b64_e32 v[2:3], s[2:3]
	v_mad_u64_u32 v[4:5], s[2:3], v10, s4, v[2:3]
	v_lshl_add_u64 v[4:5], v[4:5], 0, v[12:13]
	v_lshl_add_u64 v[4:5], v[4:5], 0, 16
	v_mad_i64_i32 v[6:7], s[2:3], v14, s4, v[4:5]
	v_mad_i64_i32 v[8:9], s[2:3], v18, s4, v[4:5]
	;; [unrolled: 1-line block ×8, first 2 shown]
	global_load_dword v89, v[6:7], off
	global_load_dword v91, v[8:9], off
	;; [unrolled: 1-line block ×8, first 2 shown]
	v_mad_i64_i32 v[6:7], s[2:3], v46, s4, v[4:5]
	v_mad_i64_i32 v[8:9], s[2:3], v50, s4, v[4:5]
	;; [unrolled: 1-line block ×8, first 2 shown]
	global_load_dword v112, v[6:7], off
	global_load_dword v113, v[8:9], off
	;; [unrolled: 1-line block ×8, first 2 shown]
	v_mad_i64_i32 v[4:5], s[2:3], v80, s4, v[2:3]
	v_mad_u64_u32 v[2:3], s[2:3], v82, s4, v[2:3]
	v_lshl_add_u64 v[2:3], v[2:3], 0, v[84:85]
	v_mad_u64_u32 v[4:5], s[2:3], v78, s4, v[4:5]
	v_mad_i64_i32 v[6:7], s[2:3], v86, s4, v[2:3]
	v_mad_i64_i32 v[8:9], s[2:3], v88, s4, v[2:3]
	;; [unrolled: 1-line block ×4, first 2 shown]
	global_load_dword v104, v[4:5], off offset:80
	global_load_dword v105, v[6:7], off
	global_load_dword v106, v[8:9], off
	;; [unrolled: 1-line block ×3, first 2 shown]
	s_lshl_b32 s29, s18, 8
	global_load_dword v2, v[2:3], off
	s_cmp_lt_i32 s29, s5
	s_waitcnt vmcnt(20)
	ds_write_b32 v16, v89
	s_waitcnt vmcnt(19)
	ds_write_b32 v20, v91
	s_waitcnt vmcnt(18)
	ds_write_b32 v24, v93
	s_waitcnt vmcnt(17)
	ds_write_b32 v28, v114
	s_waitcnt vmcnt(16)
	ds_write_b32 v32, v115
	s_waitcnt vmcnt(15)
	ds_write_b32 v36, v116
	s_waitcnt vmcnt(14)
	ds_write_b32 v40, v117
	s_waitcnt vmcnt(13)
	ds_write_b32 v44, v118
	s_waitcnt vmcnt(12)
	ds_write_b32 v48, v112
	s_waitcnt vmcnt(11)
	ds_write_b32 v52, v113
	s_waitcnt vmcnt(10)
	ds_write_b32 v56, v119
	s_waitcnt vmcnt(9)
	ds_write_b32 v60, v120
	s_waitcnt vmcnt(8)
	ds_write_b32 v64, v121
	s_waitcnt vmcnt(7)
	ds_write_b32 v68, v122
	s_waitcnt vmcnt(6)
	ds_write_b32 v72, v123
	s_waitcnt vmcnt(5)
	ds_write_b32 v76, v124
	s_waitcnt vmcnt(4)
	ds_write_b32 v73, v104
	s_waitcnt vmcnt(3)
	ds_write_b32 v75, v105
	s_waitcnt vmcnt(2)
	ds_write_b32 v77, v106
	s_waitcnt vmcnt(1)
	ds_write_b32 v79, v107
	s_waitcnt vmcnt(0)
	ds_write_b32 v81, v2
	s_cbranch_scc0 .LBB208_4
; %bb.6:                                ;   in Loop: Header=BB208_5 Depth=1
	s_lshl_b32 s19, s18, 3
	v_add_u32_e32 v2, s19, v15
	v_cmp_gt_i32_e64 s[2:3], s8, v2
	s_and_b64 s[24:25], s[0:1], s[2:3]
	s_and_saveexec_b64 s[2:3], s[24:25]
	s_cbranch_execz .LBB208_8
; %bb.7:                                ;   in Loop: Header=BB208_5 Depth=1
	v_add_u32_e32 v2, v96, v2
	v_mad_i64_i32 v[2:3], s[24:25], v2, 36, v[94:95]
	global_load_dword v2, v[2:3], off offset:4
	s_waitcnt vmcnt(0)
	ds_write_b32 v17, v2
.LBB208_8:                              ;   in Loop: Header=BB208_5 Depth=1
	s_or_b64 exec, exec, s[2:3]
	s_and_saveexec_b64 s[24:25], vcc
	s_cbranch_execz .LBB208_11
; %bb.9:                                ;   in Loop: Header=BB208_5 Depth=1
	v_or_b32_e32 v2, s19, v11
	v_cmp_gt_i32_e64 s[2:3], s8, v2
	s_and_b64 s[2:3], s[0:1], s[2:3]
	s_and_b64 exec, exec, s[2:3]
	s_cbranch_execz .LBB208_11
; %bb.10:                               ;   in Loop: Header=BB208_5 Depth=1
	v_add_u32_e32 v2, v96, v2
	v_mad_i64_i32 v[2:3], s[2:3], v2, 36, s[14:15]
	global_load_dword v2, v[2:3], off
	s_waitcnt vmcnt(0)
	v_cvt_f32_f16_e32 v2, v2
	ds_write_b32 v19, v2
.LBB208_11:                             ;   in Loop: Header=BB208_5 Depth=1
	s_or_b64 exec, exec, s[24:25]
	s_mov_b32 s2, 0
	s_mov_b32 s3, -2
	v_mov_b32_e32 v89, v55
	v_mov_b32_e32 v91, v53
	s_waitcnt lgkmcnt(0)
	s_barrier
.LBB208_12:                             ;   Parent Loop BB208_5 Depth=1
                                        ; =>  This Inner Loop Header: Depth=2
	s_and_b32 s25, s2, -16
	s_add_i32 s24, s3, 2
	v_add_u32_e32 v104, s25, v45
	s_and_b32 s25, s24, 0x3ffffff8
	s_lshr_b32 s30, s24, 2
	s_lshl_b32 s25, s25, 2
	s_and_b32 s30, s30, 0x3ffffffc
	v_add3_u32 v116, v51, s3, v104
	v_add3_u32 v120, v49, s3, v104
	;; [unrolled: 1-line block ×4, first 2 shown]
	v_add_u32_e32 v110, s25, v21
	v_add_u32_e32 v117, s30, v23
	;; [unrolled: 1-line block ×8, first 2 shown]
	ds_read_b32 v102, v89
	ds_read_b128 v[6:9], v91
	ds_read_b128 v[2:5], v91 offset:16
	ds_read2_b32 v[104:105], v110 offset1:1
	ds_read2_b32 v[106:107], v110 offset0:2 offset1:3
	ds_read2_b32 v[108:109], v110 offset0:4 offset1:5
	;; [unrolled: 1-line block ×3, first 2 shown]
	ds_read2_b32 v[112:113], v118 offset1:1
	ds_read2_b32 v[114:115], v118 offset0:2 offset1:3
	ds_read_b32 v148, v117
	ds_read_u16 v149, v116 offset:16898
	ds_read2_b32 v[116:117], v118 offset0:4 offset1:5
	ds_read2_b32 v[118:119], v118 offset0:6 offset1:7
	ds_read_b32 v150, v121
	ds_read_u16 v151, v120 offset:17922
	ds_read2_b32 v[120:121], v126 offset1:1
	ds_read2_b32 v[122:123], v126 offset0:2 offset1:3
	ds_read2_b32 v[124:125], v126 offset0:4 offset1:5
	;; [unrolled: 1-line block ×3, first 2 shown]
	ds_read2_b32 v[128:129], v134 offset1:1
	ds_read2_b32 v[130:131], v134 offset0:2 offset1:3
	ds_read_b32 v152, v133
	ds_read_u16 v153, v132 offset:18946
	ds_read2_b32 v[132:133], v134 offset0:4 offset1:5
	ds_read2_b32 v[134:135], v134 offset0:6 offset1:7
	ds_read_b32 v147, v147
	ds_read_u16 v146, v146 offset:19970
	s_waitcnt lgkmcnt(14)
	v_ashrrev_i32_e32 v154, s24, v104
	v_ashrrev_i32_e32 v156, s24, v106
	;; [unrolled: 1-line block ×4, first 2 shown]
	v_bfe_u32 v162, v149, 4, 4
	s_waitcnt lgkmcnt(12)
	v_bfe_u32 v164, v151, 4, 4
	v_cvt_f32_f16_e32 v104, v148
	v_cvt_f32_f16_sdwa v106, v148 dst_sel:DWORD dst_unused:UNUSED_PAD src0_sel:WORD_1
	s_waitcnt lgkmcnt(4)
	v_bfe_u32 v148, v153, 4, 4
	s_waitcnt lgkmcnt(0)
	v_bfe_u32 v168, v146, 4, 4
	v_mov_b32_e32 v138, 0
	v_mov_b32_e32 v139, 0
	v_mov_b32_e32 v144, 0
	v_mov_b32_e32 v145, 0
	v_ashrrev_i32_e32 v159, s24, v109
	v_ashrrev_i32_e32 v161, s24, v111
	v_cvt_f32_f16_e32 v109, v147
	v_cvt_f32_f16_sdwa v111, v147 dst_sel:DWORD dst_unused:UNUSED_PAD src0_sel:WORD_1
	v_and_b32_e32 v147, 0x3030303, v154
	v_and_b32_e32 v154, 0x3030303, v156
	;; [unrolled: 1-line block ×4, first 2 shown]
	v_mul_lo_u32 v160, v162, s6
	v_mul_lo_u32 v162, v164, s6
	;; [unrolled: 1-line block ×4, first 2 shown]
	v_ashrrev_i32_e32 v112, s24, v112
	v_dot4c_i32_i8_e32 v138, v160, v6
	v_dot4c_i32_i8_e32 v139, v162, v6
	;; [unrolled: 1-line block ×4, first 2 shown]
	v_mov_b32_e32 v93, 0
	v_mov_b32_e32 v136, 0
	v_ashrrev_i32_e32 v155, s24, v105
	v_ashrrev_i32_e32 v113, s24, v113
	;; [unrolled: 1-line block ×5, first 2 shown]
	v_and_b32_e32 v112, 0x3030303, v112
	v_dot4c_i32_i8_e32 v138, v160, v7
	v_dot4c_i32_i8_e32 v139, v162, v7
	;; [unrolled: 1-line block ×4, first 2 shown]
	v_mov_b32_e32 v103, 0
	v_mov_b32_e32 v137, 0
	;; [unrolled: 1-line block ×4, first 2 shown]
	v_ashrrev_i32_e32 v157, s24, v107
	v_ashrrev_i32_e32 v114, s24, v114
	;; [unrolled: 1-line block ×3, first 2 shown]
	v_lshrrev_b32_sdwa v163, v83, v149 dst_sel:DWORD dst_unused:UNUSED_PAD src0_sel:DWORD src1_sel:BYTE_1
	v_lshrrev_b32_sdwa v167, v83, v151 dst_sel:DWORD dst_unused:UNUSED_PAD src0_sel:DWORD src1_sel:BYTE_1
	v_cvt_f32_f16_e32 v105, v150
	v_cvt_f32_f16_sdwa v107, v150 dst_sel:DWORD dst_unused:UNUSED_PAD src0_sel:WORD_1
	v_ashrrev_i32_e32 v121, s24, v121
	v_ashrrev_i32_e32 v124, s24, v124
	;; [unrolled: 1-line block ×4, first 2 shown]
	v_lshrrev_b32_sdwa v150, v83, v153 dst_sel:DWORD dst_unused:UNUSED_PAD src0_sel:DWORD src1_sel:BYTE_1
	v_lshrrev_b32_sdwa v171, v83, v146 dst_sel:DWORD dst_unused:UNUSED_PAD src0_sel:DWORD src1_sel:BYTE_1
	v_cvt_f32_f16_e32 v108, v152
	v_cvt_f32_f16_sdwa v110, v152 dst_sel:DWORD dst_unused:UNUSED_PAD src0_sel:WORD_1
	v_and_b32_e32 v152, 0x3030303, v155
	v_and_b32_e32 v113, 0x3030303, v113
	;; [unrolled: 1-line block ×5, first 2 shown]
	v_dot4c_i32_i8_e32 v93, v147, v6
	v_dot4c_i32_i8_e32 v136, v112, v6
	;; [unrolled: 1-line block ×6, first 2 shown]
	v_mov_b32_e32 v141, 0
	v_mov_b32_e32 v143, 0
	v_ashrrev_i32_e32 v115, s24, v115
	v_ashrrev_i32_e32 v118, s24, v118
	;; [unrolled: 1-line block ×6, first 2 shown]
	v_and_b32_e32 v155, 0x3030303, v157
	v_and_b32_e32 v157, 0x3030303, v159
	;; [unrolled: 1-line block ×5, first 2 shown]
	v_mul_lo_u32 v161, v163, s6
	v_mul_lo_u32 v163, v167, s6
	v_and_b32_e32 v121, 0x3030303, v121
	v_and_b32_e32 v124, 0x3030303, v124
	;; [unrolled: 1-line block ×4, first 2 shown]
	v_mul_lo_u32 v150, v150, s6
	v_mul_lo_u32 v167, v171, s6
	v_dot4c_i32_i8_e32 v103, v156, v2
	v_dot4c_i32_i8_e32 v137, v116, v2
	v_dot4c_i32_i8_e32 v140, v120, v6
	v_dot4c_i32_i8_e32 v142, v128, v6
	v_dot4c_i32_i8_e32 v93, v152, v7
	v_dot4c_i32_i8_e32 v136, v113, v7
	v_dot4c_i32_i8_e32 v138, v160, v9
	v_dot4c_i32_i8_e32 v139, v162, v9
	v_dot4c_i32_i8_e32 v144, v148, v9
	v_dot4c_i32_i8_e32 v145, v164, v9
	v_ashrrev_i32_e32 v119, s24, v119
	v_ashrrev_i32_e32 v123, s24, v123
	;; [unrolled: 1-line block ×5, first 2 shown]
	v_and_b32_e32 v115, 0x3030303, v115
	v_and_b32_e32 v118, 0x3030303, v118
	v_and_b32_e32 v122, 0x3030303, v122
	v_and_b32_e32 v125, 0x3030303, v125
	v_and_b32_e32 v130, 0x3030303, v130
	v_and_b32_e32 v133, 0x3030303, v133
	v_dot4c_i32_i8_e32 v141, v124, v2
	v_dot4c_i32_i8_e32 v143, v132, v2
	v_dot4c_i32_i8_e32 v103, v157, v3
	v_dot4c_i32_i8_e32 v137, v117, v3
	v_dot4c_i32_i8_e32 v140, v121, v7
	v_dot4c_i32_i8_e32 v142, v129, v7
	v_dot4c_i32_i8_e32 v93, v154, v8
	v_dot4c_i32_i8_e32 v136, v114, v8
	v_dot4c_i32_i8_e32 v138, v161, v2
	v_dot4c_i32_i8_e32 v139, v163, v2
	v_dot4c_i32_i8_e32 v144, v150, v2
	v_dot4c_i32_i8_e32 v145, v167, v2
	v_and_b32_e32 v165, 15, v149
	v_and_b32_e32 v166, 15, v151
	v_ashrrev_i32_e32 v127, s24, v127
	v_ashrrev_i32_e32 v135, s24, v135
	v_and_b32_e32 v119, 0x3030303, v119
	v_and_b32_e32 v123, 0x3030303, v123
	;; [unrolled: 1-line block ×5, first 2 shown]
	v_dot4c_i32_i8_e32 v141, v125, v3
	v_dot4c_i32_i8_e32 v143, v133, v3
	;; [unrolled: 1-line block ×12, first 2 shown]
	s_add_i32 s2, s2, 2
	v_and_b32_sdwa v151, v151, v87 dst_sel:DWORD dst_unused:UNUSED_PAD src0_sel:BYTE_1 src1_sel:DWORD
	v_and_b32_sdwa v149, v149, v87 dst_sel:DWORD dst_unused:UNUSED_PAD src0_sel:BYTE_1 src1_sel:DWORD
	v_and_b32_e32 v169, 15, v153
	v_and_b32_e32 v170, 15, v146
	v_and_b32_e32 v127, 0x3030303, v127
	v_and_b32_e32 v135, 0x3030303, v135
	v_dot4c_i32_i8_e32 v141, v126, v4
	v_dot4c_i32_i8_e32 v143, v134, v4
	;; [unrolled: 1-line block ×6, first 2 shown]
	v_mul_lo_u32 v6, v166, v136
	v_mul_lo_u32 v8, v165, v93
	v_dot4c_i32_i8_e32 v138, v161, v4
	v_dot4c_i32_i8_e32 v139, v163, v4
	;; [unrolled: 1-line block ×4, first 2 shown]
	s_mov_b32 s3, s24
	s_cmp_lt_u32 s24, 6
	v_and_b32_sdwa v146, v146, v87 dst_sel:DWORD dst_unused:UNUSED_PAD src0_sel:BYTE_1 src1_sel:DWORD
	v_and_b32_sdwa v153, v153, v87 dst_sel:DWORD dst_unused:UNUSED_PAD src0_sel:BYTE_1 src1_sel:DWORD
	v_dot4c_i32_i8_e32 v141, v127, v5
	v_dot4c_i32_i8_e32 v143, v135, v5
	v_mul_lo_u32 v112, v170, v142
	v_mul_lo_u32 v114, v169, v140
	v_mad_u64_u32 v[8:9], s[24:25], v149, v103, v[8:9]
	v_mad_u64_u32 v[6:7], s[24:25], v151, v137, v[6:7]
	v_dot4c_i32_i8_e32 v138, v161, v5
	v_dot4c_i32_i8_e32 v139, v163, v5
	;; [unrolled: 1-line block ×4, first 2 shown]
	v_mad_u64_u32 v[2:3], s[24:25], v153, v141, v[114:115]
	v_mad_u64_u32 v[112:113], s[24:25], v146, v143, v[112:113]
	v_cvt_f32_i32_e32 v7, v6
	v_cvt_f32_i32_e32 v6, v8
	;; [unrolled: 1-line block ×8, first 2 shown]
	v_pk_mul_f32 v[4:5], v[106:107], v[4:5]
	v_pk_mul_f32 v[8:9], v[110:111], v[8:9]
	v_pk_fma_f32 v[4:5], v[104:105], v[6:7], v[4:5] neg_lo:[0,0,1] neg_hi:[0,0,1]
	v_pk_fma_f32 v[2:3], v[108:109], v[2:3], v[8:9] neg_lo:[0,0,1] neg_hi:[0,0,1]
	v_add_u32_e32 v91, 32, v91
	v_add_u32_e32 v89, 4, v89
	v_pk_fma_f32 v[98:99], v[102:103], v[4:5], v[98:99] op_sel_hi:[0,1,1]
	v_pk_fma_f32 v[100:101], v[102:103], v[2:3], v[100:101] op_sel_hi:[0,1,1]
	s_cbranch_scc1 .LBB208_12
; %bb.13:                               ;   in Loop: Header=BB208_5 Depth=1
	s_or_b32 s2, s29, 0x80
	s_cmp_ge_i32 s2, s5
	s_barrier
	s_cbranch_scc1 .LBB208_4
; %bb.14:                               ;   in Loop: Header=BB208_5 Depth=1
	v_add_u32_e32 v2, s19, v37
	v_cmp_gt_i32_e64 s[2:3], s8, v2
	s_and_b64 s[24:25], s[0:1], s[2:3]
	s_and_saveexec_b64 s[2:3], s[24:25]
	s_cbranch_execz .LBB208_16
; %bb.15:                               ;   in Loop: Header=BB208_5 Depth=1
	v_add_u32_e32 v2, v96, v2
	v_mad_i64_i32 v[2:3], s[24:25], v2, 36, v[94:95]
	global_load_dword v2, v[2:3], off offset:4
	s_waitcnt vmcnt(0)
	ds_write_b32 v17, v2
.LBB208_16:                             ;   in Loop: Header=BB208_5 Depth=1
	s_or_b64 exec, exec, s[2:3]
	s_and_saveexec_b64 s[24:25], vcc
	s_cbranch_execz .LBB208_19
; %bb.17:                               ;   in Loop: Header=BB208_5 Depth=1
	v_or_b32_e32 v2, s19, v11
	v_or_b32_e32 v3, 4, v2
	v_cmp_gt_i32_e64 s[2:3], s8, v3
	s_and_b64 s[2:3], s[0:1], s[2:3]
	s_and_b64 exec, exec, s[2:3]
	s_cbranch_execz .LBB208_19
; %bb.18:                               ;   in Loop: Header=BB208_5 Depth=1
	v_ashrrev_i32_e32 v3, 31, v2
	v_lshl_add_u64 v[2:3], v[96:97], 0, v[2:3]
	v_mad_u64_u32 v[4:5], s[2:3], v2, 36, s[12:13]
	v_mad_i32_i24 v5, v3, 36, v5
	global_load_dword v2, v[4:5], off
	s_waitcnt vmcnt(0)
	v_cvt_f32_f16_e32 v2, v2
	ds_write_b32 v19, v2
.LBB208_19:                             ;   in Loop: Header=BB208_5 Depth=1
	s_or_b64 exec, exec, s[24:25]
	s_mov_b32 s2, 8
	s_mov_b32 s3, 0
	v_mov_b32_e32 v89, v53
	v_mov_b32_e32 v91, v55
	s_waitcnt lgkmcnt(0)
	s_barrier
.LBB208_20:                             ;   Parent Loop BB208_5 Depth=1
                                        ; =>  This Inner Loop Header: Depth=2
	s_add_i32 s24, s3, 8
	s_and_b32 s25, s2, -16
	v_add_u32_e32 v93, s3, v45
	s_and_b32 s30, s24, 0x3ffffff8
	s_lshr_b32 s31, s24, 2
	v_add3_u32 v116, v63, s25, v93
	v_add3_u32 v120, v61, s25, v93
	;; [unrolled: 1-line block ×4, first 2 shown]
	s_lshl_b32 s25, s30, 2
	s_and_b32 s30, s31, 0x3ffffffc
	v_add_u32_e32 v110, s25, v21
	v_add_u32_e32 v117, s30, v23
	;; [unrolled: 1-line block ×8, first 2 shown]
	ds_read_b32 v102, v91
	ds_read_b128 v[6:9], v89
	ds_read_b128 v[2:5], v89 offset:16
	ds_read2_b32 v[104:105], v110 offset1:1
	ds_read2_b32 v[106:107], v110 offset0:2 offset1:3
	ds_read2_b32 v[108:109], v110 offset0:4 offset1:5
	;; [unrolled: 1-line block ×3, first 2 shown]
	ds_read2_b32 v[112:113], v118 offset1:1
	ds_read2_b32 v[114:115], v118 offset0:2 offset1:3
	ds_read_b32 v148, v117
	ds_read_u16 v149, v116
	ds_read2_b32 v[116:117], v118 offset0:4 offset1:5
	ds_read2_b32 v[118:119], v118 offset0:6 offset1:7
	ds_read_b32 v150, v121
	ds_read_u16 v151, v120
	ds_read2_b32 v[120:121], v126 offset1:1
	ds_read2_b32 v[122:123], v126 offset0:2 offset1:3
	ds_read2_b32 v[124:125], v126 offset0:4 offset1:5
	;; [unrolled: 1-line block ×3, first 2 shown]
	ds_read2_b32 v[128:129], v134 offset1:1
	ds_read2_b32 v[130:131], v134 offset0:2 offset1:3
	ds_read_b32 v152, v133
	ds_read_u16 v153, v132
	ds_read2_b32 v[132:133], v134 offset0:4 offset1:5
	ds_read2_b32 v[134:135], v134 offset0:6 offset1:7
	ds_read_b32 v147, v147
	ds_read_u16 v93, v93
	s_waitcnt lgkmcnt(14)
	v_ashrrev_i32_e32 v154, s3, v104
	v_ashrrev_i32_e32 v155, s3, v105
	;; [unrolled: 1-line block ×8, first 2 shown]
	v_bfe_u32 v162, v149, 4, 4
	v_lshrrev_b32_sdwa v164, v83, v149 dst_sel:DWORD dst_unused:UNUSED_PAD src0_sel:DWORD src1_sel:BYTE_1
	s_waitcnt lgkmcnt(12)
	v_bfe_u32 v165, v151, 4, 4
	v_lshrrev_b32_sdwa v167, v83, v151 dst_sel:DWORD dst_unused:UNUSED_PAD src0_sel:DWORD src1_sel:BYTE_1
	v_cvt_f32_f16_e32 v104, v148
	v_cvt_f32_f16_sdwa v106, v148 dst_sel:DWORD dst_unused:UNUSED_PAD src0_sel:WORD_1
	s_waitcnt lgkmcnt(4)
	v_bfe_u32 v148, v153, 4, 4
	s_waitcnt lgkmcnt(0)
	v_bfe_u32 v169, v93, 4, 4
	v_mov_b32_e32 v136, 0
	v_mov_b32_e32 v139, 0
	;; [unrolled: 1-line block ×4, first 2 shown]
	v_cvt_f32_f16_e32 v109, v147
	v_cvt_f32_f16_e32 v108, v152
	v_cvt_f32_f16_sdwa v111, v147 dst_sel:DWORD dst_unused:UNUSED_PAD src0_sel:WORD_1
	v_cvt_f32_f16_sdwa v110, v152 dst_sel:DWORD dst_unused:UNUSED_PAD src0_sel:WORD_1
	v_and_b32_e32 v147, 0x3030303, v154
	v_and_b32_e32 v152, 0x3030303, v155
	;; [unrolled: 1-line block ×8, first 2 shown]
	v_mul_lo_u32 v160, v162, s6
	v_mul_lo_u32 v161, v164, s6
	;; [unrolled: 1-line block ×6, first 2 shown]
	v_ashrrev_i32_e32 v112, s3, v112
	v_dot4c_i32_i8_e32 v136, v160, v6
	v_dot4c_i32_i8_e32 v139, v162, v6
	;; [unrolled: 1-line block ×4, first 2 shown]
	v_mov_b32_e32 v103, 0
	v_mov_b32_e32 v138, 0
	v_ashrrev_i32_e32 v113, s3, v113
	v_ashrrev_i32_e32 v116, s3, v116
	;; [unrolled: 1-line block ×4, first 2 shown]
	v_and_b32_e32 v112, 0x3030303, v112
	v_dot4c_i32_i8_e32 v136, v160, v7
	v_dot4c_i32_i8_e32 v139, v162, v7
	;; [unrolled: 1-line block ×4, first 2 shown]
	v_mov_b32_e32 v137, 0
	v_mov_b32_e32 v140, 0
	;; [unrolled: 1-line block ×4, first 2 shown]
	v_ashrrev_i32_e32 v114, s3, v114
	v_ashrrev_i32_e32 v117, s3, v117
	;; [unrolled: 1-line block ×4, first 2 shown]
	v_lshrrev_b32_sdwa v168, v83, v153 dst_sel:DWORD dst_unused:UNUSED_PAD src0_sel:DWORD src1_sel:BYTE_1
	v_ashrrev_i32_e32 v129, s3, v129
	v_ashrrev_i32_e32 v132, s3, v132
	v_lshrrev_b32_sdwa v171, v83, v93 dst_sel:DWORD dst_unused:UNUSED_PAD src0_sel:DWORD src1_sel:BYTE_1
	v_and_b32_e32 v113, 0x3030303, v113
	v_and_b32_e32 v116, 0x3030303, v116
	;; [unrolled: 1-line block ×4, first 2 shown]
	v_dot4c_i32_i8_e32 v103, v147, v6
	v_dot4c_i32_i8_e32 v138, v112, v6
	v_dot4c_i32_i8_e32 v136, v160, v8
	v_dot4c_i32_i8_e32 v139, v162, v8
	v_dot4c_i32_i8_e32 v142, v148, v8
	v_dot4c_i32_i8_e32 v145, v167, v8
	v_mov_b32_e32 v143, 0
	v_mov_b32_e32 v146, 0
	v_ashrrev_i32_e32 v115, s3, v115
	v_ashrrev_i32_e32 v118, s3, v118
	;; [unrolled: 1-line block ×6, first 2 shown]
	v_and_b32_e32 v114, 0x3030303, v114
	v_and_b32_e32 v117, 0x3030303, v117
	;; [unrolled: 1-line block ×4, first 2 shown]
	v_mul_lo_u32 v165, v168, s6
	v_and_b32_e32 v129, 0x3030303, v129
	v_and_b32_e32 v132, 0x3030303, v132
	v_mul_lo_u32 v168, v171, s6
	v_dot4c_i32_i8_e32 v137, v156, v2
	v_dot4c_i32_i8_e32 v140, v116, v2
	;; [unrolled: 1-line block ×10, first 2 shown]
	v_ashrrev_i32_e32 v119, s3, v119
	v_ashrrev_i32_e32 v123, s3, v123
	;; [unrolled: 1-line block ×5, first 2 shown]
	v_and_b32_e32 v115, 0x3030303, v115
	v_and_b32_e32 v118, 0x3030303, v118
	;; [unrolled: 1-line block ×6, first 2 shown]
	v_dot4c_i32_i8_e32 v143, v124, v2
	v_dot4c_i32_i8_e32 v146, v132, v2
	;; [unrolled: 1-line block ×12, first 2 shown]
	v_and_b32_e32 v163, 15, v149
	v_and_b32_e32 v166, 15, v151
	v_ashrrev_i32_e32 v127, s3, v127
	v_ashrrev_i32_e32 v135, s3, v135
	v_and_b32_e32 v119, 0x3030303, v119
	v_and_b32_e32 v123, 0x3030303, v123
	;; [unrolled: 1-line block ×5, first 2 shown]
	v_dot4c_i32_i8_e32 v143, v125, v3
	v_dot4c_i32_i8_e32 v146, v133, v3
	;; [unrolled: 1-line block ×12, first 2 shown]
	s_add_i32 s2, s2, 2
	v_and_b32_sdwa v149, v149, v87 dst_sel:DWORD dst_unused:UNUSED_PAD src0_sel:BYTE_1 src1_sel:DWORD
	v_and_b32_sdwa v151, v151, v87 dst_sel:DWORD dst_unused:UNUSED_PAD src0_sel:BYTE_1 src1_sel:DWORD
	v_cvt_f32_f16_e32 v105, v150
	v_cvt_f32_f16_sdwa v107, v150 dst_sel:DWORD dst_unused:UNUSED_PAD src0_sel:WORD_1
	v_and_b32_e32 v150, 15, v153
	v_and_b32_e32 v170, 15, v93
	s_add_i32 s3, s3, 2
	v_and_b32_e32 v127, 0x3030303, v127
	v_and_b32_e32 v135, 0x3030303, v135
	v_dot4c_i32_i8_e32 v143, v126, v4
	v_dot4c_i32_i8_e32 v146, v134, v4
	;; [unrolled: 1-line block ×6, first 2 shown]
	v_mul_lo_u32 v6, v163, v103
	v_mul_lo_u32 v8, v166, v138
	v_dot4c_i32_i8_e32 v136, v161, v4
	v_dot4c_i32_i8_e32 v139, v164, v4
	;; [unrolled: 1-line block ×4, first 2 shown]
	v_and_b32_sdwa v153, v153, v87 dst_sel:DWORD dst_unused:UNUSED_PAD src0_sel:BYTE_1 src1_sel:DWORD
	v_and_b32_sdwa v93, v93, v87 dst_sel:DWORD dst_unused:UNUSED_PAD src0_sel:BYTE_1 src1_sel:DWORD
	s_cmp_lt_u32 s24, 14
	v_dot4c_i32_i8_e32 v143, v127, v5
	v_dot4c_i32_i8_e32 v146, v135, v5
	v_mul_lo_u32 v112, v150, v141
	v_mul_lo_u32 v114, v170, v144
	v_mad_u64_u32 v[6:7], s[24:25], v149, v137, v[6:7]
	v_mad_u64_u32 v[8:9], s[24:25], v151, v140, v[8:9]
	v_dot4c_i32_i8_e32 v136, v161, v5
	v_dot4c_i32_i8_e32 v139, v164, v5
	;; [unrolled: 1-line block ×4, first 2 shown]
	v_mad_u64_u32 v[112:113], s[24:25], v153, v143, v[112:113]
	v_mad_u64_u32 v[2:3], s[24:25], v93, v146, v[114:115]
	v_cvt_f32_i32_e32 v7, v8
	v_cvt_f32_i32_e32 v5, v139
	;; [unrolled: 1-line block ×8, first 2 shown]
	v_pk_mul_f32 v[4:5], v[106:107], v[4:5]
	v_pk_mul_f32 v[8:9], v[110:111], v[8:9]
	v_pk_fma_f32 v[4:5], v[104:105], v[6:7], v[4:5] neg_lo:[0,0,1] neg_hi:[0,0,1]
	v_pk_fma_f32 v[2:3], v[108:109], v[2:3], v[8:9] neg_lo:[0,0,1] neg_hi:[0,0,1]
	v_add_u32_e32 v91, 4, v91
	v_add_u32_e32 v89, 32, v89
	v_pk_fma_f32 v[98:99], v[102:103], v[4:5], v[98:99] op_sel_hi:[0,1,1]
	v_pk_fma_f32 v[100:101], v[102:103], v[2:3], v[100:101] op_sel_hi:[0,1,1]
	s_cbranch_scc1 .LBB208_20
; %bb.21:                               ;   in Loop: Header=BB208_5 Depth=1
	s_or_b32 s2, s29, 0x100
	s_cmp_ge_i32 s2, s5
	s_barrier
	s_cbranch_scc1 .LBB208_4
; %bb.22:                               ;   in Loop: Header=BB208_5 Depth=1
	v_add_u32_e32 v2, s19, v39
	v_cmp_gt_i32_e64 s[2:3], s8, v2
	s_and_b64 s[24:25], s[0:1], s[2:3]
	s_and_saveexec_b64 s[2:3], s[24:25]
	s_cbranch_execz .LBB208_24
; %bb.23:                               ;   in Loop: Header=BB208_5 Depth=1
	v_add_u32_e32 v2, v96, v2
	v_mad_i64_i32 v[2:3], s[24:25], v2, 36, v[94:95]
	global_load_dword v2, v[2:3], off offset:4
	s_waitcnt vmcnt(0)
	ds_write_b32 v17, v2
.LBB208_24:                             ;   in Loop: Header=BB208_5 Depth=1
	s_or_b64 exec, exec, s[2:3]
	s_and_saveexec_b64 s[24:25], vcc
	s_cbranch_execz .LBB208_27
; %bb.25:                               ;   in Loop: Header=BB208_5 Depth=1
	v_or_b32_e32 v2, s19, v11
	v_or_b32_e32 v3, 8, v2
	v_cmp_gt_i32_e64 s[2:3], s8, v3
	s_and_b64 s[2:3], s[0:1], s[2:3]
	s_and_b64 exec, exec, s[2:3]
	s_cbranch_execz .LBB208_27
; %bb.26:                               ;   in Loop: Header=BB208_5 Depth=1
	v_ashrrev_i32_e32 v3, 31, v2
	v_lshl_add_u64 v[2:3], v[96:97], 0, v[2:3]
	v_mad_u64_u32 v[4:5], s[2:3], v2, 36, s[20:21]
	v_mad_i32_i24 v5, v3, 36, v5
	global_load_dword v2, v[4:5], off
	s_waitcnt vmcnt(0)
	v_cvt_f32_f16_e32 v2, v2
	ds_write_b32 v19, v2
.LBB208_27:                             ;   in Loop: Header=BB208_5 Depth=1
	s_or_b64 exec, exec, s[24:25]
	s_mov_b32 s2, 16
	s_mov_b32 s3, 14
	v_mov_b32_e32 v89, v53
	v_mov_b32_e32 v91, v55
	s_waitcnt lgkmcnt(0)
	s_barrier
.LBB208_28:                             ;   Parent Loop BB208_5 Depth=1
                                        ; =>  This Inner Loop Header: Depth=2
	s_add_i32 s25, s3, 2
	s_and_b32 s30, s2, -16
	s_and_b32 s31, s25, 0x3ffffff8
	s_lshr_b32 s33, s25, 2
	s_add_i32 s30, s3, s30
	s_lshl_b32 s31, s31, 2
	s_and_b32 s33, s33, 0x3ffffffc
	v_add_u32_e32 v116, s30, v71
	v_add_u32_e32 v120, s30, v69
	;; [unrolled: 1-line block ×12, first 2 shown]
	ds_read_b32 v102, v91
	ds_read_b128 v[6:9], v89
	ds_read_b128 v[2:5], v89 offset:16
	ds_read2_b32 v[104:105], v110 offset1:1
	ds_read2_b32 v[106:107], v110 offset0:2 offset1:3
	ds_read2_b32 v[108:109], v110 offset0:4 offset1:5
	;; [unrolled: 1-line block ×3, first 2 shown]
	ds_read2_b32 v[112:113], v118 offset1:1
	ds_read2_b32 v[114:115], v118 offset0:2 offset1:3
	ds_read_b32 v148, v117
	ds_read_u16 v149, v116 offset:16882
	ds_read2_b32 v[116:117], v118 offset0:4 offset1:5
	ds_read2_b32 v[118:119], v118 offset0:6 offset1:7
	ds_read_b32 v150, v121
	ds_read_u16 v151, v120 offset:17906
	ds_read2_b32 v[120:121], v126 offset1:1
	ds_read2_b32 v[122:123], v126 offset0:2 offset1:3
	ds_read2_b32 v[124:125], v126 offset0:4 offset1:5
	ds_read2_b32 v[126:127], v126 offset0:6 offset1:7
	ds_read2_b32 v[128:129], v134 offset1:1
	ds_read2_b32 v[130:131], v134 offset0:2 offset1:3
	ds_read_b32 v152, v133
	ds_read_u16 v153, v132 offset:18930
	ds_read2_b32 v[132:133], v134 offset0:4 offset1:5
	ds_read2_b32 v[134:135], v134 offset0:6 offset1:7
	ds_read_b32 v147, v147
	ds_read_u16 v146, v146 offset:19954
	s_add_i32 s24, s3, -14
	s_waitcnt lgkmcnt(14)
	v_ashrrev_i32_e32 v154, s24, v104
	v_ashrrev_i32_e32 v155, s24, v105
	;; [unrolled: 1-line block ×8, first 2 shown]
	v_bfe_u32 v162, v149, 4, 4
	v_lshrrev_b32_sdwa v164, v83, v149 dst_sel:DWORD dst_unused:UNUSED_PAD src0_sel:DWORD src1_sel:BYTE_1
	s_waitcnt lgkmcnt(12)
	v_bfe_u32 v165, v151, 4, 4
	v_lshrrev_b32_sdwa v167, v83, v151 dst_sel:DWORD dst_unused:UNUSED_PAD src0_sel:DWORD src1_sel:BYTE_1
	v_cvt_f32_f16_e32 v104, v148
	v_cvt_f32_f16_sdwa v106, v148 dst_sel:DWORD dst_unused:UNUSED_PAD src0_sel:WORD_1
	s_waitcnt lgkmcnt(4)
	v_bfe_u32 v148, v153, 4, 4
	s_waitcnt lgkmcnt(0)
	v_bfe_u32 v169, v146, 4, 4
	v_mov_b32_e32 v103, 0
	v_mov_b32_e32 v138, 0
	v_mov_b32_e32 v141, 0
	v_mov_b32_e32 v144, 0
	v_cvt_f32_f16_e32 v109, v147
	v_cvt_f32_f16_e32 v108, v152
	v_cvt_f32_f16_sdwa v111, v147 dst_sel:DWORD dst_unused:UNUSED_PAD src0_sel:WORD_1
	v_cvt_f32_f16_sdwa v110, v152 dst_sel:DWORD dst_unused:UNUSED_PAD src0_sel:WORD_1
	v_and_b32_e32 v147, 0x3030303, v154
	v_and_b32_e32 v152, 0x3030303, v155
	;; [unrolled: 1-line block ×8, first 2 shown]
	v_mul_lo_u32 v160, v162, s6
	v_mul_lo_u32 v161, v164, s6
	;; [unrolled: 1-line block ×6, first 2 shown]
	v_ashrrev_i32_e32 v112, s24, v112
	v_dot4c_i32_i8_e32 v103, v160, v6
	v_dot4c_i32_i8_e32 v138, v162, v6
	;; [unrolled: 1-line block ×4, first 2 shown]
	v_mov_b32_e32 v93, 0
	v_mov_b32_e32 v137, 0
	v_ashrrev_i32_e32 v113, s24, v113
	v_ashrrev_i32_e32 v116, s24, v116
	;; [unrolled: 1-line block ×4, first 2 shown]
	v_and_b32_e32 v112, 0x3030303, v112
	v_dot4c_i32_i8_e32 v103, v160, v7
	v_dot4c_i32_i8_e32 v138, v162, v7
	v_dot4c_i32_i8_e32 v141, v148, v7
	v_dot4c_i32_i8_e32 v144, v167, v7
	v_mov_b32_e32 v136, 0
	v_mov_b32_e32 v139, 0
	;; [unrolled: 1-line block ×4, first 2 shown]
	v_ashrrev_i32_e32 v114, s24, v114
	v_ashrrev_i32_e32 v117, s24, v117
	;; [unrolled: 1-line block ×4, first 2 shown]
	v_lshrrev_b32_sdwa v168, v83, v153 dst_sel:DWORD dst_unused:UNUSED_PAD src0_sel:DWORD src1_sel:BYTE_1
	v_ashrrev_i32_e32 v129, s24, v129
	v_ashrrev_i32_e32 v132, s24, v132
	v_lshrrev_b32_sdwa v171, v83, v146 dst_sel:DWORD dst_unused:UNUSED_PAD src0_sel:DWORD src1_sel:BYTE_1
	v_and_b32_e32 v113, 0x3030303, v113
	v_and_b32_e32 v116, 0x3030303, v116
	;; [unrolled: 1-line block ×4, first 2 shown]
	v_dot4c_i32_i8_e32 v93, v147, v6
	v_dot4c_i32_i8_e32 v137, v112, v6
	;; [unrolled: 1-line block ×6, first 2 shown]
	v_mov_b32_e32 v142, 0
	v_mov_b32_e32 v145, 0
	v_ashrrev_i32_e32 v115, s24, v115
	v_ashrrev_i32_e32 v118, s24, v118
	v_ashrrev_i32_e32 v122, s24, v122
	v_ashrrev_i32_e32 v125, s24, v125
	v_ashrrev_i32_e32 v130, s24, v130
	v_ashrrev_i32_e32 v133, s24, v133
	v_and_b32_e32 v114, 0x3030303, v114
	v_and_b32_e32 v117, 0x3030303, v117
	v_and_b32_e32 v121, 0x3030303, v121
	v_and_b32_e32 v124, 0x3030303, v124
	v_mul_lo_u32 v165, v168, s6
	v_and_b32_e32 v129, 0x3030303, v129
	v_and_b32_e32 v132, 0x3030303, v132
	v_mul_lo_u32 v168, v171, s6
	v_dot4c_i32_i8_e32 v136, v156, v2
	v_dot4c_i32_i8_e32 v139, v116, v2
	;; [unrolled: 1-line block ×10, first 2 shown]
	v_ashrrev_i32_e32 v119, s24, v119
	v_ashrrev_i32_e32 v123, s24, v123
	;; [unrolled: 1-line block ×5, first 2 shown]
	v_and_b32_e32 v115, 0x3030303, v115
	v_and_b32_e32 v118, 0x3030303, v118
	v_and_b32_e32 v122, 0x3030303, v122
	v_and_b32_e32 v125, 0x3030303, v125
	v_and_b32_e32 v130, 0x3030303, v130
	v_and_b32_e32 v133, 0x3030303, v133
	v_dot4c_i32_i8_e32 v142, v124, v2
	v_dot4c_i32_i8_e32 v145, v132, v2
	;; [unrolled: 1-line block ×12, first 2 shown]
	v_and_b32_e32 v163, 15, v149
	v_and_b32_e32 v166, 15, v151
	v_ashrrev_i32_e32 v127, s24, v127
	v_ashrrev_i32_e32 v135, s24, v135
	v_and_b32_e32 v119, 0x3030303, v119
	v_and_b32_e32 v123, 0x3030303, v123
	;; [unrolled: 1-line block ×5, first 2 shown]
	v_dot4c_i32_i8_e32 v142, v125, v3
	v_dot4c_i32_i8_e32 v145, v133, v3
	;; [unrolled: 1-line block ×12, first 2 shown]
	s_add_i32 s2, s2, 2
	v_and_b32_sdwa v149, v149, v87 dst_sel:DWORD dst_unused:UNUSED_PAD src0_sel:BYTE_1 src1_sel:DWORD
	v_and_b32_sdwa v151, v151, v87 dst_sel:DWORD dst_unused:UNUSED_PAD src0_sel:BYTE_1 src1_sel:DWORD
	v_cvt_f32_f16_e32 v105, v150
	v_cvt_f32_f16_sdwa v107, v150 dst_sel:DWORD dst_unused:UNUSED_PAD src0_sel:WORD_1
	v_and_b32_e32 v150, 15, v153
	v_and_b32_e32 v170, 15, v146
	;; [unrolled: 1-line block ×4, first 2 shown]
	v_dot4c_i32_i8_e32 v142, v126, v4
	v_dot4c_i32_i8_e32 v145, v134, v4
	;; [unrolled: 1-line block ×6, first 2 shown]
	v_mul_lo_u32 v6, v166, v137
	v_mul_lo_u32 v8, v163, v93
	v_dot4c_i32_i8_e32 v103, v161, v4
	v_dot4c_i32_i8_e32 v138, v164, v4
	;; [unrolled: 1-line block ×4, first 2 shown]
	s_mov_b32 s3, s25
	s_cmp_lt_u32 s25, 22
	v_and_b32_sdwa v153, v153, v87 dst_sel:DWORD dst_unused:UNUSED_PAD src0_sel:BYTE_1 src1_sel:DWORD
	v_and_b32_sdwa v146, v146, v87 dst_sel:DWORD dst_unused:UNUSED_PAD src0_sel:BYTE_1 src1_sel:DWORD
	v_dot4c_i32_i8_e32 v142, v127, v5
	v_dot4c_i32_i8_e32 v145, v135, v5
	v_mul_lo_u32 v2, v170, v143
	v_mul_lo_u32 v112, v150, v140
	v_mad_u64_u32 v[8:9], s[24:25], v149, v136, v[8:9]
	v_mad_u64_u32 v[6:7], s[24:25], v151, v139, v[6:7]
	v_dot4c_i32_i8_e32 v103, v161, v5
	v_dot4c_i32_i8_e32 v138, v164, v5
	;; [unrolled: 1-line block ×4, first 2 shown]
	v_mad_u64_u32 v[112:113], s[24:25], v153, v142, v[112:113]
	v_mad_u64_u32 v[2:3], s[24:25], v146, v145, v[2:3]
	v_cvt_f32_i32_e32 v7, v6
	v_cvt_f32_i32_e32 v6, v8
	;; [unrolled: 1-line block ×8, first 2 shown]
	v_pk_mul_f32 v[4:5], v[106:107], v[4:5]
	v_pk_mul_f32 v[8:9], v[110:111], v[8:9]
	v_pk_fma_f32 v[4:5], v[104:105], v[6:7], v[4:5] neg_lo:[0,0,1] neg_hi:[0,0,1]
	v_pk_fma_f32 v[2:3], v[108:109], v[2:3], v[8:9] neg_lo:[0,0,1] neg_hi:[0,0,1]
	v_add_u32_e32 v91, 4, v91
	v_add_u32_e32 v89, 32, v89
	v_pk_fma_f32 v[98:99], v[102:103], v[4:5], v[98:99] op_sel_hi:[0,1,1]
	v_pk_fma_f32 v[100:101], v[102:103], v[2:3], v[100:101] op_sel_hi:[0,1,1]
	s_cbranch_scc1 .LBB208_28
; %bb.29:                               ;   in Loop: Header=BB208_5 Depth=1
	s_or_b32 s2, s29, 0x180
	s_cmp_ge_i32 s2, s5
	s_barrier
	s_cbranch_scc1 .LBB208_4
; %bb.30:                               ;   in Loop: Header=BB208_5 Depth=1
	v_add_u32_e32 v2, s19, v41
	v_cmp_gt_i32_e64 s[2:3], s8, v2
	s_and_b64 s[24:25], s[0:1], s[2:3]
	s_and_saveexec_b64 s[2:3], s[24:25]
	s_cbranch_execz .LBB208_32
; %bb.31:                               ;   in Loop: Header=BB208_5 Depth=1
	v_add_u32_e32 v2, v96, v2
	v_mad_i64_i32 v[2:3], s[24:25], v2, 36, v[94:95]
	global_load_dword v2, v[2:3], off offset:4
	s_waitcnt vmcnt(0)
	ds_write_b32 v17, v2
.LBB208_32:                             ;   in Loop: Header=BB208_5 Depth=1
	s_or_b64 exec, exec, s[2:3]
	s_and_saveexec_b64 s[24:25], vcc
	s_cbranch_execz .LBB208_35
; %bb.33:                               ;   in Loop: Header=BB208_5 Depth=1
	v_or_b32_e32 v2, s19, v11
	v_or_b32_e32 v3, 12, v2
	v_cmp_gt_i32_e64 s[2:3], s8, v3
	s_and_b64 s[2:3], s[0:1], s[2:3]
	s_and_b64 exec, exec, s[2:3]
	s_cbranch_execz .LBB208_35
; %bb.34:                               ;   in Loop: Header=BB208_5 Depth=1
	v_ashrrev_i32_e32 v3, 31, v2
	v_lshl_add_u64 v[2:3], v[96:97], 0, v[2:3]
	v_mad_u64_u32 v[4:5], s[2:3], v2, 36, s[22:23]
	v_mad_i32_i24 v5, v3, 36, v5
	global_load_dword v2, v[4:5], off
	s_waitcnt vmcnt(0)
	v_cvt_f32_f16_e32 v2, v2
	ds_write_b32 v19, v2
.LBB208_35:                             ;   in Loop: Header=BB208_5 Depth=1
	s_or_b64 exec, exec, s[24:25]
	s_mov_b32 s2, 24
	s_mov_b32 s3, 22
	v_mov_b32_e32 v89, v53
	v_mov_b32_e32 v91, v55
	s_waitcnt lgkmcnt(0)
	s_barrier
.LBB208_36:                             ;   Parent Loop BB208_5 Depth=1
                                        ; =>  This Inner Loop Header: Depth=2
	s_add_i32 s24, s3, 2
	s_and_b32 s25, s2, -16
	s_and_b32 s29, s24, 0x3ffffff8
	s_lshr_b32 s30, s24, 2
	s_add_i32 s25, s3, s25
	s_lshl_b32 s29, s29, 2
	s_and_b32 s30, s30, 0x3ffffffc
	v_add_u32_e32 v116, s25, v71
	v_add_u32_e32 v120, s25, v69
	;; [unrolled: 1-line block ×12, first 2 shown]
	ds_read_b32 v102, v91
	ds_read_b128 v[6:9], v89
	ds_read_b128 v[2:5], v89 offset:16
	ds_read2_b32 v[104:105], v110 offset1:1
	ds_read2_b32 v[106:107], v110 offset0:2 offset1:3
	ds_read2_b32 v[108:109], v110 offset0:4 offset1:5
	;; [unrolled: 1-line block ×3, first 2 shown]
	ds_read2_b32 v[112:113], v118 offset1:1
	ds_read2_b32 v[114:115], v118 offset0:2 offset1:3
	ds_read_b32 v148, v117
	ds_read_u16 v149, v116 offset:16882
	ds_read2_b32 v[116:117], v118 offset0:4 offset1:5
	ds_read2_b32 v[118:119], v118 offset0:6 offset1:7
	ds_read_b32 v150, v121
	ds_read_u16 v151, v120 offset:17906
	ds_read2_b32 v[120:121], v126 offset1:1
	ds_read2_b32 v[122:123], v126 offset0:2 offset1:3
	ds_read2_b32 v[124:125], v126 offset0:4 offset1:5
	;; [unrolled: 1-line block ×3, first 2 shown]
	ds_read2_b32 v[128:129], v134 offset1:1
	ds_read2_b32 v[130:131], v134 offset0:2 offset1:3
	ds_read_b32 v152, v133
	ds_read_u16 v153, v132 offset:18930
	ds_read2_b32 v[132:133], v134 offset0:4 offset1:5
	ds_read2_b32 v[134:135], v134 offset0:6 offset1:7
	ds_read_b32 v147, v147
	ds_read_u16 v146, v146 offset:19954
	s_sub_i32 s19, s3, 22
	s_waitcnt lgkmcnt(14)
	v_ashrrev_i32_e32 v154, s19, v104
	v_ashrrev_i32_e32 v156, s19, v106
	;; [unrolled: 1-line block ×4, first 2 shown]
	v_bfe_u32 v162, v149, 4, 4
	s_waitcnt lgkmcnt(12)
	v_bfe_u32 v164, v151, 4, 4
	v_cvt_f32_f16_e32 v104, v148
	v_cvt_f32_f16_sdwa v106, v148 dst_sel:DWORD dst_unused:UNUSED_PAD src0_sel:WORD_1
	s_waitcnt lgkmcnt(4)
	v_bfe_u32 v148, v153, 4, 4
	s_waitcnt lgkmcnt(0)
	v_bfe_u32 v168, v146, 4, 4
	v_mov_b32_e32 v138, 0
	v_mov_b32_e32 v139, 0
	;; [unrolled: 1-line block ×4, first 2 shown]
	v_ashrrev_i32_e32 v159, s19, v109
	v_ashrrev_i32_e32 v161, s19, v111
	v_cvt_f32_f16_e32 v109, v147
	v_cvt_f32_f16_sdwa v111, v147 dst_sel:DWORD dst_unused:UNUSED_PAD src0_sel:WORD_1
	v_and_b32_e32 v147, 0x3030303, v154
	v_and_b32_e32 v154, 0x3030303, v156
	;; [unrolled: 1-line block ×4, first 2 shown]
	v_mul_lo_u32 v160, v162, s6
	v_mul_lo_u32 v162, v164, s6
	;; [unrolled: 1-line block ×4, first 2 shown]
	v_ashrrev_i32_e32 v112, s19, v112
	v_dot4c_i32_i8_e32 v138, v160, v6
	v_dot4c_i32_i8_e32 v139, v162, v6
	;; [unrolled: 1-line block ×4, first 2 shown]
	v_mov_b32_e32 v93, 0
	v_mov_b32_e32 v136, 0
	v_ashrrev_i32_e32 v155, s19, v105
	v_ashrrev_i32_e32 v113, s19, v113
	;; [unrolled: 1-line block ×5, first 2 shown]
	v_and_b32_e32 v112, 0x3030303, v112
	v_dot4c_i32_i8_e32 v138, v160, v7
	v_dot4c_i32_i8_e32 v139, v162, v7
	;; [unrolled: 1-line block ×4, first 2 shown]
	v_mov_b32_e32 v103, 0
	v_mov_b32_e32 v137, 0
	;; [unrolled: 1-line block ×4, first 2 shown]
	v_ashrrev_i32_e32 v157, s19, v107
	v_ashrrev_i32_e32 v114, s19, v114
	;; [unrolled: 1-line block ×3, first 2 shown]
	v_lshrrev_b32_sdwa v163, v83, v149 dst_sel:DWORD dst_unused:UNUSED_PAD src0_sel:DWORD src1_sel:BYTE_1
	v_lshrrev_b32_sdwa v167, v83, v151 dst_sel:DWORD dst_unused:UNUSED_PAD src0_sel:DWORD src1_sel:BYTE_1
	v_cvt_f32_f16_e32 v105, v150
	v_cvt_f32_f16_sdwa v107, v150 dst_sel:DWORD dst_unused:UNUSED_PAD src0_sel:WORD_1
	v_ashrrev_i32_e32 v121, s19, v121
	v_ashrrev_i32_e32 v124, s19, v124
	;; [unrolled: 1-line block ×4, first 2 shown]
	v_lshrrev_b32_sdwa v150, v83, v153 dst_sel:DWORD dst_unused:UNUSED_PAD src0_sel:DWORD src1_sel:BYTE_1
	v_lshrrev_b32_sdwa v171, v83, v146 dst_sel:DWORD dst_unused:UNUSED_PAD src0_sel:DWORD src1_sel:BYTE_1
	v_cvt_f32_f16_e32 v108, v152
	v_cvt_f32_f16_sdwa v110, v152 dst_sel:DWORD dst_unused:UNUSED_PAD src0_sel:WORD_1
	v_and_b32_e32 v152, 0x3030303, v155
	v_and_b32_e32 v113, 0x3030303, v113
	;; [unrolled: 1-line block ×5, first 2 shown]
	v_dot4c_i32_i8_e32 v93, v147, v6
	v_dot4c_i32_i8_e32 v136, v112, v6
	;; [unrolled: 1-line block ×6, first 2 shown]
	v_mov_b32_e32 v141, 0
	v_mov_b32_e32 v143, 0
	v_ashrrev_i32_e32 v115, s19, v115
	v_ashrrev_i32_e32 v118, s19, v118
	;; [unrolled: 1-line block ×6, first 2 shown]
	v_and_b32_e32 v155, 0x3030303, v157
	v_and_b32_e32 v157, 0x3030303, v159
	;; [unrolled: 1-line block ×5, first 2 shown]
	v_mul_lo_u32 v161, v163, s6
	v_mul_lo_u32 v163, v167, s6
	v_and_b32_e32 v121, 0x3030303, v121
	v_and_b32_e32 v124, 0x3030303, v124
	;; [unrolled: 1-line block ×4, first 2 shown]
	v_mul_lo_u32 v150, v150, s6
	v_mul_lo_u32 v167, v171, s6
	v_dot4c_i32_i8_e32 v103, v156, v2
	v_dot4c_i32_i8_e32 v137, v116, v2
	;; [unrolled: 1-line block ×10, first 2 shown]
	v_ashrrev_i32_e32 v119, s19, v119
	v_ashrrev_i32_e32 v123, s19, v123
	;; [unrolled: 1-line block ×5, first 2 shown]
	v_and_b32_e32 v115, 0x3030303, v115
	v_and_b32_e32 v118, 0x3030303, v118
	v_and_b32_e32 v122, 0x3030303, v122
	v_and_b32_e32 v125, 0x3030303, v125
	v_and_b32_e32 v130, 0x3030303, v130
	v_and_b32_e32 v133, 0x3030303, v133
	v_dot4c_i32_i8_e32 v141, v124, v2
	v_dot4c_i32_i8_e32 v143, v132, v2
	v_dot4c_i32_i8_e32 v103, v157, v3
	v_dot4c_i32_i8_e32 v137, v117, v3
	v_dot4c_i32_i8_e32 v140, v121, v7
	v_dot4c_i32_i8_e32 v142, v129, v7
	v_dot4c_i32_i8_e32 v93, v154, v8
	v_dot4c_i32_i8_e32 v136, v114, v8
	v_dot4c_i32_i8_e32 v138, v161, v2
	v_dot4c_i32_i8_e32 v139, v163, v2
	v_dot4c_i32_i8_e32 v144, v150, v2
	v_dot4c_i32_i8_e32 v145, v167, v2
	v_and_b32_e32 v165, 15, v149
	v_and_b32_e32 v166, 15, v151
	v_ashrrev_i32_e32 v127, s19, v127
	v_ashrrev_i32_e32 v135, s19, v135
	v_and_b32_e32 v119, 0x3030303, v119
	v_and_b32_e32 v123, 0x3030303, v123
	;; [unrolled: 1-line block ×5, first 2 shown]
	v_dot4c_i32_i8_e32 v141, v125, v3
	v_dot4c_i32_i8_e32 v143, v133, v3
	;; [unrolled: 1-line block ×12, first 2 shown]
	s_add_i32 s2, s2, 2
	v_and_b32_sdwa v151, v151, v87 dst_sel:DWORD dst_unused:UNUSED_PAD src0_sel:BYTE_1 src1_sel:DWORD
	v_and_b32_sdwa v149, v149, v87 dst_sel:DWORD dst_unused:UNUSED_PAD src0_sel:BYTE_1 src1_sel:DWORD
	v_and_b32_e32 v169, 15, v153
	v_and_b32_e32 v170, 15, v146
	;; [unrolled: 1-line block ×4, first 2 shown]
	v_dot4c_i32_i8_e32 v141, v126, v4
	v_dot4c_i32_i8_e32 v143, v134, v4
	;; [unrolled: 1-line block ×6, first 2 shown]
	v_mul_lo_u32 v6, v166, v136
	v_mul_lo_u32 v8, v165, v93
	v_dot4c_i32_i8_e32 v138, v161, v4
	v_dot4c_i32_i8_e32 v139, v163, v4
	;; [unrolled: 1-line block ×4, first 2 shown]
	s_mov_b32 s3, s24
	s_cmp_lt_u32 s24, 30
	v_and_b32_sdwa v146, v146, v87 dst_sel:DWORD dst_unused:UNUSED_PAD src0_sel:BYTE_1 src1_sel:DWORD
	v_and_b32_sdwa v153, v153, v87 dst_sel:DWORD dst_unused:UNUSED_PAD src0_sel:BYTE_1 src1_sel:DWORD
	v_dot4c_i32_i8_e32 v141, v127, v5
	v_dot4c_i32_i8_e32 v143, v135, v5
	v_mul_lo_u32 v112, v170, v142
	v_mul_lo_u32 v114, v169, v140
	v_mad_u64_u32 v[8:9], s[24:25], v149, v103, v[8:9]
	v_mad_u64_u32 v[6:7], s[24:25], v151, v137, v[6:7]
	v_dot4c_i32_i8_e32 v138, v161, v5
	v_dot4c_i32_i8_e32 v139, v163, v5
	v_dot4c_i32_i8_e32 v144, v150, v5
	v_dot4c_i32_i8_e32 v145, v167, v5
	v_mad_u64_u32 v[2:3], s[24:25], v153, v141, v[114:115]
	v_mad_u64_u32 v[112:113], s[24:25], v146, v143, v[112:113]
	v_cvt_f32_i32_e32 v7, v6
	v_cvt_f32_i32_e32 v6, v8
	;; [unrolled: 1-line block ×8, first 2 shown]
	v_pk_mul_f32 v[4:5], v[106:107], v[4:5]
	v_pk_mul_f32 v[8:9], v[110:111], v[8:9]
	v_pk_fma_f32 v[4:5], v[104:105], v[6:7], v[4:5] neg_lo:[0,0,1] neg_hi:[0,0,1]
	v_pk_fma_f32 v[2:3], v[108:109], v[2:3], v[8:9] neg_lo:[0,0,1] neg_hi:[0,0,1]
	v_add_u32_e32 v91, 4, v91
	v_add_u32_e32 v89, 32, v89
	v_pk_fma_f32 v[98:99], v[102:103], v[4:5], v[98:99] op_sel_hi:[0,1,1]
	v_pk_fma_f32 v[100:101], v[102:103], v[2:3], v[100:101] op_sel_hi:[0,1,1]
	s_cbranch_scc1 .LBB208_36
; %bb.37:                               ;   in Loop: Header=BB208_5 Depth=1
	s_barrier
	s_branch .LBB208_4
.LBB208_38:
	v_mov_b32_e32 v2, 0
	s_mul_i32 s0, s10, s7
	s_waitcnt vmcnt(0)
	v_cmp_gt_i32_e32 vcc, s0, v1
	s_and_saveexec_b64 s[0:1], vcc
	s_cbranch_execnz .LBB208_41
.LBB208_39:
	s_endpgm
.LBB208_40:
	v_cvt_f16_f32_e32 v2, v99
	v_cvt_f16_f32_e32 v3, v98
	v_cvt_f16_f32_e32 v4, v101
	v_cvt_f16_f32_e32 v5, v100
	v_pack_b32_f16 v2, v3, v2
	v_pack_b32_f16 v3, v5, v4
	s_mul_i32 s0, s10, s7
	v_cmp_gt_i32_e32 vcc, s0, v1
	s_and_saveexec_b64 s[0:1], vcc
	s_cbranch_execz .LBB208_39
.LBB208_41:
	v_and_b32_e32 v0, 0x3ff, v0
	v_add_u32_e32 v4, s11, v0
	v_mul_lo_u32 v0, v1, s9
	v_cmp_gt_u32_e32 vcc, s9, v4
	s_and_saveexec_b64 s[0:1], vcc
	s_cbranch_execz .LBB208_43
; %bb.42:
	v_add_u32_e32 v6, v0, v4
	v_mov_b32_e32 v7, 0
	v_lshl_add_u64 v[6:7], v[6:7], 1, s[16:17]
	global_store_short v[6:7], v2, off
.LBB208_43:
	s_or_b64 exec, exec, s[0:1]
	v_add_u32_e32 v1, 32, v4
	v_cmp_gt_u32_e32 vcc, s9, v1
	s_and_saveexec_b64 s[0:1], vcc
	s_cbranch_execz .LBB208_45
; %bb.44:
	v_add_u32_e32 v6, v0, v1
	v_mov_b32_e32 v7, 0
	v_lshl_add_u64 v[6:7], v[6:7], 1, s[16:17]
	global_store_short_d16_hi v[6:7], v2, off
.LBB208_45:
	s_or_b64 exec, exec, s[0:1]
	v_add_u32_e32 v1, 64, v4
	v_cmp_gt_u32_e32 vcc, s9, v1
	s_and_saveexec_b64 s[0:1], vcc
	s_cbranch_execz .LBB208_47
; %bb.46:
	v_add_u32_e32 v6, v0, v1
	v_mov_b32_e32 v7, 0
	v_lshl_add_u64 v[6:7], v[6:7], 1, s[16:17]
	global_store_short v[6:7], v3, off
.LBB208_47:
	s_or_b64 exec, exec, s[0:1]
	v_add_u32_e32 v1, 0x60, v4
	v_cmp_gt_u32_e32 vcc, s9, v1
	s_and_b64 exec, exec, vcc
	s_cbranch_execz .LBB208_39
; %bb.48:
	v_add_u32_e32 v0, v0, v1
	v_mov_b32_e32 v1, 0
	v_lshl_add_u64 v[0:1], v[0:1], 1, s[16:17]
	global_store_short_d16_hi v[0:1], v3, off
	s_endpgm
	.section	.rodata,"a",@progbits
	.p2align	6, 0x0
	.amdhsa_kernel _ZL8moe_q2_KIN3c104HalfELb1EEvPKvS3_PT_PKiS7_S7_iiiiiii
		.amdhsa_group_segment_fixed_size 23328
		.amdhsa_private_segment_fixed_size 0
		.amdhsa_kernarg_size 76
		.amdhsa_user_sgpr_count 2
		.amdhsa_user_sgpr_dispatch_ptr 0
		.amdhsa_user_sgpr_queue_ptr 0
		.amdhsa_user_sgpr_kernarg_segment_ptr 1
		.amdhsa_user_sgpr_dispatch_id 0
		.amdhsa_user_sgpr_kernarg_preload_length 0
		.amdhsa_user_sgpr_kernarg_preload_offset 0
		.amdhsa_user_sgpr_private_segment_size 0
		.amdhsa_uses_dynamic_stack 0
		.amdhsa_enable_private_segment 0
		.amdhsa_system_sgpr_workgroup_id_x 1
		.amdhsa_system_sgpr_workgroup_id_y 1
		.amdhsa_system_sgpr_workgroup_id_z 0
		.amdhsa_system_sgpr_workgroup_info 0
		.amdhsa_system_vgpr_workitem_id 1
		.amdhsa_next_free_vgpr 172
		.amdhsa_next_free_sgpr 34
		.amdhsa_accum_offset 172
		.amdhsa_reserve_vcc 1
		.amdhsa_float_round_mode_32 0
		.amdhsa_float_round_mode_16_64 0
		.amdhsa_float_denorm_mode_32 3
		.amdhsa_float_denorm_mode_16_64 3
		.amdhsa_dx10_clamp 1
		.amdhsa_ieee_mode 1
		.amdhsa_fp16_overflow 0
		.amdhsa_tg_split 0
		.amdhsa_exception_fp_ieee_invalid_op 0
		.amdhsa_exception_fp_denorm_src 0
		.amdhsa_exception_fp_ieee_div_zero 0
		.amdhsa_exception_fp_ieee_overflow 0
		.amdhsa_exception_fp_ieee_underflow 0
		.amdhsa_exception_fp_ieee_inexact 0
		.amdhsa_exception_int_div_zero 0
	.end_amdhsa_kernel
	.section	.text._ZL8moe_q2_KIN3c104HalfELb1EEvPKvS3_PT_PKiS7_S7_iiiiiii,"axG",@progbits,_ZL8moe_q2_KIN3c104HalfELb1EEvPKvS3_PT_PKiS7_S7_iiiiiii,comdat
.Lfunc_end208:
	.size	_ZL8moe_q2_KIN3c104HalfELb1EEvPKvS3_PT_PKiS7_S7_iiiiiii, .Lfunc_end208-_ZL8moe_q2_KIN3c104HalfELb1EEvPKvS3_PT_PKiS7_S7_iiiiiii
                                        ; -- End function
	.section	.AMDGPU.csdata,"",@progbits
; Kernel info:
; codeLenInByte = 8924
; NumSgprs: 40
; NumVgprs: 172
; NumAgprs: 0
; TotalNumVgprs: 172
; ScratchSize: 0
; MemoryBound: 0
; FloatMode: 240
; IeeeMode: 1
; LDSByteSize: 23328 bytes/workgroup (compile time only)
; SGPRBlocks: 4
; VGPRBlocks: 21
; NumSGPRsForWavesPerEU: 40
; NumVGPRsForWavesPerEU: 172
; AccumOffset: 172
; Occupancy: 2
; WaveLimiterHint : 1
; COMPUTE_PGM_RSRC2:SCRATCH_EN: 0
; COMPUTE_PGM_RSRC2:USER_SGPR: 2
; COMPUTE_PGM_RSRC2:TRAP_HANDLER: 0
; COMPUTE_PGM_RSRC2:TGID_X_EN: 1
; COMPUTE_PGM_RSRC2:TGID_Y_EN: 1
; COMPUTE_PGM_RSRC2:TGID_Z_EN: 0
; COMPUTE_PGM_RSRC2:TIDIG_COMP_CNT: 1
; COMPUTE_PGM_RSRC3_GFX90A:ACCUM_OFFSET: 42
; COMPUTE_PGM_RSRC3_GFX90A:TG_SPLIT: 0
	.section	.text._ZL8moe_q3_KIN3c104HalfELb0EEvPKvS3_PT_PKiS7_S7_iiiiiii,"axG",@progbits,_ZL8moe_q3_KIN3c104HalfELb0EEvPKvS3_PT_PKiS7_S7_iiiiiii,comdat
	.globl	_ZL8moe_q3_KIN3c104HalfELb0EEvPKvS3_PT_PKiS7_S7_iiiiiii ; -- Begin function _ZL8moe_q3_KIN3c104HalfELb0EEvPKvS3_PT_PKiS7_S7_iiiiiii
	.p2align	8
	.type	_ZL8moe_q3_KIN3c104HalfELb0EEvPKvS3_PT_PKiS7_S7_iiiiiii,@function
_ZL8moe_q3_KIN3c104HalfELb0EEvPKvS3_PT_PKiS7_S7_iiiiiii: ; @_ZL8moe_q3_KIN3c104HalfELb0EEvPKvS3_PT_PKiS7_S7_iiiiiii
; %bb.0:
	s_load_dwordx4 s[4:7], s[0:1], 0x18
	s_mov_b32 s8, s3
	s_mov_b32 s9, 0
	s_lshl_b64 s[10:11], s[8:9], 2
	s_waitcnt lgkmcnt(0)
	s_add_u32 s6, s6, s10
	s_addc_u32 s7, s7, s11
	s_load_dword s3, s[6:7], 0x0
	s_waitcnt lgkmcnt(0)
	s_cmpk_gt_u32 s3, 0xff
	s_cbranch_scc1 .LBB209_39
; %bb.1:
	s_load_dwordx2 s[6:7], s[0:1], 0x28
	s_waitcnt lgkmcnt(0)
	s_load_dword s7, s[6:7], 0x0
	s_lshl_b32 s6, s8, 3
	s_waitcnt lgkmcnt(0)
	s_cmp_gt_u32 s6, s7
	s_cbranch_scc1 .LBB209_39
; %bb.2:
	v_bfe_u32 v4, v0, 10, 10
	v_mov_b32_e32 v6, s4
	v_mov_b32_e32 v7, s5
	v_add_u32_e32 v2, s6, v4
	v_mov_b32_e32 v3, 0
	v_lshl_add_u64 v[6:7], v[2:3], 2, v[6:7]
	global_load_dword v1, v[6:7], off
	s_load_dwordx2 s[14:15], s[0:1], 0x30
	s_load_dwordx2 s[12:13], s[0:1], 0x10
	s_load_dwordx4 s[4:7], s[0:1], 0x3c
	s_lshl_b32 s24, s2, 7
	s_mov_b32 s25, 0
	s_waitcnt lgkmcnt(0)
	s_cmpk_lt_i32 s15, 0x100
	s_cbranch_scc1 .LBB209_38
; %bb.3:
	s_load_dwordx4 s[8:11], s[0:1], 0x0
	s_ashr_i32 s0, s15, 31
	s_lshr_b32 s0, s0, 24
	s_add_i32 s0, s15, s0
	s_ashr_i32 s26, s0, 8
	s_ashr_i32 s0, s5, 31
	s_lshr_b32 s0, s0, 27
	s_add_i32 s0, s5, s0
	s_mul_i32 s3, s3, s14
	s_ashr_i32 s5, s0, 5
	s_ashr_i32 s0, s3, 31
	s_waitcnt lgkmcnt(0)
	s_add_u32 s1, s8, s3
	s_mul_i32 s2, s26, s24
	s_addc_u32 s0, s9, s0
	s_mul_hi_i32 s3, s2, 0x6e
	s_mulk_i32 s2, 0x6e
	s_add_u32 s27, s1, s2
	s_addc_u32 s28, s0, s3
	s_lshl_b32 s1, s26, 3
	v_mov_b32_e32 v5, s1
	v_mad_i32_i24 v16, s26, v4, v5
	v_add_u32_e32 v18, s1, v16
	v_add_u32_e32 v20, s1, v18
	;; [unrolled: 1-line block ×9, first 2 shown]
	v_and_b32_e32 v11, 0x3ff, v0
	v_add_u32_e32 v36, s1, v34
	v_add_u32_e32 v38, s1, v36
	v_lshlrev_b32_e32 v5, 4, v4
	v_lshrrev_b32_e32 v6, 1, v11
	v_add_u32_e32 v40, s1, v38
	v_and_b32_e32 v46, 1, v11
	v_add_u32_e32 v7, v6, v5
	v_add_u32_e32 v42, s1, v40
	v_and_b32_e32 v8, 0x7f, v7
	v_lshlrev_b32_e32 v9, 2, v46
	v_lshrrev_b32_e32 v7, 2, v7
	v_add_u32_e32 v44, s1, v42
	v_mul_i32_i24_e32 v48, s26, v8
	v_lshl_or_b32 v8, v8, 3, v9
	v_and_b32_e32 v7, 28, v7
	s_movk_i32 s1, 0x7380
	v_lshrrev_b32_e32 v10, 4, v11
	v_add3_u32 v47, v8, v7, s1
	v_lshlrev_b32_e32 v7, 1, v4
	v_add_u32_e32 v8, v10, v7
	s_lshl_b32 s3, s26, 4
	v_add_u32_e32 v49, 16, v8
	v_mov_b32_e32 v51, s3
	v_and_b32_e32 v2, 15, v11
	v_mad_i32_i24 v56, s26, v8, v51
	v_lshlrev_b32_e32 v51, 1, v49
	v_lshlrev_b32_e32 v12, 2, v2
	s_movk_i32 s2, 0x4200
	v_and_b32_e32 v51, 0x3ffc, v51
	v_lshlrev_b32_e32 v108, 6, v49
	v_add_u32_e32 v49, 32, v8
	v_add3_u32 v107, v51, v12, s2
	v_lshlrev_b32_e32 v51, 1, v49
	v_and_b32_e32 v51, 0x3ffc, v51
	v_lshlrev_b32_e32 v110, 6, v49
	v_add_u32_e32 v49, 48, v8
	v_add3_u32 v109, v51, v12, s2
	v_lshlrev_b32_e32 v51, 1, v49
	;; [unrolled: 5-line block ×4, first 2 shown]
	v_mul_i32_i24_e32 v54, s26, v8
	v_lshlrev_b32_e32 v9, 6, v8
	v_add_u32_e32 v58, s3, v56
	v_and_b32_e32 v51, 0x3ffc, v51
	v_lshlrev_b32_e32 v116, 6, v49
	v_add_u32_e32 v49, 0x60, v8
	v_add_u32_e32 v8, 0x70, v8
	v_cmp_lt_u32_e32 vcc, 7, v2
	v_and_b32_e32 v2, 7, v11
	v_add_u32_e32 v60, s3, v58
	v_add3_u32 v115, v51, v12, s2
	v_lshlrev_b32_e32 v51, 1, v49
	v_lshlrev_b32_e32 v118, 6, v49
	;; [unrolled: 1-line block ×3, first 2 shown]
	v_cndmask_b32_e64 v50, 0, 1, vcc
	v_lshlrev_b32_e32 v52, 2, v2
	v_add_u16_e32 v7, v10, v7
	v_add_u32_e32 v62, s3, v60
	v_and_b32_e32 v51, 0x3ffc, v51
	v_and_b32_e32 v49, 0x3ffc, v49
	v_cmp_lt_u32_e32 vcc, 3, v2
	v_and_b32_e32 v2, 3, v11
	v_lshrrev_b16_e32 v7, 1, v7
	v_add_u32_e32 v64, s3, v62
	v_add3_u32 v117, v51, v12, s2
	v_add3_u32 v119, v49, v12, s2
	v_lshlrev_b32_e32 v59, 2, v4
	v_lshrrev_b32_e32 v49, 3, v11
	v_cndmask_b32_e64 v70, 0, 1, vcc
	v_add_u16_e32 v51, -2, v2
	v_cmp_gt_u32_e32 vcc, 2, v2
	v_lshlrev_b32_e32 v7, 2, v7
	v_add_u32_e32 v66, s3, v64
	v_add_u32_e32 v57, v49, v59
	v_cndmask_b32_e32 v55, v51, v2, vcc
	v_mov_b32_e32 v61, 2
	v_add3_u32 v7, v7, v12, s2
	v_add_u32_e32 v68, s3, v66
	v_cmp_lt_u32_e32 vcc, 1, v2
	v_lshlrev_b32_sdwa v72, v61, v55 dst_sel:DWORD dst_unused:UNUSED_PAD src0_sel:DWORD src1_sel:BYTE_0
	v_lshlrev_b32_e32 v55, 1, v2
	v_and_b32_e32 v2, 0x1ffc, v57
	s_movk_i32 s2, 0x6300
	s_lshl_b32 s3, s26, 5
	v_add3_u32 v120, v2, v52, s2
	v_add_u32_e32 v2, 32, v57
	v_mov_b32_e32 v61, s3
	v_mad_i32_i24 v76, s26, v57, v61
	v_and_b32_e32 v61, 0x3ffc, v2
	v_lshlrev_b32_e32 v123, 5, v2
	v_add_u32_e32 v2, 64, v57
	v_mov_b32_e32 v13, 0
	v_lshlrev_b32_e32 v3, 2, v11
	s_movk_i32 s0, 0x84
	v_add3_u32 v122, v61, v52, s2
	v_and_b32_e32 v61, 0x3ffc, v2
	v_lshlrev_b32_e32 v125, 5, v2
	v_add_u32_e32 v2, 0x60, v57
	v_mad_u32_u24 v15, v4, s0, v3
	v_mul_i32_i24_e32 v74, s26, v57
	v_lshlrev_b32_e32 v121, 5, v57
	v_and_b32_e32 v57, 0x3ffc, v2
	v_lshlrev_b32_e32 v127, 5, v2
	v_and_b32_e32 v2, 28, v3
	v_mov_b32_e32 v3, v13
	v_add3_u32 v126, v57, v52, s2
	v_and_b32_e32 v57, 31, v11
	v_lshl_add_u64 v[82:83], s[10:11], 0, v[2:3]
	v_lshlrev_b32_e32 v2, 7, v4
	v_lshl_or_b32 v3, v57, 2, v2
	v_mul_i32_i24_e32 v14, s26, v4
	v_add_u32_e32 v57, 0x77a0, v3
	v_or_b32_e32 v3, v59, v11
	v_mov_b32_e32 v4, 0x7ba0
	v_lshl_add_u32 v59, v3, 2, v4
	v_add_u32_e32 v3, 32, v11
	v_lshrrev_b32_e32 v4, 1, v3
	v_lshl_add_u32 v69, v3, 4, v4
	v_mov_b32_e32 v4, 0x1080
	v_lshl_add_u32 v63, v11, 4, v6
	v_lshlrev_b32_e32 v6, 2, v10
	v_lshlrev_b32_e32 v67, 3, v11
	v_mad_u32_u24 v71, v11, s0, v4
	v_lshrrev_b32_e32 v4, 2, v3
	v_add3_u32 v67, v6, v67, s1
	v_and_b32_e32 v4, 0x7c, v4
	v_lshlrev_b32_e32 v6, 3, v3
	v_add_u32_e32 v93, 64, v11
	v_add_u32_e32 v92, 0x60, v11
	v_add3_u32 v75, v6, v4, s1
	v_mov_b32_e32 v4, 0x2100
	v_add3_u32 v124, v61, v52, s2
	v_lshrrev_b32_e32 v84, 1, v92
	v_mad_u32_u24 v79, v11, s0, v4
	v_lshrrev_b32_e32 v4, 2, v93
	s_abs_i32 s2, s7
	v_and_b32_e32 v4, 0x7c, v4
	v_lshlrev_b32_e32 v6, 3, v93
	v_lshl_add_u32 v86, v92, 4, v84
	v_cvt_f32_u32_e32 v84, s2
	v_add3_u32 v81, v6, v4, s1
	v_mov_b32_e32 v4, 0x3180
	v_mad_u32_u24 v87, v11, s0, v4
	v_lshrrev_b32_e32 v4, 2, v92
	v_and_b32_e32 v4, 0x7c, v4
	v_lshlrev_b32_e32 v6, 3, v92
	v_add3_u32 v88, v6, v4, s1
	v_rcp_iflag_f32_e32 v4, v84
	s_sub_i32 s0, 0, s2
	s_waitcnt vmcnt(0)
	v_sub_u32_e32 v84, 0, v1
	v_max_i32_e32 v84, v1, v84
	v_mul_f32_e32 v4, 0x4f7ffffe, v4
	v_cvt_u32_f32_e32 v4, v4
	v_xor_b32_e32 v6, s7, v1
	s_add_u32 s8, s10, 0x90
	v_ashrrev_i32_e32 v6, 31, v6
	v_mul_lo_u32 v85, s0, v4
	v_mul_hi_u32 v85, v4, v85
	v_add_u32_e32 v4, v4, v85
	v_mul_hi_u32 v4, v84, v4
	v_mul_lo_u32 v85, v4, s2
	v_sub_u32_e32 v84, v84, v85
	v_add_u32_e32 v85, 1, v4
	v_cmp_le_u32_e64 s[0:1], s2, v84
	s_addc_u32 s9, s11, 0
	s_add_u32 s16, s10, 0x120
	v_cndmask_b32_e64 v4, v4, v85, s[0:1]
	v_subrev_u32_e32 v85, s2, v84
	v_cndmask_b32_e64 v84, v84, v85, s[0:1]
	v_add_u32_e32 v85, 1, v4
	v_cmp_le_u32_e64 s[0:1], s2, v84
	v_lshrrev_b32_e32 v77, 1, v93
	s_addc_u32 s17, s11, 0
	v_cndmask_b32_e64 v4, v4, v85, s[0:1]
	v_xor_b32_e32 v4, v4, v6
	v_sub_u32_e32 v4, v4, v6
	v_lshlrev_b32_e32 v8, 6, v8
	v_cndmask_b32_e64 v51, 0, 1, vcc
	v_add_u32_e32 v78, s3, v76
	v_lshlrev_b32_e32 v61, 5, v11
	v_lshl_add_u32 v77, v93, 4, v77
	v_lshrrev_b32_e32 v90, 3, v93
	v_lshrrev_b32_e32 v91, 3, v92
	v_mul_lo_u32 v84, v4, s5
	s_add_u32 s18, s10, 0x1b0
	v_and_b32_e32 v92, 0x1fc, v92
	v_and_b32_e32 v93, 0x1fc, v93
	;; [unrolled: 1-line block ×4, first 2 shown]
	s_movk_i32 s14, 0x6e
	v_add_u32_e32 v17, 0x420, v15
	v_add_u32_e32 v19, 0x840, v15
	v_add_u32_e32 v21, 0xc60, v15
	v_add_u32_e32 v23, 0x1080, v15
	v_add_u32_e32 v25, 0x14a0, v15
	v_add_u32_e32 v27, 0x18c0, v15
	v_add_u32_e32 v29, 0x1ce0, v15
	v_add_u32_e32 v31, 0x2100, v15
	v_add_u32_e32 v33, 0x2520, v15
	v_add_u32_e32 v35, 0x2940, v15
	v_add_u32_e32 v37, 0x2d60, v15
	v_add_u32_e32 v39, 0x3180, v15
	v_add_u32_e32 v41, 0x35a0, v15
	v_add_u32_e32 v43, 0x39c0, v15
	v_add_u32_e32 v45, 0x3de0, v15
	v_mov_b32_e32 v53, v13
	v_lshlrev_b32_e32 v51, 2, v51
	v_mov_b32_e32 v73, v13
	v_add_u32_e32 v80, s3, v78
	v_cmp_gt_u32_e32 vcc, 4, v11
	v_mul_u32_u24_e32 v65, 0x84, v11
	v_lshrrev_b32_e32 v89, 3, v3
	v_cmp_gt_i32_e64 s[0:1], s4, v4
	v_ashrrev_i32_e32 v85, 31, v84
	s_addc_u32 s19, s11, 0
	v_add_u32_e32 v96, 0x77a0, v2
	v_add_u32_e32 v97, 0x7ba0, v5
	;; [unrolled: 1-line block ×18, first 2 shown]
	s_mov_b64 s[20:21], 0x60
	s_mov_b32 s29, 0x30303030
	s_movk_i32 s30, 0x3f00
	s_movk_i32 s31, 0xe000
	v_add_u32_e32 v114, v120, v121
	v_add_u32_e32 v115, v122, v123
	;; [unrolled: 1-line block ×4, first 2 shown]
	v_mov_b32_e32 v122, 8
	v_mov_b32_e32 v118, v13
	;; [unrolled: 1-line block ×5, first 2 shown]
	s_branch .LBB209_5
.LBB209_4:                              ;   in Loop: Header=BB209_5 Depth=1
	s_add_i32 s25, s25, 2
	s_cmp_ge_i32 s25, s26
	s_cbranch_scc1 .LBB209_40
.LBB209_5:                              ; =>This Loop Header: Depth=1
                                        ;     Child Loop BB209_12 Depth 2
                                        ;     Child Loop BB209_20 Depth 2
	;; [unrolled: 1-line block ×4, first 2 shown]
	s_mul_i32 s2, s25, 0x6e
	s_mul_hi_u32 s3, s25, 0x6e
	s_add_u32 s2, s27, s2
	s_addc_u32 s3, s28, s3
	v_mov_b64_e32 v[2:3], s[2:3]
	v_mad_u64_u32 v[4:5], s[2:3], v10, s14, v[2:3]
	v_lshl_add_u64 v[4:5], v[4:5], 0, v[12:13]
	v_lshl_add_u64 v[4:5], v[4:5], 0, 32
	v_mad_u64_u32 v[6:7], s[2:3], v14, s14, v[4:5]
	v_mad_u64_u32 v[8:9], s[2:3], v16, s14, v[4:5]
	v_mad_u64_u32 v[124:125], s[2:3], v18, s14, v[4:5]
	v_mad_u64_u32 v[126:127], s[2:3], v20, s14, v[4:5]
	v_mad_u64_u32 v[128:129], s[2:3], v22, s14, v[4:5]
	v_mad_u64_u32 v[130:131], s[2:3], v24, s14, v[4:5]
	v_mad_u64_u32 v[132:133], s[2:3], v26, s14, v[4:5]
	v_mad_u64_u32 v[134:135], s[2:3], v28, s14, v[4:5]
	global_load_dword v123, v[6:7], off
	global_load_dword v136, v[8:9], off
	;; [unrolled: 1-line block ×8, first 2 shown]
	v_mad_u64_u32 v[6:7], s[2:3], v30, s14, v[4:5]
	v_mad_u64_u32 v[8:9], s[2:3], v32, s14, v[4:5]
	;; [unrolled: 1-line block ×8, first 2 shown]
	global_load_dword v143, v[6:7], off
	global_load_dword v144, v[8:9], off
	;; [unrolled: 1-line block ×8, first 2 shown]
	v_mad_u64_u32 v[6:7], s[2:3], v50, s14, v[2:3]
	v_mad_u64_u32 v[4:5], s[2:3], v48, s14, v[2:3]
	v_lshl_add_u64 v[6:7], v[6:7], 0, v[52:53]
	v_mad_u64_u32 v[4:5], s[2:3], v46, s14, v[4:5]
	v_mad_u64_u32 v[124:125], s[2:3], v56, s14, v[6:7]
	;; [unrolled: 1-line block ×9, first 2 shown]
	global_load_ushort v151, v[4:5], off offset:108
	global_load_dword v152, v[8:9], off
	s_nop 0
	global_load_dword v124, v[124:125], off
	s_nop 0
	;; [unrolled: 2-line block ×3, first 2 shown]
	global_load_dword v126, v[128:129], off
	global_load_dword v127, v[130:131], off
	s_nop 0
	global_load_dword v128, v[132:133], off
	global_load_dword v129, v[134:135], off
	v_mad_u64_u32 v[4:5], s[2:3], v68, s14, v[6:7]
	v_lshl_add_u64 v[2:3], v[2:3], 0, s[20:21]
	global_load_dword v130, v[4:5], off
	v_mad_u64_u32 v[4:5], s[2:3], v74, s14, v[2:3]
	v_lshl_add_u64 v[6:7], v[4:5], 0, v[72:73]
	global_load_dword v131, v[6:7], off
	v_mad_u64_u32 v[6:7], s[2:3], v76, s14, v[2:3]
	v_mad_u64_u32 v[8:9], s[2:3], v78, s14, v[2:3]
	;; [unrolled: 1-line block ×3, first 2 shown]
	global_load_dword v132, v[2:3], off offset:8
	global_load_dword v133, v[8:9], off offset:8
	;; [unrolled: 1-line block ×4, first 2 shown]
	v_lshl_add_u64 v[4:5], v[6:7], 0, v[72:73]
	global_load_dword v6, v[4:5], off
	v_lshl_add_u64 v[4:5], v[8:9], 0, v[72:73]
	global_load_dword v4, v[4:5], off
	s_waitcnt vmcnt(31)
	ds_write_b32 v15, v123
	s_waitcnt vmcnt(30)
	ds_write_b32 v17, v136
	;; [unrolled: 2-line block ×6, first 2 shown]
	v_lshl_add_u64 v[2:3], v[2:3], 0, v[72:73]
	global_load_dword v2, v[2:3], off
	s_waitcnt vmcnt(26)
	ds_write_b32 v27, v141
	s_waitcnt vmcnt(25)
	ds_write_b32 v29, v142
	;; [unrolled: 2-line block ×7, first 2 shown]
	s_lshl_b32 s34, s25, 8
	s_cmp_lt_i32 s34, s15
	s_waitcnt vmcnt(16)
	v_cvt_f32_f16_e32 v3, v151
	ds_write_b32 v41, v148
	ds_write_b32 v43, v149
	;; [unrolled: 1-line block ×4, first 2 shown]
	s_waitcnt vmcnt(15)
	v_not_b32_e32 v3, v152
	ds_write_b32 v106, v3
	s_waitcnt vmcnt(14)
	v_not_b32_e32 v3, v124
	ds_write_b32 v107, v3
	;; [unrolled: 3-line block ×8, first 2 shown]
	s_waitcnt vmcnt(7)
	v_ashrrev_i32_e32 v3, v51, v131
	v_and_b32_e32 v3, 0xf0f0f0f, v3
	s_waitcnt vmcnt(3)
	v_ashrrev_i32_e32 v5, v55, v135
	v_lshlrev_b32_e32 v5, 4, v5
	v_and_or_b32 v3, v5, s29, v3
	v_lshlrev_b16_e32 v7, 8, v3
	v_and_b32_e32 v5, 0x3f00, v3
	v_add_u16_e32 v7, 0xe000, v7
	v_or_b32_sdwa v5, v5, v7 dst_sel:DWORD dst_unused:UNUSED_PAD src0_sel:DWORD src1_sel:BYTE_1
	v_and_b32_sdwa v7, v3, s30 dst_sel:DWORD dst_unused:UNUSED_PAD src0_sel:WORD_1 src1_sel:DWORD
	v_lshlrev_b16_sdwa v3, v122, v3 dst_sel:DWORD dst_unused:UNUSED_PAD src0_sel:DWORD src1_sel:WORD_1
	v_add_u16_e32 v3, 0xe000, v3
	v_or_b32_sdwa v3, v7, v3 dst_sel:DWORD dst_unused:UNUSED_PAD src0_sel:DWORD src1_sel:BYTE_1
	v_add_u16_e32 v5, 0xe000, v5
	v_add_u16_sdwa v3, v3, s31 dst_sel:WORD_1 dst_unused:UNUSED_PAD src0_sel:DWORD src1_sel:DWORD
	s_waitcnt vmcnt(0)
	v_ashrrev_i32_e32 v2, v51, v2
	v_or_b32_e32 v3, v5, v3
	ds_write_b32 v114, v3
	v_ashrrev_i32_e32 v3, v51, v6
	v_ashrrev_i32_e32 v5, v55, v134
	v_and_b32_e32 v3, 0xf0f0f0f, v3
	v_lshlrev_b32_e32 v5, 4, v5
	v_and_or_b32 v3, v5, s29, v3
	v_lshlrev_b16_e32 v6, 8, v3
	v_and_b32_e32 v5, 0x3f00, v3
	v_add_u16_e32 v6, 0xe000, v6
	v_or_b32_sdwa v5, v5, v6 dst_sel:DWORD dst_unused:UNUSED_PAD src0_sel:DWORD src1_sel:BYTE_1
	v_and_b32_sdwa v6, v3, s30 dst_sel:DWORD dst_unused:UNUSED_PAD src0_sel:WORD_1 src1_sel:DWORD
	v_lshlrev_b16_sdwa v3, v122, v3 dst_sel:DWORD dst_unused:UNUSED_PAD src0_sel:DWORD src1_sel:WORD_1
	v_add_u16_e32 v3, 0xe000, v3
	v_or_b32_sdwa v3, v6, v3 dst_sel:DWORD dst_unused:UNUSED_PAD src0_sel:DWORD src1_sel:BYTE_1
	v_add_u16_e32 v5, 0xe000, v5
	v_add_u16_sdwa v3, v3, s31 dst_sel:WORD_1 dst_unused:UNUSED_PAD src0_sel:DWORD src1_sel:DWORD
	v_and_b32_e32 v2, 0xf0f0f0f, v2
	v_or_b32_e32 v3, v5, v3
	ds_write_b32 v115, v3
	v_ashrrev_i32_e32 v3, v51, v4
	v_ashrrev_i32_e32 v4, v55, v133
	v_and_b32_e32 v3, 0xf0f0f0f, v3
	v_lshlrev_b32_e32 v4, 4, v4
	v_and_or_b32 v3, v4, s29, v3
	v_lshlrev_b16_e32 v5, 8, v3
	v_and_b32_e32 v4, 0x3f00, v3
	v_add_u16_e32 v5, 0xe000, v5
	v_or_b32_sdwa v4, v4, v5 dst_sel:DWORD dst_unused:UNUSED_PAD src0_sel:DWORD src1_sel:BYTE_1
	v_and_b32_sdwa v5, v3, s30 dst_sel:DWORD dst_unused:UNUSED_PAD src0_sel:WORD_1 src1_sel:DWORD
	v_lshlrev_b16_sdwa v3, v122, v3 dst_sel:DWORD dst_unused:UNUSED_PAD src0_sel:DWORD src1_sel:WORD_1
	v_add_u16_e32 v3, 0xe000, v3
	v_or_b32_sdwa v3, v5, v3 dst_sel:DWORD dst_unused:UNUSED_PAD src0_sel:DWORD src1_sel:BYTE_1
	v_add_u16_e32 v4, 0xe000, v4
	v_add_u16_sdwa v3, v3, s31 dst_sel:WORD_1 dst_unused:UNUSED_PAD src0_sel:DWORD src1_sel:DWORD
	s_nop 0
	v_or_b32_e32 v3, v4, v3
	ds_write_b32 v116, v3
	v_ashrrev_i32_e32 v3, v55, v132
	v_lshlrev_b32_e32 v3, 4, v3
	v_and_or_b32 v2, v3, s29, v2
	v_lshlrev_b16_e32 v4, 8, v2
	v_and_b32_e32 v3, 0x3f00, v2
	v_add_u16_e32 v4, 0xe000, v4
	v_or_b32_sdwa v3, v3, v4 dst_sel:DWORD dst_unused:UNUSED_PAD src0_sel:DWORD src1_sel:BYTE_1
	v_and_b32_sdwa v4, v2, s30 dst_sel:DWORD dst_unused:UNUSED_PAD src0_sel:WORD_1 src1_sel:DWORD
	v_lshlrev_b16_sdwa v2, v122, v2 dst_sel:DWORD dst_unused:UNUSED_PAD src0_sel:DWORD src1_sel:WORD_1
	v_add_u16_e32 v2, 0xe000, v2
	v_or_b32_sdwa v2, v4, v2 dst_sel:DWORD dst_unused:UNUSED_PAD src0_sel:DWORD src1_sel:BYTE_1
	v_add_u16_e32 v3, 0xe000, v3
	v_add_u16_sdwa v2, v2, s31 dst_sel:WORD_1 dst_unused:UNUSED_PAD src0_sel:DWORD src1_sel:DWORD
	s_nop 0
	v_or_b32_e32 v2, v3, v2
	ds_write_b32 v117, v2
	s_cbranch_scc0 .LBB209_4
; %bb.6:                                ;   in Loop: Header=BB209_5 Depth=1
	s_lshl_b32 s33, s25, 3
	v_add_u32_e32 v2, s33, v49
	v_cmp_gt_i32_e64 s[2:3], s5, v2
	s_and_b64 s[22:23], s[0:1], s[2:3]
	s_and_saveexec_b64 s[2:3], s[22:23]
	s_cbranch_execz .LBB209_8
; %bb.7:                                ;   in Loop: Header=BB209_5 Depth=1
	v_add_u32_e32 v2, v84, v2
	v_mad_i64_i32 v[2:3], s[22:23], v2, 36, v[82:83]
	global_load_dword v2, v[2:3], off offset:4
	s_waitcnt vmcnt(0)
	ds_write_b32 v57, v2
.LBB209_8:                              ;   in Loop: Header=BB209_5 Depth=1
	s_or_b64 exec, exec, s[2:3]
	s_and_saveexec_b64 s[22:23], vcc
	s_cbranch_execz .LBB209_11
; %bb.9:                                ;   in Loop: Header=BB209_5 Depth=1
	v_or_b32_e32 v2, s33, v11
	v_cmp_gt_i32_e64 s[2:3], s5, v2
	s_and_b64 s[2:3], s[0:1], s[2:3]
	s_and_b64 exec, exec, s[2:3]
	s_cbranch_execz .LBB209_11
; %bb.10:                               ;   in Loop: Header=BB209_5 Depth=1
	v_add_u32_e32 v2, v84, v2
	v_mad_i64_i32 v[2:3], s[2:3], v2, 36, s[10:11]
	global_load_dword v2, v[2:3], off
	s_waitcnt vmcnt(0)
	v_cvt_f32_f16_e32 v2, v2
	ds_write_b32 v59, v2
.LBB209_11:                             ;   in Loop: Header=BB209_5 Depth=1
	s_or_b64 exec, exec, s[22:23]
	s_mov_b32 s22, -2
	s_mov_b32 s2, 0
	v_mov_b32_e32 v123, v97
	v_mov_b32_e32 v124, v96
	s_mov_b32 s3, 0
	s_waitcnt lgkmcnt(0)
	s_barrier
.LBB209_12:                             ;   Parent Loop BB209_5 Depth=1
                                        ; =>  This Inner Loop Header: Depth=2
	s_and_b32 s23, s3, -16
	v_add_u32_e32 v126, s23, v61
	s_add_i32 s23, s22, 2
	s_lshr_b32 s37, s23, 4
	s_and_b32 s36, s23, 0x3ffffff8
	s_lshl_b32 s35, s37, 3
	s_lshl_b32 s36, s36, 2
	v_add_lshl_u32 v133, v63, s35, 2
	v_add_u32_e32 v127, s36, v65
	v_add_u32_e32 v130, 0x4200, v133
	ds_read_b32 v125, v123
	ds_read_b128 v[6:9], v124
	ds_read_b128 v[2:5], v124 offset:16
	ds_read2_b32 v[128:129], v127 offset1:1
	ds_read2_b32 v[130:131], v130 offset1:1
	s_lshl_b32 s37, s37, 2
	s_add_i32 s3, s3, 2
	v_add_u32_e32 v124, 32, v124
	s_waitcnt lgkmcnt(1)
	v_ashrrev_i32_e32 v128, s23, v128
	s_waitcnt lgkmcnt(0)
	v_ashrrev_i32_e32 v130, s2, v130
	v_lshlrev_b32_e32 v130, 2, v130
	v_and_b32_e32 v132, 0x3030303, v128
	v_bfe_u32 v128, v128, 24, 2
	v_and_b32_e32 v130, 0x4040404, v130
	v_sub_u16_e32 v134, v132, v130
	v_sub_u16_sdwa v135, v132, v130 dst_sel:BYTE_1 dst_unused:UNUSED_PAD src0_sel:BYTE_1 src1_sel:BYTE_1
	v_sub_u16_sdwa v128, v128, v130 dst_sel:BYTE_1 dst_unused:UNUSED_PAD src0_sel:DWORD src1_sel:BYTE_3
	v_sub_u16_sdwa v130, v132, v130 dst_sel:DWORD dst_unused:UNUSED_PAD src0_sel:WORD_1 src1_sel:WORD_1
	v_or_b32_sdwa v134, v134, v135 dst_sel:DWORD dst_unused:UNUSED_PAD src0_sel:BYTE_0 src1_sel:DWORD
	v_or_b32_sdwa v128, v130, v128 dst_sel:WORD_1 dst_unused:UNUSED_PAD src0_sel:BYTE_0 src1_sel:DWORD
	v_ashrrev_i32_e32 v130, s2, v131
	v_or_b32_sdwa v132, v134, v128 dst_sel:DWORD dst_unused:UNUSED_PAD src0_sel:WORD_0 src1_sel:DWORD
	v_ashrrev_i32_e32 v128, s23, v129
	v_lshlrev_b32_e32 v130, 2, v130
	v_and_b32_e32 v129, 0x3030303, v128
	v_bfe_u32 v128, v128, 24, 2
	v_and_b32_e32 v130, 0x4040404, v130
	v_sub_u16_e32 v131, v129, v130
	v_sub_u16_sdwa v134, v129, v130 dst_sel:BYTE_1 dst_unused:UNUSED_PAD src0_sel:BYTE_1 src1_sel:BYTE_1
	v_sub_u16_sdwa v128, v128, v130 dst_sel:BYTE_1 dst_unused:UNUSED_PAD src0_sel:DWORD src1_sel:BYTE_3
	v_sub_u16_sdwa v129, v129, v130 dst_sel:DWORD dst_unused:UNUSED_PAD src0_sel:WORD_1 src1_sel:WORD_1
	v_or_b32_sdwa v131, v131, v134 dst_sel:DWORD dst_unused:UNUSED_PAD src0_sel:BYTE_0 src1_sel:DWORD
	v_or_b32_sdwa v128, v129, v128 dst_sel:WORD_1 dst_unused:UNUSED_PAD src0_sel:BYTE_0 src1_sel:DWORD
	v_add_u32_e32 v130, 0x4208, v133
	v_or_b32_sdwa v134, v131, v128 dst_sel:DWORD dst_unused:UNUSED_PAD src0_sel:WORD_0 src1_sel:DWORD
	ds_read2_b32 v[128:129], v127 offset0:2 offset1:3
	ds_read2_b32 v[130:131], v130 offset1:1
	v_add_u32_e32 v123, 4, v123
	s_waitcnt lgkmcnt(1)
	v_ashrrev_i32_e32 v128, s23, v128
	s_waitcnt lgkmcnt(0)
	v_ashrrev_i32_e32 v130, s2, v130
	v_lshlrev_b32_e32 v130, 2, v130
	v_and_b32_e32 v135, 0x3030303, v128
	v_bfe_u32 v128, v128, 24, 2
	v_and_b32_e32 v130, 0x4040404, v130
	v_sub_u16_e32 v136, v135, v130
	v_sub_u16_sdwa v137, v135, v130 dst_sel:BYTE_1 dst_unused:UNUSED_PAD src0_sel:BYTE_1 src1_sel:BYTE_1
	v_sub_u16_sdwa v128, v128, v130 dst_sel:BYTE_1 dst_unused:UNUSED_PAD src0_sel:DWORD src1_sel:BYTE_3
	v_sub_u16_sdwa v130, v135, v130 dst_sel:DWORD dst_unused:UNUSED_PAD src0_sel:WORD_1 src1_sel:WORD_1
	v_or_b32_sdwa v136, v136, v137 dst_sel:DWORD dst_unused:UNUSED_PAD src0_sel:BYTE_0 src1_sel:DWORD
	v_or_b32_sdwa v128, v130, v128 dst_sel:WORD_1 dst_unused:UNUSED_PAD src0_sel:BYTE_0 src1_sel:DWORD
	v_ashrrev_i32_e32 v130, s2, v131
	v_or_b32_sdwa v135, v136, v128 dst_sel:DWORD dst_unused:UNUSED_PAD src0_sel:WORD_0 src1_sel:DWORD
	v_ashrrev_i32_e32 v128, s23, v129
	v_lshlrev_b32_e32 v130, 2, v130
	v_and_b32_e32 v129, 0x3030303, v128
	v_bfe_u32 v128, v128, 24, 2
	v_and_b32_e32 v130, 0x4040404, v130
	v_sub_u16_e32 v131, v129, v130
	v_sub_u16_sdwa v136, v129, v130 dst_sel:BYTE_1 dst_unused:UNUSED_PAD src0_sel:BYTE_1 src1_sel:BYTE_1
	v_sub_u16_sdwa v128, v128, v130 dst_sel:BYTE_1 dst_unused:UNUSED_PAD src0_sel:DWORD src1_sel:BYTE_3
	v_sub_u16_sdwa v129, v129, v130 dst_sel:DWORD dst_unused:UNUSED_PAD src0_sel:WORD_1 src1_sel:WORD_1
	v_or_b32_sdwa v131, v131, v136 dst_sel:DWORD dst_unused:UNUSED_PAD src0_sel:BYTE_0 src1_sel:DWORD
	v_or_b32_sdwa v128, v129, v128 dst_sel:WORD_1 dst_unused:UNUSED_PAD src0_sel:BYTE_0 src1_sel:DWORD
	v_add_u32_e32 v130, 0x4210, v133
	v_or_b32_sdwa v136, v131, v128 dst_sel:DWORD dst_unused:UNUSED_PAD src0_sel:WORD_0 src1_sel:DWORD
	ds_read2_b32 v[128:129], v127 offset0:4 offset1:5
	ds_read2_b32 v[130:131], v130 offset1:1
	s_waitcnt lgkmcnt(1)
	v_ashrrev_i32_e32 v128, s23, v128
	s_waitcnt lgkmcnt(0)
	v_ashrrev_i32_e32 v130, s2, v130
	v_lshlrev_b32_e32 v130, 2, v130
	v_and_b32_e32 v137, 0x3030303, v128
	v_bfe_u32 v128, v128, 24, 2
	v_and_b32_e32 v130, 0x4040404, v130
	v_sub_u16_e32 v138, v137, v130
	v_sub_u16_sdwa v139, v137, v130 dst_sel:BYTE_1 dst_unused:UNUSED_PAD src0_sel:BYTE_1 src1_sel:BYTE_1
	v_sub_u16_sdwa v128, v128, v130 dst_sel:BYTE_1 dst_unused:UNUSED_PAD src0_sel:DWORD src1_sel:BYTE_3
	v_sub_u16_sdwa v130, v137, v130 dst_sel:DWORD dst_unused:UNUSED_PAD src0_sel:WORD_1 src1_sel:WORD_1
	v_or_b32_sdwa v138, v138, v139 dst_sel:DWORD dst_unused:UNUSED_PAD src0_sel:BYTE_0 src1_sel:DWORD
	v_or_b32_sdwa v128, v130, v128 dst_sel:WORD_1 dst_unused:UNUSED_PAD src0_sel:BYTE_0 src1_sel:DWORD
	v_ashrrev_i32_e32 v130, s2, v131
	v_or_b32_sdwa v137, v138, v128 dst_sel:DWORD dst_unused:UNUSED_PAD src0_sel:WORD_0 src1_sel:DWORD
	v_ashrrev_i32_e32 v128, s23, v129
	v_lshlrev_b32_e32 v130, 2, v130
	v_and_b32_e32 v129, 0x3030303, v128
	v_bfe_u32 v128, v128, 24, 2
	v_and_b32_e32 v130, 0x4040404, v130
	v_sub_u16_e32 v131, v129, v130
	v_sub_u16_sdwa v138, v129, v130 dst_sel:BYTE_1 dst_unused:UNUSED_PAD src0_sel:BYTE_1 src1_sel:BYTE_1
	v_sub_u16_sdwa v128, v128, v130 dst_sel:BYTE_1 dst_unused:UNUSED_PAD src0_sel:DWORD src1_sel:BYTE_3
	v_sub_u16_sdwa v129, v129, v130 dst_sel:DWORD dst_unused:UNUSED_PAD src0_sel:WORD_1 src1_sel:WORD_1
	v_or_b32_sdwa v131, v131, v138 dst_sel:DWORD dst_unused:UNUSED_PAD src0_sel:BYTE_0 src1_sel:DWORD
	v_or_b32_sdwa v128, v129, v128 dst_sel:WORD_1 dst_unused:UNUSED_PAD src0_sel:BYTE_0 src1_sel:DWORD
	v_add_u32_e32 v130, 0x4218, v133
	v_or_b32_sdwa v138, v131, v128 dst_sel:DWORD dst_unused:UNUSED_PAD src0_sel:WORD_0 src1_sel:DWORD
	ds_read2_b32 v[128:129], v127 offset0:6 offset1:7
	ds_read2_b32 v[130:131], v130 offset1:1
	s_waitcnt lgkmcnt(1)
	v_ashrrev_i32_e32 v127, s23, v128
	s_waitcnt lgkmcnt(0)
	v_ashrrev_i32_e32 v130, s2, v130
	v_lshlrev_b32_e32 v130, 2, v130
	v_and_b32_e32 v128, 0x3030303, v127
	v_bfe_u32 v127, v127, 24, 2
	v_and_b32_e32 v130, 0x4040404, v130
	v_sub_u16_e32 v133, v128, v130
	v_sub_u16_sdwa v139, v128, v130 dst_sel:BYTE_1 dst_unused:UNUSED_PAD src0_sel:BYTE_1 src1_sel:BYTE_1
	v_sub_u16_sdwa v127, v127, v130 dst_sel:BYTE_1 dst_unused:UNUSED_PAD src0_sel:DWORD src1_sel:BYTE_3
	v_sub_u16_sdwa v128, v128, v130 dst_sel:DWORD dst_unused:UNUSED_PAD src0_sel:WORD_1 src1_sel:WORD_1
	v_ashrrev_i32_e32 v130, s2, v131
	v_or_b32_sdwa v127, v128, v127 dst_sel:WORD_1 dst_unused:UNUSED_PAD src0_sel:BYTE_0 src1_sel:DWORD
	v_ashrrev_i32_e32 v128, s23, v129
	v_lshlrev_b32_e32 v130, 2, v130
	v_or_b32_sdwa v133, v133, v139 dst_sel:DWORD dst_unused:UNUSED_PAD src0_sel:BYTE_0 src1_sel:DWORD
	v_and_b32_e32 v129, 0x3030303, v128
	v_bfe_u32 v128, v128, 24, 2
	v_and_b32_e32 v130, 0x4040404, v130
	v_or_b32_sdwa v127, v133, v127 dst_sel:DWORD dst_unused:UNUSED_PAD src0_sel:WORD_0 src1_sel:DWORD
	v_sub_u16_e32 v131, v129, v130
	v_sub_u16_sdwa v133, v129, v130 dst_sel:BYTE_1 dst_unused:UNUSED_PAD src0_sel:BYTE_1 src1_sel:BYTE_1
	v_sub_u16_sdwa v128, v128, v130 dst_sel:BYTE_1 dst_unused:UNUSED_PAD src0_sel:DWORD src1_sel:BYTE_3
	v_sub_u16_sdwa v129, v129, v130 dst_sel:DWORD dst_unused:UNUSED_PAD src0_sel:WORD_1 src1_sel:WORD_1
	v_or_b32_sdwa v131, v131, v133 dst_sel:DWORD dst_unused:UNUSED_PAD src0_sel:BYTE_0 src1_sel:DWORD
	v_or_b32_sdwa v128, v129, v128 dst_sel:WORD_1 dst_unused:UNUSED_PAD src0_sel:BYTE_0 src1_sel:DWORD
	v_add_u32_e32 v130, s37, v67
	v_or_b32_sdwa v129, v131, v128 dst_sel:DWORD dst_unused:UNUSED_PAD src0_sel:WORD_0 src1_sel:DWORD
	v_add3_u32 v128, v95, s22, v126
	ds_read_b32 v130, v130
	ds_read_u16 v128, v128 offset:25346
	v_mov_b32_e32 v131, 0
	v_dot4c_i32_i8_e32 v131, v132, v6
	v_dot4c_i32_i8_e32 v131, v134, v7
	;; [unrolled: 1-line block ×4, first 2 shown]
	s_waitcnt lgkmcnt(0)
	v_lshrrev_b16_e32 v132, 8, v128
	v_bfe_i32 v128, v128, 0, 8
	v_add_lshl_u32 v133, v69, s35, 2
	v_mul_lo_u32 v128, v131, v128
	v_mov_b32_e32 v131, 0
	v_dot4c_i32_i8_e32 v131, v137, v2
	v_dot4c_i32_i8_e32 v131, v138, v3
	;; [unrolled: 1-line block ×4, first 2 shown]
	v_bfe_i32 v127, v132, 0, 8
	s_nop 1
	v_mad_u64_u32 v[128:129], s[38:39], v131, v127, v[128:129]
	v_cvt_f32_i32_e32 v128, v128
	v_mul_f32_e32 v127, v125, v130
	v_add_u32_e32 v130, 0x4200, v133
	ds_read2_b32 v[130:131], v130 offset1:1
	v_fmac_f32_e32 v118, v127, v128
	v_add_u32_e32 v127, s36, v71
	ds_read2_b32 v[128:129], v127 offset1:1
	s_waitcnt lgkmcnt(1)
	v_ashrrev_i32_e32 v130, s2, v130
	v_lshlrev_b32_e32 v130, 2, v130
	v_and_b32_e32 v130, 0x4040404, v130
	s_waitcnt lgkmcnt(0)
	v_ashrrev_i32_e32 v128, s23, v128
	v_and_b32_e32 v132, 0x3030303, v128
	v_bfe_u32 v128, v128, 24, 2
	v_sub_u16_e32 v134, v132, v130
	v_sub_u16_sdwa v135, v132, v130 dst_sel:BYTE_1 dst_unused:UNUSED_PAD src0_sel:BYTE_1 src1_sel:BYTE_1
	v_sub_u16_sdwa v128, v128, v130 dst_sel:BYTE_1 dst_unused:UNUSED_PAD src0_sel:DWORD src1_sel:BYTE_3
	v_sub_u16_sdwa v130, v132, v130 dst_sel:DWORD dst_unused:UNUSED_PAD src0_sel:WORD_1 src1_sel:WORD_1
	v_or_b32_sdwa v134, v134, v135 dst_sel:DWORD dst_unused:UNUSED_PAD src0_sel:BYTE_0 src1_sel:DWORD
	v_or_b32_sdwa v128, v130, v128 dst_sel:WORD_1 dst_unused:UNUSED_PAD src0_sel:BYTE_0 src1_sel:DWORD
	v_ashrrev_i32_e32 v130, s2, v131
	v_or_b32_sdwa v132, v134, v128 dst_sel:DWORD dst_unused:UNUSED_PAD src0_sel:WORD_0 src1_sel:DWORD
	v_ashrrev_i32_e32 v128, s23, v129
	v_lshlrev_b32_e32 v130, 2, v130
	v_and_b32_e32 v129, 0x3030303, v128
	v_bfe_u32 v128, v128, 24, 2
	v_and_b32_e32 v130, 0x4040404, v130
	v_sub_u16_e32 v131, v129, v130
	v_sub_u16_sdwa v134, v129, v130 dst_sel:BYTE_1 dst_unused:UNUSED_PAD src0_sel:BYTE_1 src1_sel:BYTE_1
	v_sub_u16_sdwa v128, v128, v130 dst_sel:BYTE_1 dst_unused:UNUSED_PAD src0_sel:DWORD src1_sel:BYTE_3
	v_sub_u16_sdwa v129, v129, v130 dst_sel:DWORD dst_unused:UNUSED_PAD src0_sel:WORD_1 src1_sel:WORD_1
	v_or_b32_sdwa v131, v131, v134 dst_sel:DWORD dst_unused:UNUSED_PAD src0_sel:BYTE_0 src1_sel:DWORD
	v_or_b32_sdwa v128, v129, v128 dst_sel:WORD_1 dst_unused:UNUSED_PAD src0_sel:BYTE_0 src1_sel:DWORD
	v_add_u32_e32 v130, 0x4208, v133
	v_or_b32_sdwa v134, v131, v128 dst_sel:DWORD dst_unused:UNUSED_PAD src0_sel:WORD_0 src1_sel:DWORD
	ds_read2_b32 v[128:129], v127 offset0:2 offset1:3
	ds_read2_b32 v[130:131], v130 offset1:1
	s_waitcnt lgkmcnt(1)
	v_ashrrev_i32_e32 v128, s23, v128
	s_waitcnt lgkmcnt(0)
	v_ashrrev_i32_e32 v130, s2, v130
	v_lshlrev_b32_e32 v130, 2, v130
	v_and_b32_e32 v135, 0x3030303, v128
	v_bfe_u32 v128, v128, 24, 2
	v_and_b32_e32 v130, 0x4040404, v130
	v_sub_u16_e32 v136, v135, v130
	v_sub_u16_sdwa v137, v135, v130 dst_sel:BYTE_1 dst_unused:UNUSED_PAD src0_sel:BYTE_1 src1_sel:BYTE_1
	v_sub_u16_sdwa v128, v128, v130 dst_sel:BYTE_1 dst_unused:UNUSED_PAD src0_sel:DWORD src1_sel:BYTE_3
	v_sub_u16_sdwa v130, v135, v130 dst_sel:DWORD dst_unused:UNUSED_PAD src0_sel:WORD_1 src1_sel:WORD_1
	v_or_b32_sdwa v136, v136, v137 dst_sel:DWORD dst_unused:UNUSED_PAD src0_sel:BYTE_0 src1_sel:DWORD
	v_or_b32_sdwa v128, v130, v128 dst_sel:WORD_1 dst_unused:UNUSED_PAD src0_sel:BYTE_0 src1_sel:DWORD
	v_ashrrev_i32_e32 v130, s2, v131
	v_or_b32_sdwa v135, v136, v128 dst_sel:DWORD dst_unused:UNUSED_PAD src0_sel:WORD_0 src1_sel:DWORD
	v_ashrrev_i32_e32 v128, s23, v129
	v_lshlrev_b32_e32 v130, 2, v130
	v_and_b32_e32 v129, 0x3030303, v128
	v_bfe_u32 v128, v128, 24, 2
	v_and_b32_e32 v130, 0x4040404, v130
	v_sub_u16_e32 v131, v129, v130
	v_sub_u16_sdwa v136, v129, v130 dst_sel:BYTE_1 dst_unused:UNUSED_PAD src0_sel:BYTE_1 src1_sel:BYTE_1
	v_sub_u16_sdwa v128, v128, v130 dst_sel:BYTE_1 dst_unused:UNUSED_PAD src0_sel:DWORD src1_sel:BYTE_3
	v_sub_u16_sdwa v129, v129, v130 dst_sel:DWORD dst_unused:UNUSED_PAD src0_sel:WORD_1 src1_sel:WORD_1
	v_or_b32_sdwa v131, v131, v136 dst_sel:DWORD dst_unused:UNUSED_PAD src0_sel:BYTE_0 src1_sel:DWORD
	v_or_b32_sdwa v128, v129, v128 dst_sel:WORD_1 dst_unused:UNUSED_PAD src0_sel:BYTE_0 src1_sel:DWORD
	v_add_u32_e32 v130, 0x4210, v133
	v_or_b32_sdwa v136, v131, v128 dst_sel:DWORD dst_unused:UNUSED_PAD src0_sel:WORD_0 src1_sel:DWORD
	ds_read2_b32 v[128:129], v127 offset0:4 offset1:5
	ds_read2_b32 v[130:131], v130 offset1:1
	s_waitcnt lgkmcnt(1)
	v_ashrrev_i32_e32 v128, s23, v128
	s_waitcnt lgkmcnt(0)
	v_ashrrev_i32_e32 v130, s2, v130
	v_lshlrev_b32_e32 v130, 2, v130
	v_and_b32_e32 v137, 0x3030303, v128
	v_bfe_u32 v128, v128, 24, 2
	v_and_b32_e32 v130, 0x4040404, v130
	;; [unrolled: 31-line block ×3, first 2 shown]
	v_sub_u16_e32 v133, v128, v130
	v_sub_u16_sdwa v139, v128, v130 dst_sel:BYTE_1 dst_unused:UNUSED_PAD src0_sel:BYTE_1 src1_sel:BYTE_1
	v_sub_u16_sdwa v127, v127, v130 dst_sel:BYTE_1 dst_unused:UNUSED_PAD src0_sel:DWORD src1_sel:BYTE_3
	v_sub_u16_sdwa v128, v128, v130 dst_sel:DWORD dst_unused:UNUSED_PAD src0_sel:WORD_1 src1_sel:WORD_1
	v_ashrrev_i32_e32 v130, s2, v131
	v_or_b32_sdwa v127, v128, v127 dst_sel:WORD_1 dst_unused:UNUSED_PAD src0_sel:BYTE_0 src1_sel:DWORD
	v_ashrrev_i32_e32 v128, s23, v129
	v_lshlrev_b32_e32 v130, 2, v130
	v_or_b32_sdwa v133, v133, v139 dst_sel:DWORD dst_unused:UNUSED_PAD src0_sel:BYTE_0 src1_sel:DWORD
	v_and_b32_e32 v129, 0x3030303, v128
	v_bfe_u32 v128, v128, 24, 2
	v_and_b32_e32 v130, 0x4040404, v130
	v_or_b32_sdwa v127, v133, v127 dst_sel:DWORD dst_unused:UNUSED_PAD src0_sel:WORD_0 src1_sel:DWORD
	v_sub_u16_e32 v131, v129, v130
	v_sub_u16_sdwa v133, v129, v130 dst_sel:BYTE_1 dst_unused:UNUSED_PAD src0_sel:BYTE_1 src1_sel:BYTE_1
	v_sub_u16_sdwa v128, v128, v130 dst_sel:BYTE_1 dst_unused:UNUSED_PAD src0_sel:DWORD src1_sel:BYTE_3
	v_sub_u16_sdwa v129, v129, v130 dst_sel:DWORD dst_unused:UNUSED_PAD src0_sel:WORD_1 src1_sel:WORD_1
	v_or_b32_sdwa v131, v131, v133 dst_sel:DWORD dst_unused:UNUSED_PAD src0_sel:BYTE_0 src1_sel:DWORD
	v_or_b32_sdwa v128, v129, v128 dst_sel:WORD_1 dst_unused:UNUSED_PAD src0_sel:BYTE_0 src1_sel:DWORD
	v_add_u32_e32 v130, s37, v75
	v_or_b32_sdwa v129, v131, v128 dst_sel:DWORD dst_unused:UNUSED_PAD src0_sel:WORD_0 src1_sel:DWORD
	v_add3_u32 v128, v94, s22, v126
	ds_read_b32 v130, v130
	ds_read_u16 v128, v128 offset:26370
	v_mov_b32_e32 v131, 0
	v_dot4c_i32_i8_e32 v131, v132, v6
	v_dot4c_i32_i8_e32 v131, v134, v7
	;; [unrolled: 1-line block ×4, first 2 shown]
	s_waitcnt lgkmcnt(0)
	v_lshrrev_b16_e32 v132, 8, v128
	v_bfe_i32 v128, v128, 0, 8
	v_add_lshl_u32 v133, v77, s35, 2
	v_mul_lo_u32 v128, v131, v128
	v_mov_b32_e32 v131, 0
	v_dot4c_i32_i8_e32 v131, v137, v2
	v_dot4c_i32_i8_e32 v131, v138, v3
	;; [unrolled: 1-line block ×4, first 2 shown]
	v_bfe_i32 v127, v132, 0, 8
	s_nop 1
	v_mad_u64_u32 v[128:129], s[38:39], v131, v127, v[128:129]
	v_cvt_f32_i32_e32 v128, v128
	v_mul_f32_e32 v127, v125, v130
	v_add_u32_e32 v130, 0x4200, v133
	ds_read2_b32 v[130:131], v130 offset1:1
	v_fmac_f32_e32 v119, v127, v128
	v_add_u32_e32 v127, s36, v79
	ds_read2_b32 v[128:129], v127 offset1:1
	s_waitcnt lgkmcnt(1)
	v_ashrrev_i32_e32 v130, s2, v130
	v_lshlrev_b32_e32 v130, 2, v130
	v_and_b32_e32 v130, 0x4040404, v130
	s_waitcnt lgkmcnt(0)
	v_ashrrev_i32_e32 v128, s23, v128
	v_and_b32_e32 v132, 0x3030303, v128
	v_bfe_u32 v128, v128, 24, 2
	v_sub_u16_e32 v134, v132, v130
	v_sub_u16_sdwa v135, v132, v130 dst_sel:BYTE_1 dst_unused:UNUSED_PAD src0_sel:BYTE_1 src1_sel:BYTE_1
	v_sub_u16_sdwa v128, v128, v130 dst_sel:BYTE_1 dst_unused:UNUSED_PAD src0_sel:DWORD src1_sel:BYTE_3
	v_sub_u16_sdwa v130, v132, v130 dst_sel:DWORD dst_unused:UNUSED_PAD src0_sel:WORD_1 src1_sel:WORD_1
	v_or_b32_sdwa v134, v134, v135 dst_sel:DWORD dst_unused:UNUSED_PAD src0_sel:BYTE_0 src1_sel:DWORD
	v_or_b32_sdwa v128, v130, v128 dst_sel:WORD_1 dst_unused:UNUSED_PAD src0_sel:BYTE_0 src1_sel:DWORD
	v_ashrrev_i32_e32 v130, s2, v131
	v_or_b32_sdwa v132, v134, v128 dst_sel:DWORD dst_unused:UNUSED_PAD src0_sel:WORD_0 src1_sel:DWORD
	v_ashrrev_i32_e32 v128, s23, v129
	v_lshlrev_b32_e32 v130, 2, v130
	v_and_b32_e32 v129, 0x3030303, v128
	v_bfe_u32 v128, v128, 24, 2
	v_and_b32_e32 v130, 0x4040404, v130
	v_sub_u16_e32 v131, v129, v130
	v_sub_u16_sdwa v134, v129, v130 dst_sel:BYTE_1 dst_unused:UNUSED_PAD src0_sel:BYTE_1 src1_sel:BYTE_1
	v_sub_u16_sdwa v128, v128, v130 dst_sel:BYTE_1 dst_unused:UNUSED_PAD src0_sel:DWORD src1_sel:BYTE_3
	v_sub_u16_sdwa v129, v129, v130 dst_sel:DWORD dst_unused:UNUSED_PAD src0_sel:WORD_1 src1_sel:WORD_1
	v_or_b32_sdwa v131, v131, v134 dst_sel:DWORD dst_unused:UNUSED_PAD src0_sel:BYTE_0 src1_sel:DWORD
	v_or_b32_sdwa v128, v129, v128 dst_sel:WORD_1 dst_unused:UNUSED_PAD src0_sel:BYTE_0 src1_sel:DWORD
	v_add_u32_e32 v130, 0x4208, v133
	v_or_b32_sdwa v134, v131, v128 dst_sel:DWORD dst_unused:UNUSED_PAD src0_sel:WORD_0 src1_sel:DWORD
	ds_read2_b32 v[128:129], v127 offset0:2 offset1:3
	ds_read2_b32 v[130:131], v130 offset1:1
	s_waitcnt lgkmcnt(1)
	v_ashrrev_i32_e32 v128, s23, v128
	s_waitcnt lgkmcnt(0)
	v_ashrrev_i32_e32 v130, s2, v130
	v_lshlrev_b32_e32 v130, 2, v130
	v_and_b32_e32 v135, 0x3030303, v128
	v_bfe_u32 v128, v128, 24, 2
	v_and_b32_e32 v130, 0x4040404, v130
	v_sub_u16_e32 v136, v135, v130
	v_sub_u16_sdwa v137, v135, v130 dst_sel:BYTE_1 dst_unused:UNUSED_PAD src0_sel:BYTE_1 src1_sel:BYTE_1
	v_sub_u16_sdwa v128, v128, v130 dst_sel:BYTE_1 dst_unused:UNUSED_PAD src0_sel:DWORD src1_sel:BYTE_3
	v_sub_u16_sdwa v130, v135, v130 dst_sel:DWORD dst_unused:UNUSED_PAD src0_sel:WORD_1 src1_sel:WORD_1
	v_or_b32_sdwa v136, v136, v137 dst_sel:DWORD dst_unused:UNUSED_PAD src0_sel:BYTE_0 src1_sel:DWORD
	v_or_b32_sdwa v128, v130, v128 dst_sel:WORD_1 dst_unused:UNUSED_PAD src0_sel:BYTE_0 src1_sel:DWORD
	v_ashrrev_i32_e32 v130, s2, v131
	v_or_b32_sdwa v135, v136, v128 dst_sel:DWORD dst_unused:UNUSED_PAD src0_sel:WORD_0 src1_sel:DWORD
	v_ashrrev_i32_e32 v128, s23, v129
	v_lshlrev_b32_e32 v130, 2, v130
	v_and_b32_e32 v129, 0x3030303, v128
	v_bfe_u32 v128, v128, 24, 2
	v_and_b32_e32 v130, 0x4040404, v130
	v_sub_u16_e32 v131, v129, v130
	v_sub_u16_sdwa v136, v129, v130 dst_sel:BYTE_1 dst_unused:UNUSED_PAD src0_sel:BYTE_1 src1_sel:BYTE_1
	v_sub_u16_sdwa v128, v128, v130 dst_sel:BYTE_1 dst_unused:UNUSED_PAD src0_sel:DWORD src1_sel:BYTE_3
	v_sub_u16_sdwa v129, v129, v130 dst_sel:DWORD dst_unused:UNUSED_PAD src0_sel:WORD_1 src1_sel:WORD_1
	v_or_b32_sdwa v131, v131, v136 dst_sel:DWORD dst_unused:UNUSED_PAD src0_sel:BYTE_0 src1_sel:DWORD
	v_or_b32_sdwa v128, v129, v128 dst_sel:WORD_1 dst_unused:UNUSED_PAD src0_sel:BYTE_0 src1_sel:DWORD
	v_add_u32_e32 v130, 0x4210, v133
	v_or_b32_sdwa v136, v131, v128 dst_sel:DWORD dst_unused:UNUSED_PAD src0_sel:WORD_0 src1_sel:DWORD
	ds_read2_b32 v[128:129], v127 offset0:4 offset1:5
	ds_read2_b32 v[130:131], v130 offset1:1
	s_waitcnt lgkmcnt(1)
	v_ashrrev_i32_e32 v128, s23, v128
	s_waitcnt lgkmcnt(0)
	v_ashrrev_i32_e32 v130, s2, v130
	v_lshlrev_b32_e32 v130, 2, v130
	v_and_b32_e32 v137, 0x3030303, v128
	v_bfe_u32 v128, v128, 24, 2
	v_and_b32_e32 v130, 0x4040404, v130
	;; [unrolled: 31-line block ×3, first 2 shown]
	v_sub_u16_e32 v133, v128, v130
	v_sub_u16_sdwa v139, v128, v130 dst_sel:BYTE_1 dst_unused:UNUSED_PAD src0_sel:BYTE_1 src1_sel:BYTE_1
	v_sub_u16_sdwa v127, v127, v130 dst_sel:BYTE_1 dst_unused:UNUSED_PAD src0_sel:DWORD src1_sel:BYTE_3
	v_sub_u16_sdwa v128, v128, v130 dst_sel:DWORD dst_unused:UNUSED_PAD src0_sel:WORD_1 src1_sel:WORD_1
	v_ashrrev_i32_e32 v130, s2, v131
	v_or_b32_sdwa v127, v128, v127 dst_sel:WORD_1 dst_unused:UNUSED_PAD src0_sel:BYTE_0 src1_sel:DWORD
	v_ashrrev_i32_e32 v128, s23, v129
	v_lshlrev_b32_e32 v130, 2, v130
	v_or_b32_sdwa v133, v133, v139 dst_sel:DWORD dst_unused:UNUSED_PAD src0_sel:BYTE_0 src1_sel:DWORD
	v_and_b32_e32 v129, 0x3030303, v128
	v_bfe_u32 v128, v128, 24, 2
	v_and_b32_e32 v130, 0x4040404, v130
	v_or_b32_sdwa v127, v133, v127 dst_sel:DWORD dst_unused:UNUSED_PAD src0_sel:WORD_0 src1_sel:DWORD
	v_sub_u16_e32 v131, v129, v130
	v_sub_u16_sdwa v133, v129, v130 dst_sel:BYTE_1 dst_unused:UNUSED_PAD src0_sel:BYTE_1 src1_sel:BYTE_1
	v_sub_u16_sdwa v128, v128, v130 dst_sel:BYTE_1 dst_unused:UNUSED_PAD src0_sel:DWORD src1_sel:BYTE_3
	v_sub_u16_sdwa v129, v129, v130 dst_sel:DWORD dst_unused:UNUSED_PAD src0_sel:WORD_1 src1_sel:WORD_1
	v_or_b32_sdwa v131, v131, v133 dst_sel:DWORD dst_unused:UNUSED_PAD src0_sel:BYTE_0 src1_sel:DWORD
	v_or_b32_sdwa v128, v129, v128 dst_sel:WORD_1 dst_unused:UNUSED_PAD src0_sel:BYTE_0 src1_sel:DWORD
	v_add_u32_e32 v130, s37, v81
	v_or_b32_sdwa v129, v131, v128 dst_sel:DWORD dst_unused:UNUSED_PAD src0_sel:WORD_0 src1_sel:DWORD
	v_add3_u32 v128, v93, s22, v126
	ds_read_b32 v130, v130
	ds_read_u16 v128, v128 offset:27394
	v_mov_b32_e32 v131, 0
	v_dot4c_i32_i8_e32 v131, v132, v6
	v_dot4c_i32_i8_e32 v131, v134, v7
	;; [unrolled: 1-line block ×4, first 2 shown]
	s_waitcnt lgkmcnt(0)
	v_lshrrev_b16_e32 v132, 8, v128
	v_bfe_i32 v128, v128, 0, 8
	v_add_lshl_u32 v133, v86, s35, 2
	v_mul_lo_u32 v128, v131, v128
	v_mov_b32_e32 v131, 0
	v_dot4c_i32_i8_e32 v131, v137, v2
	v_dot4c_i32_i8_e32 v131, v138, v3
	;; [unrolled: 1-line block ×4, first 2 shown]
	v_bfe_i32 v127, v132, 0, 8
	v_add3_u32 v126, v92, s22, v126
	s_mov_b32 s22, s23
	v_mad_u64_u32 v[128:129], s[38:39], v131, v127, v[128:129]
	v_cvt_f32_i32_e32 v128, v128
	v_mul_f32_e32 v127, v125, v130
	v_add_u32_e32 v130, 0x4200, v133
	ds_read2_b32 v[130:131], v130 offset1:1
	v_fmac_f32_e32 v120, v127, v128
	v_add_u32_e32 v127, s36, v87
	ds_read2_b32 v[128:129], v127 offset1:1
	s_waitcnt lgkmcnt(1)
	v_ashrrev_i32_e32 v130, s2, v130
	v_lshlrev_b32_e32 v130, 2, v130
	v_and_b32_e32 v130, 0x4040404, v130
	s_waitcnt lgkmcnt(0)
	v_ashrrev_i32_e32 v128, s23, v128
	v_and_b32_e32 v132, 0x3030303, v128
	v_bfe_u32 v128, v128, 24, 2
	v_sub_u16_e32 v134, v132, v130
	v_sub_u16_sdwa v135, v132, v130 dst_sel:BYTE_1 dst_unused:UNUSED_PAD src0_sel:BYTE_1 src1_sel:BYTE_1
	v_sub_u16_sdwa v128, v128, v130 dst_sel:BYTE_1 dst_unused:UNUSED_PAD src0_sel:DWORD src1_sel:BYTE_3
	v_sub_u16_sdwa v130, v132, v130 dst_sel:DWORD dst_unused:UNUSED_PAD src0_sel:WORD_1 src1_sel:WORD_1
	v_or_b32_sdwa v134, v134, v135 dst_sel:DWORD dst_unused:UNUSED_PAD src0_sel:BYTE_0 src1_sel:DWORD
	v_or_b32_sdwa v128, v130, v128 dst_sel:WORD_1 dst_unused:UNUSED_PAD src0_sel:BYTE_0 src1_sel:DWORD
	v_ashrrev_i32_e32 v130, s2, v131
	v_or_b32_sdwa v132, v134, v128 dst_sel:DWORD dst_unused:UNUSED_PAD src0_sel:WORD_0 src1_sel:DWORD
	v_ashrrev_i32_e32 v128, s23, v129
	v_lshlrev_b32_e32 v130, 2, v130
	v_and_b32_e32 v129, 0x3030303, v128
	v_bfe_u32 v128, v128, 24, 2
	v_and_b32_e32 v130, 0x4040404, v130
	v_sub_u16_e32 v131, v129, v130
	v_sub_u16_sdwa v134, v129, v130 dst_sel:BYTE_1 dst_unused:UNUSED_PAD src0_sel:BYTE_1 src1_sel:BYTE_1
	v_sub_u16_sdwa v128, v128, v130 dst_sel:BYTE_1 dst_unused:UNUSED_PAD src0_sel:DWORD src1_sel:BYTE_3
	v_sub_u16_sdwa v129, v129, v130 dst_sel:DWORD dst_unused:UNUSED_PAD src0_sel:WORD_1 src1_sel:WORD_1
	v_or_b32_sdwa v131, v131, v134 dst_sel:DWORD dst_unused:UNUSED_PAD src0_sel:BYTE_0 src1_sel:DWORD
	v_or_b32_sdwa v128, v129, v128 dst_sel:WORD_1 dst_unused:UNUSED_PAD src0_sel:BYTE_0 src1_sel:DWORD
	v_add_u32_e32 v130, 0x4208, v133
	v_or_b32_sdwa v134, v131, v128 dst_sel:DWORD dst_unused:UNUSED_PAD src0_sel:WORD_0 src1_sel:DWORD
	ds_read2_b32 v[128:129], v127 offset0:2 offset1:3
	ds_read2_b32 v[130:131], v130 offset1:1
	s_waitcnt lgkmcnt(1)
	v_ashrrev_i32_e32 v128, s23, v128
	s_waitcnt lgkmcnt(0)
	v_ashrrev_i32_e32 v130, s2, v130
	v_lshlrev_b32_e32 v130, 2, v130
	v_and_b32_e32 v135, 0x3030303, v128
	v_bfe_u32 v128, v128, 24, 2
	v_and_b32_e32 v130, 0x4040404, v130
	v_sub_u16_e32 v136, v135, v130
	v_sub_u16_sdwa v137, v135, v130 dst_sel:BYTE_1 dst_unused:UNUSED_PAD src0_sel:BYTE_1 src1_sel:BYTE_1
	v_sub_u16_sdwa v128, v128, v130 dst_sel:BYTE_1 dst_unused:UNUSED_PAD src0_sel:DWORD src1_sel:BYTE_3
	v_sub_u16_sdwa v130, v135, v130 dst_sel:DWORD dst_unused:UNUSED_PAD src0_sel:WORD_1 src1_sel:WORD_1
	v_or_b32_sdwa v136, v136, v137 dst_sel:DWORD dst_unused:UNUSED_PAD src0_sel:BYTE_0 src1_sel:DWORD
	v_or_b32_sdwa v128, v130, v128 dst_sel:WORD_1 dst_unused:UNUSED_PAD src0_sel:BYTE_0 src1_sel:DWORD
	v_ashrrev_i32_e32 v130, s2, v131
	v_or_b32_sdwa v135, v136, v128 dst_sel:DWORD dst_unused:UNUSED_PAD src0_sel:WORD_0 src1_sel:DWORD
	v_ashrrev_i32_e32 v128, s23, v129
	v_lshlrev_b32_e32 v130, 2, v130
	v_and_b32_e32 v129, 0x3030303, v128
	v_bfe_u32 v128, v128, 24, 2
	v_and_b32_e32 v130, 0x4040404, v130
	v_sub_u16_e32 v131, v129, v130
	v_sub_u16_sdwa v136, v129, v130 dst_sel:BYTE_1 dst_unused:UNUSED_PAD src0_sel:BYTE_1 src1_sel:BYTE_1
	v_sub_u16_sdwa v128, v128, v130 dst_sel:BYTE_1 dst_unused:UNUSED_PAD src0_sel:DWORD src1_sel:BYTE_3
	v_sub_u16_sdwa v129, v129, v130 dst_sel:DWORD dst_unused:UNUSED_PAD src0_sel:WORD_1 src1_sel:WORD_1
	v_or_b32_sdwa v131, v131, v136 dst_sel:DWORD dst_unused:UNUSED_PAD src0_sel:BYTE_0 src1_sel:DWORD
	v_or_b32_sdwa v128, v129, v128 dst_sel:WORD_1 dst_unused:UNUSED_PAD src0_sel:BYTE_0 src1_sel:DWORD
	v_add_u32_e32 v130, 0x4210, v133
	v_or_b32_sdwa v136, v131, v128 dst_sel:DWORD dst_unused:UNUSED_PAD src0_sel:WORD_0 src1_sel:DWORD
	ds_read2_b32 v[128:129], v127 offset0:4 offset1:5
	ds_read2_b32 v[130:131], v130 offset1:1
	s_waitcnt lgkmcnt(1)
	v_ashrrev_i32_e32 v128, s23, v128
	s_waitcnt lgkmcnt(0)
	v_ashrrev_i32_e32 v130, s2, v130
	v_lshlrev_b32_e32 v130, 2, v130
	v_and_b32_e32 v137, 0x3030303, v128
	v_bfe_u32 v128, v128, 24, 2
	v_and_b32_e32 v130, 0x4040404, v130
	;; [unrolled: 31-line block ×3, first 2 shown]
	v_sub_u16_e32 v133, v128, v130
	v_sub_u16_sdwa v139, v128, v130 dst_sel:BYTE_1 dst_unused:UNUSED_PAD src0_sel:BYTE_1 src1_sel:BYTE_1
	v_sub_u16_sdwa v127, v127, v130 dst_sel:BYTE_1 dst_unused:UNUSED_PAD src0_sel:DWORD src1_sel:BYTE_3
	v_sub_u16_sdwa v128, v128, v130 dst_sel:DWORD dst_unused:UNUSED_PAD src0_sel:WORD_1 src1_sel:WORD_1
	v_ashrrev_i32_e32 v130, s2, v131
	v_or_b32_sdwa v127, v128, v127 dst_sel:WORD_1 dst_unused:UNUSED_PAD src0_sel:BYTE_0 src1_sel:DWORD
	v_ashrrev_i32_e32 v128, s23, v129
	v_lshlrev_b32_e32 v130, 2, v130
	v_or_b32_sdwa v133, v133, v139 dst_sel:DWORD dst_unused:UNUSED_PAD src0_sel:BYTE_0 src1_sel:DWORD
	v_and_b32_e32 v129, 0x3030303, v128
	v_bfe_u32 v128, v128, 24, 2
	v_and_b32_e32 v130, 0x4040404, v130
	v_or_b32_sdwa v127, v133, v127 dst_sel:DWORD dst_unused:UNUSED_PAD src0_sel:WORD_0 src1_sel:DWORD
	v_sub_u16_e32 v131, v129, v130
	v_sub_u16_sdwa v133, v129, v130 dst_sel:BYTE_1 dst_unused:UNUSED_PAD src0_sel:BYTE_1 src1_sel:BYTE_1
	v_sub_u16_sdwa v128, v128, v130 dst_sel:BYTE_1 dst_unused:UNUSED_PAD src0_sel:DWORD src1_sel:BYTE_3
	v_sub_u16_sdwa v129, v129, v130 dst_sel:DWORD dst_unused:UNUSED_PAD src0_sel:WORD_1 src1_sel:WORD_1
	v_or_b32_sdwa v128, v129, v128 dst_sel:WORD_1 dst_unused:UNUSED_PAD src0_sel:BYTE_0 src1_sel:DWORD
	v_add_u32_e32 v129, s37, v88
	v_mov_b32_e32 v130, 0
	ds_read_b32 v129, v129
	v_dot4c_i32_i8_e32 v130, v132, v6
	ds_read_u16 v6, v126 offset:28418
	v_dot4c_i32_i8_e32 v130, v134, v7
	v_dot4c_i32_i8_e32 v130, v135, v8
	v_mov_b32_e32 v8, 0
	v_dot4c_i32_i8_e32 v8, v137, v2
	v_or_b32_sdwa v131, v131, v133 dst_sel:DWORD dst_unused:UNUSED_PAD src0_sel:BYTE_0 src1_sel:DWORD
	v_dot4c_i32_i8_e32 v8, v138, v3
	v_or_b32_sdwa v128, v131, v128 dst_sel:DWORD dst_unused:UNUSED_PAD src0_sel:WORD_0 src1_sel:DWORD
	v_dot4c_i32_i8_e32 v130, v136, v9
	s_waitcnt lgkmcnt(0)
	v_lshrrev_b16_e32 v7, 8, v6
	v_bfe_i32 v6, v6, 0, 8
	v_dot4c_i32_i8_e32 v8, v127, v4
	v_mul_lo_u32 v6, v130, v6
	v_dot4c_i32_i8_e32 v8, v128, v5
	v_bfe_i32 v2, v7, 0, 8
	s_add_i32 s2, s2, 1
	s_cmp_lt_u32 s23, 6
	v_mad_u64_u32 v[2:3], s[36:37], v8, v2, v[6:7]
	v_cvt_f32_i32_e32 v2, v2
	v_mul_f32_e32 v3, v125, v129
	v_fmac_f32_e32 v121, v3, v2
	s_cbranch_scc1 .LBB209_12
; %bb.13:                               ;   in Loop: Header=BB209_5 Depth=1
	s_or_b32 s2, s34, 0x80
	s_cmp_ge_i32 s2, s15
	s_barrier
	s_cbranch_scc1 .LBB209_4
; %bb.14:                               ;   in Loop: Header=BB209_5 Depth=1
	v_add_u32_e32 v2, s33, v89
	v_cmp_gt_i32_e64 s[2:3], s5, v2
	s_and_b64 s[22:23], s[0:1], s[2:3]
	s_and_saveexec_b64 s[2:3], s[22:23]
	s_cbranch_execz .LBB209_16
; %bb.15:                               ;   in Loop: Header=BB209_5 Depth=1
	v_add_u32_e32 v2, v84, v2
	v_mad_i64_i32 v[2:3], s[22:23], v2, 36, v[82:83]
	global_load_dword v2, v[2:3], off offset:4
	s_waitcnt vmcnt(0)
	ds_write_b32 v57, v2
.LBB209_16:                             ;   in Loop: Header=BB209_5 Depth=1
	s_or_b64 exec, exec, s[2:3]
	s_and_saveexec_b64 s[22:23], vcc
	s_cbranch_execz .LBB209_19
; %bb.17:                               ;   in Loop: Header=BB209_5 Depth=1
	v_or_b32_e32 v2, s33, v11
	v_or_b32_e32 v3, 4, v2
	v_cmp_gt_i32_e64 s[2:3], s5, v3
	s_and_b64 s[2:3], s[0:1], s[2:3]
	s_and_b64 exec, exec, s[2:3]
	s_cbranch_execz .LBB209_19
; %bb.18:                               ;   in Loop: Header=BB209_5 Depth=1
	v_ashrrev_i32_e32 v3, 31, v2
	v_lshl_add_u64 v[2:3], v[84:85], 0, v[2:3]
	v_mad_u64_u32 v[4:5], s[2:3], v2, 36, s[8:9]
	v_mad_i32_i24 v5, v3, 36, v5
	global_load_dword v2, v[4:5], off
	s_waitcnt vmcnt(0)
	v_cvt_f32_f16_e32 v2, v2
	ds_write_b32 v59, v2
.LBB209_19:                             ;   in Loop: Header=BB209_5 Depth=1
	s_or_b64 exec, exec, s[22:23]
	s_mov_b32 s2, 8
	s_mov_b32 s3, 0
	s_mov_b32 s22, 4
	v_mov_b32_e32 v123, v96
	v_mov_b32_e32 v124, v97
	s_waitcnt lgkmcnt(0)
	s_barrier
.LBB209_20:                             ;   Parent Loop BB209_5 Depth=1
                                        ; =>  This Inner Loop Header: Depth=2
	s_add_i32 s23, s3, 8
	s_lshr_b32 s38, s23, 4
	s_and_b32 s37, s23, 0x3ffffff8
	s_lshl_b32 s36, s38, 3
	s_lshl_b32 s37, s37, 2
	v_add_lshl_u32 v132, v63, s36, 2
	v_add_u32_e32 v130, s37, v65
	v_add_u32_e32 v128, 0x4200, v132
	ds_read_b32 v125, v124
	ds_read_b128 v[6:9], v123
	ds_read_b128 v[2:5], v123 offset:16
	ds_read2_b32 v[126:127], v130 offset1:1
	ds_read2_b32 v[128:129], v128 offset1:1
	s_and_b32 s35, s2, -16
	s_lshl_b32 s38, s38, 2
	s_add_i32 s2, s2, 2
	s_waitcnt lgkmcnt(1)
	v_ashrrev_i32_e32 v126, s3, v126
	s_waitcnt lgkmcnt(0)
	v_ashrrev_i32_e32 v128, s22, v128
	v_lshlrev_b32_e32 v128, 2, v128
	v_and_b32_e32 v131, 0x3030303, v126
	v_bfe_u32 v126, v126, 24, 2
	v_and_b32_e32 v128, 0x4040404, v128
	v_sub_u16_e32 v133, v131, v128
	v_sub_u16_sdwa v134, v131, v128 dst_sel:BYTE_1 dst_unused:UNUSED_PAD src0_sel:BYTE_1 src1_sel:BYTE_1
	v_sub_u16_sdwa v126, v126, v128 dst_sel:BYTE_1 dst_unused:UNUSED_PAD src0_sel:DWORD src1_sel:BYTE_3
	v_sub_u16_sdwa v128, v131, v128 dst_sel:DWORD dst_unused:UNUSED_PAD src0_sel:WORD_1 src1_sel:WORD_1
	v_or_b32_sdwa v133, v133, v134 dst_sel:DWORD dst_unused:UNUSED_PAD src0_sel:BYTE_0 src1_sel:DWORD
	v_or_b32_sdwa v126, v128, v126 dst_sel:WORD_1 dst_unused:UNUSED_PAD src0_sel:BYTE_0 src1_sel:DWORD
	v_ashrrev_i32_e32 v128, s22, v129
	v_or_b32_sdwa v131, v133, v126 dst_sel:DWORD dst_unused:UNUSED_PAD src0_sel:WORD_0 src1_sel:DWORD
	v_ashrrev_i32_e32 v126, s3, v127
	v_lshlrev_b32_e32 v128, 2, v128
	v_and_b32_e32 v127, 0x3030303, v126
	v_bfe_u32 v126, v126, 24, 2
	v_and_b32_e32 v128, 0x4040404, v128
	v_sub_u16_e32 v129, v127, v128
	v_sub_u16_sdwa v133, v127, v128 dst_sel:BYTE_1 dst_unused:UNUSED_PAD src0_sel:BYTE_1 src1_sel:BYTE_1
	v_sub_u16_sdwa v126, v126, v128 dst_sel:BYTE_1 dst_unused:UNUSED_PAD src0_sel:DWORD src1_sel:BYTE_3
	v_sub_u16_sdwa v127, v127, v128 dst_sel:DWORD dst_unused:UNUSED_PAD src0_sel:WORD_1 src1_sel:WORD_1
	v_or_b32_sdwa v129, v129, v133 dst_sel:DWORD dst_unused:UNUSED_PAD src0_sel:BYTE_0 src1_sel:DWORD
	v_or_b32_sdwa v126, v127, v126 dst_sel:WORD_1 dst_unused:UNUSED_PAD src0_sel:BYTE_0 src1_sel:DWORD
	v_add_u32_e32 v128, 0x4208, v132
	v_or_b32_sdwa v133, v129, v126 dst_sel:DWORD dst_unused:UNUSED_PAD src0_sel:WORD_0 src1_sel:DWORD
	ds_read2_b32 v[126:127], v130 offset0:2 offset1:3
	ds_read2_b32 v[128:129], v128 offset1:1
	v_add_u32_e32 v124, 4, v124
	v_add_u32_e32 v123, 32, v123
	s_waitcnt lgkmcnt(1)
	v_ashrrev_i32_e32 v126, s3, v126
	s_waitcnt lgkmcnt(0)
	v_ashrrev_i32_e32 v128, s22, v128
	v_lshlrev_b32_e32 v128, 2, v128
	v_and_b32_e32 v134, 0x3030303, v126
	v_bfe_u32 v126, v126, 24, 2
	v_and_b32_e32 v128, 0x4040404, v128
	v_sub_u16_e32 v135, v134, v128
	v_sub_u16_sdwa v136, v134, v128 dst_sel:BYTE_1 dst_unused:UNUSED_PAD src0_sel:BYTE_1 src1_sel:BYTE_1
	v_sub_u16_sdwa v126, v126, v128 dst_sel:BYTE_1 dst_unused:UNUSED_PAD src0_sel:DWORD src1_sel:BYTE_3
	v_sub_u16_sdwa v128, v134, v128 dst_sel:DWORD dst_unused:UNUSED_PAD src0_sel:WORD_1 src1_sel:WORD_1
	v_or_b32_sdwa v135, v135, v136 dst_sel:DWORD dst_unused:UNUSED_PAD src0_sel:BYTE_0 src1_sel:DWORD
	v_or_b32_sdwa v126, v128, v126 dst_sel:WORD_1 dst_unused:UNUSED_PAD src0_sel:BYTE_0 src1_sel:DWORD
	v_ashrrev_i32_e32 v128, s22, v129
	v_or_b32_sdwa v134, v135, v126 dst_sel:DWORD dst_unused:UNUSED_PAD src0_sel:WORD_0 src1_sel:DWORD
	v_ashrrev_i32_e32 v126, s3, v127
	v_lshlrev_b32_e32 v128, 2, v128
	v_and_b32_e32 v127, 0x3030303, v126
	v_bfe_u32 v126, v126, 24, 2
	v_and_b32_e32 v128, 0x4040404, v128
	v_sub_u16_e32 v129, v127, v128
	v_sub_u16_sdwa v135, v127, v128 dst_sel:BYTE_1 dst_unused:UNUSED_PAD src0_sel:BYTE_1 src1_sel:BYTE_1
	v_sub_u16_sdwa v126, v126, v128 dst_sel:BYTE_1 dst_unused:UNUSED_PAD src0_sel:DWORD src1_sel:BYTE_3
	v_sub_u16_sdwa v127, v127, v128 dst_sel:DWORD dst_unused:UNUSED_PAD src0_sel:WORD_1 src1_sel:WORD_1
	v_or_b32_sdwa v129, v129, v135 dst_sel:DWORD dst_unused:UNUSED_PAD src0_sel:BYTE_0 src1_sel:DWORD
	v_or_b32_sdwa v126, v127, v126 dst_sel:WORD_1 dst_unused:UNUSED_PAD src0_sel:BYTE_0 src1_sel:DWORD
	v_add_u32_e32 v128, 0x4210, v132
	v_or_b32_sdwa v135, v129, v126 dst_sel:DWORD dst_unused:UNUSED_PAD src0_sel:WORD_0 src1_sel:DWORD
	ds_read2_b32 v[126:127], v130 offset0:4 offset1:5
	ds_read2_b32 v[128:129], v128 offset1:1
	s_waitcnt lgkmcnt(1)
	v_ashrrev_i32_e32 v126, s3, v126
	s_waitcnt lgkmcnt(0)
	v_ashrrev_i32_e32 v128, s22, v128
	v_lshlrev_b32_e32 v128, 2, v128
	v_and_b32_e32 v136, 0x3030303, v126
	v_bfe_u32 v126, v126, 24, 2
	v_and_b32_e32 v128, 0x4040404, v128
	v_sub_u16_e32 v137, v136, v128
	v_sub_u16_sdwa v138, v136, v128 dst_sel:BYTE_1 dst_unused:UNUSED_PAD src0_sel:BYTE_1 src1_sel:BYTE_1
	v_sub_u16_sdwa v126, v126, v128 dst_sel:BYTE_1 dst_unused:UNUSED_PAD src0_sel:DWORD src1_sel:BYTE_3
	v_sub_u16_sdwa v128, v136, v128 dst_sel:DWORD dst_unused:UNUSED_PAD src0_sel:WORD_1 src1_sel:WORD_1
	v_or_b32_sdwa v137, v137, v138 dst_sel:DWORD dst_unused:UNUSED_PAD src0_sel:BYTE_0 src1_sel:DWORD
	v_or_b32_sdwa v126, v128, v126 dst_sel:WORD_1 dst_unused:UNUSED_PAD src0_sel:BYTE_0 src1_sel:DWORD
	v_ashrrev_i32_e32 v128, s22, v129
	v_or_b32_sdwa v136, v137, v126 dst_sel:DWORD dst_unused:UNUSED_PAD src0_sel:WORD_0 src1_sel:DWORD
	v_ashrrev_i32_e32 v126, s3, v127
	v_lshlrev_b32_e32 v128, 2, v128
	v_and_b32_e32 v127, 0x3030303, v126
	v_bfe_u32 v126, v126, 24, 2
	v_and_b32_e32 v128, 0x4040404, v128
	v_sub_u16_e32 v129, v127, v128
	v_sub_u16_sdwa v137, v127, v128 dst_sel:BYTE_1 dst_unused:UNUSED_PAD src0_sel:BYTE_1 src1_sel:BYTE_1
	v_sub_u16_sdwa v126, v126, v128 dst_sel:BYTE_1 dst_unused:UNUSED_PAD src0_sel:DWORD src1_sel:BYTE_3
	v_sub_u16_sdwa v127, v127, v128 dst_sel:DWORD dst_unused:UNUSED_PAD src0_sel:WORD_1 src1_sel:WORD_1
	v_or_b32_sdwa v129, v129, v137 dst_sel:DWORD dst_unused:UNUSED_PAD src0_sel:BYTE_0 src1_sel:DWORD
	v_or_b32_sdwa v126, v127, v126 dst_sel:WORD_1 dst_unused:UNUSED_PAD src0_sel:BYTE_0 src1_sel:DWORD
	v_add_u32_e32 v128, 0x4218, v132
	v_or_b32_sdwa v137, v129, v126 dst_sel:DWORD dst_unused:UNUSED_PAD src0_sel:WORD_0 src1_sel:DWORD
	ds_read2_b32 v[126:127], v130 offset0:6 offset1:7
	ds_read2_b32 v[128:129], v128 offset1:1
	s_waitcnt lgkmcnt(1)
	v_ashrrev_i32_e32 v126, s3, v126
	s_waitcnt lgkmcnt(0)
	v_ashrrev_i32_e32 v128, s22, v128
	v_lshlrev_b32_e32 v128, 2, v128
	v_and_b32_e32 v130, 0x3030303, v126
	v_bfe_u32 v126, v126, 24, 2
	v_and_b32_e32 v128, 0x4040404, v128
	v_sub_u16_e32 v132, v130, v128
	v_sub_u16_sdwa v138, v130, v128 dst_sel:BYTE_1 dst_unused:UNUSED_PAD src0_sel:BYTE_1 src1_sel:BYTE_1
	v_sub_u16_sdwa v126, v126, v128 dst_sel:BYTE_1 dst_unused:UNUSED_PAD src0_sel:DWORD src1_sel:BYTE_3
	v_sub_u16_sdwa v128, v130, v128 dst_sel:DWORD dst_unused:UNUSED_PAD src0_sel:WORD_1 src1_sel:WORD_1
	v_or_b32_sdwa v132, v132, v138 dst_sel:DWORD dst_unused:UNUSED_PAD src0_sel:BYTE_0 src1_sel:DWORD
	v_or_b32_sdwa v126, v128, v126 dst_sel:WORD_1 dst_unused:UNUSED_PAD src0_sel:BYTE_0 src1_sel:DWORD
	v_ashrrev_i32_e32 v128, s22, v129
	v_or_b32_sdwa v130, v132, v126 dst_sel:DWORD dst_unused:UNUSED_PAD src0_sel:WORD_0 src1_sel:DWORD
	v_ashrrev_i32_e32 v126, s3, v127
	v_lshlrev_b32_e32 v128, 2, v128
	v_and_b32_e32 v127, 0x3030303, v126
	v_bfe_u32 v126, v126, 24, 2
	v_and_b32_e32 v128, 0x4040404, v128
	v_sub_u16_e32 v129, v127, v128
	v_sub_u16_sdwa v132, v127, v128 dst_sel:BYTE_1 dst_unused:UNUSED_PAD src0_sel:BYTE_1 src1_sel:BYTE_1
	v_sub_u16_sdwa v126, v126, v128 dst_sel:BYTE_1 dst_unused:UNUSED_PAD src0_sel:DWORD src1_sel:BYTE_3
	v_sub_u16_sdwa v127, v127, v128 dst_sel:DWORD dst_unused:UNUSED_PAD src0_sel:WORD_1 src1_sel:WORD_1
	v_or_b32_sdwa v129, v129, v132 dst_sel:DWORD dst_unused:UNUSED_PAD src0_sel:BYTE_0 src1_sel:DWORD
	v_or_b32_sdwa v126, v127, v126 dst_sel:WORD_1 dst_unused:UNUSED_PAD src0_sel:BYTE_0 src1_sel:DWORD
	s_nop 0
	v_or_b32_sdwa v127, v129, v126 dst_sel:DWORD dst_unused:UNUSED_PAD src0_sel:WORD_0 src1_sel:DWORD
	v_add_u32_e32 v126, s3, v61
	v_add3_u32 v128, v101, s35, v126
	v_add_u32_e32 v129, s38, v67
	ds_read_b32 v132, v129
	ds_read_u16 v128, v128
	v_mov_b32_e32 v129, 0
	v_dot4c_i32_i8_e32 v129, v131, v6
	v_dot4c_i32_i8_e32 v129, v133, v7
	;; [unrolled: 1-line block ×4, first 2 shown]
	s_waitcnt lgkmcnt(0)
	v_lshrrev_b16_e32 v131, 8, v128
	v_bfe_i32 v128, v128, 0, 8
	v_add_lshl_u32 v133, v69, s36, 2
	v_mul_lo_u32 v128, v129, v128
	v_mov_b32_e32 v129, 0
	v_dot4c_i32_i8_e32 v129, v136, v2
	v_dot4c_i32_i8_e32 v129, v137, v3
	;; [unrolled: 1-line block ×4, first 2 shown]
	v_bfe_i32 v127, v131, 0, 8
	v_add_u32_e32 v130, 0x4200, v133
	ds_read2_b32 v[130:131], v130 offset1:1
	v_mad_u64_u32 v[128:129], s[40:41], v129, v127, v[128:129]
	v_cvt_f32_i32_e32 v128, v128
	v_mul_f32_e32 v127, v125, v132
	s_waitcnt lgkmcnt(0)
	v_ashrrev_i32_e32 v130, s22, v130
	v_lshlrev_b32_e32 v130, 2, v130
	v_fmac_f32_e32 v118, v127, v128
	v_add_u32_e32 v127, s37, v71
	ds_read2_b32 v[128:129], v127 offset1:1
	v_and_b32_e32 v130, 0x4040404, v130
	s_waitcnt lgkmcnt(0)
	v_ashrrev_i32_e32 v128, s3, v128
	v_and_b32_e32 v132, 0x3030303, v128
	v_bfe_u32 v128, v128, 24, 2
	v_sub_u16_e32 v134, v132, v130
	v_sub_u16_sdwa v135, v132, v130 dst_sel:BYTE_1 dst_unused:UNUSED_PAD src0_sel:BYTE_1 src1_sel:BYTE_1
	v_sub_u16_sdwa v128, v128, v130 dst_sel:BYTE_1 dst_unused:UNUSED_PAD src0_sel:DWORD src1_sel:BYTE_3
	v_sub_u16_sdwa v130, v132, v130 dst_sel:DWORD dst_unused:UNUSED_PAD src0_sel:WORD_1 src1_sel:WORD_1
	v_or_b32_sdwa v134, v134, v135 dst_sel:DWORD dst_unused:UNUSED_PAD src0_sel:BYTE_0 src1_sel:DWORD
	v_or_b32_sdwa v128, v130, v128 dst_sel:WORD_1 dst_unused:UNUSED_PAD src0_sel:BYTE_0 src1_sel:DWORD
	v_ashrrev_i32_e32 v130, s22, v131
	v_or_b32_sdwa v132, v134, v128 dst_sel:DWORD dst_unused:UNUSED_PAD src0_sel:WORD_0 src1_sel:DWORD
	v_ashrrev_i32_e32 v128, s3, v129
	v_lshlrev_b32_e32 v130, 2, v130
	v_and_b32_e32 v129, 0x3030303, v128
	v_bfe_u32 v128, v128, 24, 2
	v_and_b32_e32 v130, 0x4040404, v130
	v_sub_u16_e32 v131, v129, v130
	v_sub_u16_sdwa v134, v129, v130 dst_sel:BYTE_1 dst_unused:UNUSED_PAD src0_sel:BYTE_1 src1_sel:BYTE_1
	v_sub_u16_sdwa v128, v128, v130 dst_sel:BYTE_1 dst_unused:UNUSED_PAD src0_sel:DWORD src1_sel:BYTE_3
	v_sub_u16_sdwa v129, v129, v130 dst_sel:DWORD dst_unused:UNUSED_PAD src0_sel:WORD_1 src1_sel:WORD_1
	v_or_b32_sdwa v131, v131, v134 dst_sel:DWORD dst_unused:UNUSED_PAD src0_sel:BYTE_0 src1_sel:DWORD
	v_or_b32_sdwa v128, v129, v128 dst_sel:WORD_1 dst_unused:UNUSED_PAD src0_sel:BYTE_0 src1_sel:DWORD
	v_add_u32_e32 v130, 0x4208, v133
	v_or_b32_sdwa v134, v131, v128 dst_sel:DWORD dst_unused:UNUSED_PAD src0_sel:WORD_0 src1_sel:DWORD
	ds_read2_b32 v[128:129], v127 offset0:2 offset1:3
	ds_read2_b32 v[130:131], v130 offset1:1
	s_waitcnt lgkmcnt(1)
	v_ashrrev_i32_e32 v128, s3, v128
	s_waitcnt lgkmcnt(0)
	v_ashrrev_i32_e32 v130, s22, v130
	v_lshlrev_b32_e32 v130, 2, v130
	v_and_b32_e32 v135, 0x3030303, v128
	v_bfe_u32 v128, v128, 24, 2
	v_and_b32_e32 v130, 0x4040404, v130
	v_sub_u16_e32 v136, v135, v130
	v_sub_u16_sdwa v137, v135, v130 dst_sel:BYTE_1 dst_unused:UNUSED_PAD src0_sel:BYTE_1 src1_sel:BYTE_1
	v_sub_u16_sdwa v128, v128, v130 dst_sel:BYTE_1 dst_unused:UNUSED_PAD src0_sel:DWORD src1_sel:BYTE_3
	v_sub_u16_sdwa v130, v135, v130 dst_sel:DWORD dst_unused:UNUSED_PAD src0_sel:WORD_1 src1_sel:WORD_1
	v_or_b32_sdwa v136, v136, v137 dst_sel:DWORD dst_unused:UNUSED_PAD src0_sel:BYTE_0 src1_sel:DWORD
	v_or_b32_sdwa v128, v130, v128 dst_sel:WORD_1 dst_unused:UNUSED_PAD src0_sel:BYTE_0 src1_sel:DWORD
	v_ashrrev_i32_e32 v130, s22, v131
	v_or_b32_sdwa v135, v136, v128 dst_sel:DWORD dst_unused:UNUSED_PAD src0_sel:WORD_0 src1_sel:DWORD
	v_ashrrev_i32_e32 v128, s3, v129
	v_lshlrev_b32_e32 v130, 2, v130
	v_and_b32_e32 v129, 0x3030303, v128
	v_bfe_u32 v128, v128, 24, 2
	v_and_b32_e32 v130, 0x4040404, v130
	v_sub_u16_e32 v131, v129, v130
	v_sub_u16_sdwa v136, v129, v130 dst_sel:BYTE_1 dst_unused:UNUSED_PAD src0_sel:BYTE_1 src1_sel:BYTE_1
	v_sub_u16_sdwa v128, v128, v130 dst_sel:BYTE_1 dst_unused:UNUSED_PAD src0_sel:DWORD src1_sel:BYTE_3
	v_sub_u16_sdwa v129, v129, v130 dst_sel:DWORD dst_unused:UNUSED_PAD src0_sel:WORD_1 src1_sel:WORD_1
	v_or_b32_sdwa v131, v131, v136 dst_sel:DWORD dst_unused:UNUSED_PAD src0_sel:BYTE_0 src1_sel:DWORD
	v_or_b32_sdwa v128, v129, v128 dst_sel:WORD_1 dst_unused:UNUSED_PAD src0_sel:BYTE_0 src1_sel:DWORD
	v_add_u32_e32 v130, 0x4210, v133
	v_or_b32_sdwa v136, v131, v128 dst_sel:DWORD dst_unused:UNUSED_PAD src0_sel:WORD_0 src1_sel:DWORD
	ds_read2_b32 v[128:129], v127 offset0:4 offset1:5
	ds_read2_b32 v[130:131], v130 offset1:1
	s_waitcnt lgkmcnt(1)
	v_ashrrev_i32_e32 v128, s3, v128
	s_waitcnt lgkmcnt(0)
	v_ashrrev_i32_e32 v130, s22, v130
	v_lshlrev_b32_e32 v130, 2, v130
	v_and_b32_e32 v137, 0x3030303, v128
	v_bfe_u32 v128, v128, 24, 2
	v_and_b32_e32 v130, 0x4040404, v130
	;; [unrolled: 31-line block ×3, first 2 shown]
	v_sub_u16_e32 v133, v128, v130
	v_sub_u16_sdwa v139, v128, v130 dst_sel:BYTE_1 dst_unused:UNUSED_PAD src0_sel:BYTE_1 src1_sel:BYTE_1
	v_sub_u16_sdwa v127, v127, v130 dst_sel:BYTE_1 dst_unused:UNUSED_PAD src0_sel:DWORD src1_sel:BYTE_3
	v_sub_u16_sdwa v128, v128, v130 dst_sel:DWORD dst_unused:UNUSED_PAD src0_sel:WORD_1 src1_sel:WORD_1
	v_ashrrev_i32_e32 v130, s22, v131
	v_or_b32_sdwa v127, v128, v127 dst_sel:WORD_1 dst_unused:UNUSED_PAD src0_sel:BYTE_0 src1_sel:DWORD
	v_ashrrev_i32_e32 v128, s3, v129
	v_lshlrev_b32_e32 v130, 2, v130
	v_or_b32_sdwa v133, v133, v139 dst_sel:DWORD dst_unused:UNUSED_PAD src0_sel:BYTE_0 src1_sel:DWORD
	v_and_b32_e32 v129, 0x3030303, v128
	v_bfe_u32 v128, v128, 24, 2
	v_and_b32_e32 v130, 0x4040404, v130
	v_or_b32_sdwa v127, v133, v127 dst_sel:DWORD dst_unused:UNUSED_PAD src0_sel:WORD_0 src1_sel:DWORD
	v_sub_u16_e32 v131, v129, v130
	v_sub_u16_sdwa v133, v129, v130 dst_sel:BYTE_1 dst_unused:UNUSED_PAD src0_sel:BYTE_1 src1_sel:BYTE_1
	v_sub_u16_sdwa v128, v128, v130 dst_sel:BYTE_1 dst_unused:UNUSED_PAD src0_sel:DWORD src1_sel:BYTE_3
	v_sub_u16_sdwa v129, v129, v130 dst_sel:DWORD dst_unused:UNUSED_PAD src0_sel:WORD_1 src1_sel:WORD_1
	v_or_b32_sdwa v131, v131, v133 dst_sel:DWORD dst_unused:UNUSED_PAD src0_sel:BYTE_0 src1_sel:DWORD
	v_or_b32_sdwa v128, v129, v128 dst_sel:WORD_1 dst_unused:UNUSED_PAD src0_sel:BYTE_0 src1_sel:DWORD
	v_add_u32_e32 v130, s38, v75
	v_or_b32_sdwa v129, v131, v128 dst_sel:DWORD dst_unused:UNUSED_PAD src0_sel:WORD_0 src1_sel:DWORD
	v_add3_u32 v128, v100, s35, v126
	ds_read_b32 v130, v130
	ds_read_u16 v128, v128
	v_mov_b32_e32 v131, 0
	v_dot4c_i32_i8_e32 v131, v132, v6
	v_dot4c_i32_i8_e32 v131, v134, v7
	;; [unrolled: 1-line block ×4, first 2 shown]
	s_waitcnt lgkmcnt(0)
	v_lshrrev_b16_e32 v132, 8, v128
	v_bfe_i32 v128, v128, 0, 8
	v_add_lshl_u32 v133, v77, s36, 2
	v_mul_lo_u32 v128, v131, v128
	v_mov_b32_e32 v131, 0
	v_dot4c_i32_i8_e32 v131, v137, v2
	v_dot4c_i32_i8_e32 v131, v138, v3
	;; [unrolled: 1-line block ×4, first 2 shown]
	v_bfe_i32 v127, v132, 0, 8
                                        ; kill: def $vgpr129 killed $sgpr0 killed $exec
	s_nop 1
	v_mad_u64_u32 v[128:129], s[40:41], v131, v127, v[128:129]
	v_cvt_f32_i32_e32 v128, v128
	v_mul_f32_e32 v127, v125, v130
	v_add_u32_e32 v130, 0x4200, v133
	ds_read2_b32 v[130:131], v130 offset1:1
	v_fmac_f32_e32 v119, v127, v128
	v_add_u32_e32 v127, s37, v79
	ds_read2_b32 v[128:129], v127 offset1:1
	s_waitcnt lgkmcnt(1)
	v_ashrrev_i32_e32 v130, s22, v130
	v_lshlrev_b32_e32 v130, 2, v130
	v_and_b32_e32 v130, 0x4040404, v130
	s_waitcnt lgkmcnt(0)
	v_ashrrev_i32_e32 v128, s3, v128
	v_and_b32_e32 v132, 0x3030303, v128
	v_bfe_u32 v128, v128, 24, 2
	v_sub_u16_e32 v134, v132, v130
	v_sub_u16_sdwa v135, v132, v130 dst_sel:BYTE_1 dst_unused:UNUSED_PAD src0_sel:BYTE_1 src1_sel:BYTE_1
	v_sub_u16_sdwa v128, v128, v130 dst_sel:BYTE_1 dst_unused:UNUSED_PAD src0_sel:DWORD src1_sel:BYTE_3
	v_sub_u16_sdwa v130, v132, v130 dst_sel:DWORD dst_unused:UNUSED_PAD src0_sel:WORD_1 src1_sel:WORD_1
	v_or_b32_sdwa v134, v134, v135 dst_sel:DWORD dst_unused:UNUSED_PAD src0_sel:BYTE_0 src1_sel:DWORD
	v_or_b32_sdwa v128, v130, v128 dst_sel:WORD_1 dst_unused:UNUSED_PAD src0_sel:BYTE_0 src1_sel:DWORD
	v_ashrrev_i32_e32 v130, s22, v131
	v_or_b32_sdwa v132, v134, v128 dst_sel:DWORD dst_unused:UNUSED_PAD src0_sel:WORD_0 src1_sel:DWORD
	v_ashrrev_i32_e32 v128, s3, v129
	v_lshlrev_b32_e32 v130, 2, v130
	v_and_b32_e32 v129, 0x3030303, v128
	v_bfe_u32 v128, v128, 24, 2
	v_and_b32_e32 v130, 0x4040404, v130
	v_sub_u16_e32 v131, v129, v130
	v_sub_u16_sdwa v134, v129, v130 dst_sel:BYTE_1 dst_unused:UNUSED_PAD src0_sel:BYTE_1 src1_sel:BYTE_1
	v_sub_u16_sdwa v128, v128, v130 dst_sel:BYTE_1 dst_unused:UNUSED_PAD src0_sel:DWORD src1_sel:BYTE_3
	v_sub_u16_sdwa v129, v129, v130 dst_sel:DWORD dst_unused:UNUSED_PAD src0_sel:WORD_1 src1_sel:WORD_1
	v_or_b32_sdwa v131, v131, v134 dst_sel:DWORD dst_unused:UNUSED_PAD src0_sel:BYTE_0 src1_sel:DWORD
	v_or_b32_sdwa v128, v129, v128 dst_sel:WORD_1 dst_unused:UNUSED_PAD src0_sel:BYTE_0 src1_sel:DWORD
	v_add_u32_e32 v130, 0x4208, v133
	v_or_b32_sdwa v134, v131, v128 dst_sel:DWORD dst_unused:UNUSED_PAD src0_sel:WORD_0 src1_sel:DWORD
	ds_read2_b32 v[128:129], v127 offset0:2 offset1:3
	ds_read2_b32 v[130:131], v130 offset1:1
	s_waitcnt lgkmcnt(1)
	v_ashrrev_i32_e32 v128, s3, v128
	s_waitcnt lgkmcnt(0)
	v_ashrrev_i32_e32 v130, s22, v130
	v_lshlrev_b32_e32 v130, 2, v130
	v_and_b32_e32 v135, 0x3030303, v128
	v_bfe_u32 v128, v128, 24, 2
	v_and_b32_e32 v130, 0x4040404, v130
	v_sub_u16_e32 v136, v135, v130
	v_sub_u16_sdwa v137, v135, v130 dst_sel:BYTE_1 dst_unused:UNUSED_PAD src0_sel:BYTE_1 src1_sel:BYTE_1
	v_sub_u16_sdwa v128, v128, v130 dst_sel:BYTE_1 dst_unused:UNUSED_PAD src0_sel:DWORD src1_sel:BYTE_3
	v_sub_u16_sdwa v130, v135, v130 dst_sel:DWORD dst_unused:UNUSED_PAD src0_sel:WORD_1 src1_sel:WORD_1
	v_or_b32_sdwa v136, v136, v137 dst_sel:DWORD dst_unused:UNUSED_PAD src0_sel:BYTE_0 src1_sel:DWORD
	v_or_b32_sdwa v128, v130, v128 dst_sel:WORD_1 dst_unused:UNUSED_PAD src0_sel:BYTE_0 src1_sel:DWORD
	v_ashrrev_i32_e32 v130, s22, v131
	v_or_b32_sdwa v135, v136, v128 dst_sel:DWORD dst_unused:UNUSED_PAD src0_sel:WORD_0 src1_sel:DWORD
	v_ashrrev_i32_e32 v128, s3, v129
	v_lshlrev_b32_e32 v130, 2, v130
	v_and_b32_e32 v129, 0x3030303, v128
	v_bfe_u32 v128, v128, 24, 2
	v_and_b32_e32 v130, 0x4040404, v130
	v_sub_u16_e32 v131, v129, v130
	v_sub_u16_sdwa v136, v129, v130 dst_sel:BYTE_1 dst_unused:UNUSED_PAD src0_sel:BYTE_1 src1_sel:BYTE_1
	v_sub_u16_sdwa v128, v128, v130 dst_sel:BYTE_1 dst_unused:UNUSED_PAD src0_sel:DWORD src1_sel:BYTE_3
	v_sub_u16_sdwa v129, v129, v130 dst_sel:DWORD dst_unused:UNUSED_PAD src0_sel:WORD_1 src1_sel:WORD_1
	v_or_b32_sdwa v131, v131, v136 dst_sel:DWORD dst_unused:UNUSED_PAD src0_sel:BYTE_0 src1_sel:DWORD
	v_or_b32_sdwa v128, v129, v128 dst_sel:WORD_1 dst_unused:UNUSED_PAD src0_sel:BYTE_0 src1_sel:DWORD
	v_add_u32_e32 v130, 0x4210, v133
	v_or_b32_sdwa v136, v131, v128 dst_sel:DWORD dst_unused:UNUSED_PAD src0_sel:WORD_0 src1_sel:DWORD
	ds_read2_b32 v[128:129], v127 offset0:4 offset1:5
	ds_read2_b32 v[130:131], v130 offset1:1
	s_waitcnt lgkmcnt(1)
	v_ashrrev_i32_e32 v128, s3, v128
	s_waitcnt lgkmcnt(0)
	v_ashrrev_i32_e32 v130, s22, v130
	v_lshlrev_b32_e32 v130, 2, v130
	v_and_b32_e32 v137, 0x3030303, v128
	v_bfe_u32 v128, v128, 24, 2
	v_and_b32_e32 v130, 0x4040404, v130
	;; [unrolled: 31-line block ×3, first 2 shown]
	v_sub_u16_e32 v133, v128, v130
	v_sub_u16_sdwa v139, v128, v130 dst_sel:BYTE_1 dst_unused:UNUSED_PAD src0_sel:BYTE_1 src1_sel:BYTE_1
	v_sub_u16_sdwa v127, v127, v130 dst_sel:BYTE_1 dst_unused:UNUSED_PAD src0_sel:DWORD src1_sel:BYTE_3
	v_sub_u16_sdwa v128, v128, v130 dst_sel:DWORD dst_unused:UNUSED_PAD src0_sel:WORD_1 src1_sel:WORD_1
	v_ashrrev_i32_e32 v130, s22, v131
	v_or_b32_sdwa v127, v128, v127 dst_sel:WORD_1 dst_unused:UNUSED_PAD src0_sel:BYTE_0 src1_sel:DWORD
	v_ashrrev_i32_e32 v128, s3, v129
	v_lshlrev_b32_e32 v130, 2, v130
	v_or_b32_sdwa v133, v133, v139 dst_sel:DWORD dst_unused:UNUSED_PAD src0_sel:BYTE_0 src1_sel:DWORD
	v_and_b32_e32 v129, 0x3030303, v128
	v_bfe_u32 v128, v128, 24, 2
	v_and_b32_e32 v130, 0x4040404, v130
	v_or_b32_sdwa v127, v133, v127 dst_sel:DWORD dst_unused:UNUSED_PAD src0_sel:WORD_0 src1_sel:DWORD
	v_sub_u16_e32 v131, v129, v130
	v_sub_u16_sdwa v133, v129, v130 dst_sel:BYTE_1 dst_unused:UNUSED_PAD src0_sel:BYTE_1 src1_sel:BYTE_1
	v_sub_u16_sdwa v128, v128, v130 dst_sel:BYTE_1 dst_unused:UNUSED_PAD src0_sel:DWORD src1_sel:BYTE_3
	v_sub_u16_sdwa v129, v129, v130 dst_sel:DWORD dst_unused:UNUSED_PAD src0_sel:WORD_1 src1_sel:WORD_1
	v_or_b32_sdwa v131, v131, v133 dst_sel:DWORD dst_unused:UNUSED_PAD src0_sel:BYTE_0 src1_sel:DWORD
	v_or_b32_sdwa v128, v129, v128 dst_sel:WORD_1 dst_unused:UNUSED_PAD src0_sel:BYTE_0 src1_sel:DWORD
	v_add_u32_e32 v130, s38, v81
	v_or_b32_sdwa v129, v131, v128 dst_sel:DWORD dst_unused:UNUSED_PAD src0_sel:WORD_0 src1_sel:DWORD
	v_add3_u32 v128, v99, s35, v126
	ds_read_b32 v130, v130
	ds_read_u16 v128, v128
	v_mov_b32_e32 v131, 0
	v_dot4c_i32_i8_e32 v131, v132, v6
	v_dot4c_i32_i8_e32 v131, v134, v7
	;; [unrolled: 1-line block ×4, first 2 shown]
	s_waitcnt lgkmcnt(0)
	v_lshrrev_b16_e32 v132, 8, v128
	v_bfe_i32 v128, v128, 0, 8
	v_add_lshl_u32 v133, v86, s36, 2
	v_mul_lo_u32 v128, v131, v128
	v_mov_b32_e32 v131, 0
	v_dot4c_i32_i8_e32 v131, v137, v2
	v_dot4c_i32_i8_e32 v131, v138, v3
	;; [unrolled: 1-line block ×4, first 2 shown]
	v_bfe_i32 v127, v132, 0, 8
                                        ; kill: def $vgpr129 killed $sgpr0 killed $exec
	v_add3_u32 v126, v98, s35, v126
	s_nop 0
	v_mad_u64_u32 v[128:129], s[40:41], v131, v127, v[128:129]
	v_cvt_f32_i32_e32 v128, v128
	v_mul_f32_e32 v127, v125, v130
	v_add_u32_e32 v130, 0x4200, v133
	ds_read2_b32 v[130:131], v130 offset1:1
	v_fmac_f32_e32 v120, v127, v128
	v_add_u32_e32 v127, s37, v87
	ds_read2_b32 v[128:129], v127 offset1:1
	s_waitcnt lgkmcnt(1)
	v_ashrrev_i32_e32 v130, s22, v130
	v_lshlrev_b32_e32 v130, 2, v130
	v_and_b32_e32 v130, 0x4040404, v130
	s_waitcnt lgkmcnt(0)
	v_ashrrev_i32_e32 v128, s3, v128
	v_and_b32_e32 v132, 0x3030303, v128
	v_bfe_u32 v128, v128, 24, 2
	v_sub_u16_e32 v134, v132, v130
	v_sub_u16_sdwa v135, v132, v130 dst_sel:BYTE_1 dst_unused:UNUSED_PAD src0_sel:BYTE_1 src1_sel:BYTE_1
	v_sub_u16_sdwa v128, v128, v130 dst_sel:BYTE_1 dst_unused:UNUSED_PAD src0_sel:DWORD src1_sel:BYTE_3
	v_sub_u16_sdwa v130, v132, v130 dst_sel:DWORD dst_unused:UNUSED_PAD src0_sel:WORD_1 src1_sel:WORD_1
	v_or_b32_sdwa v134, v134, v135 dst_sel:DWORD dst_unused:UNUSED_PAD src0_sel:BYTE_0 src1_sel:DWORD
	v_or_b32_sdwa v128, v130, v128 dst_sel:WORD_1 dst_unused:UNUSED_PAD src0_sel:BYTE_0 src1_sel:DWORD
	v_ashrrev_i32_e32 v130, s22, v131
	v_or_b32_sdwa v132, v134, v128 dst_sel:DWORD dst_unused:UNUSED_PAD src0_sel:WORD_0 src1_sel:DWORD
	v_ashrrev_i32_e32 v128, s3, v129
	v_lshlrev_b32_e32 v130, 2, v130
	v_and_b32_e32 v129, 0x3030303, v128
	v_bfe_u32 v128, v128, 24, 2
	v_and_b32_e32 v130, 0x4040404, v130
	v_sub_u16_e32 v131, v129, v130
	v_sub_u16_sdwa v134, v129, v130 dst_sel:BYTE_1 dst_unused:UNUSED_PAD src0_sel:BYTE_1 src1_sel:BYTE_1
	v_sub_u16_sdwa v128, v128, v130 dst_sel:BYTE_1 dst_unused:UNUSED_PAD src0_sel:DWORD src1_sel:BYTE_3
	v_sub_u16_sdwa v129, v129, v130 dst_sel:DWORD dst_unused:UNUSED_PAD src0_sel:WORD_1 src1_sel:WORD_1
	v_or_b32_sdwa v131, v131, v134 dst_sel:DWORD dst_unused:UNUSED_PAD src0_sel:BYTE_0 src1_sel:DWORD
	v_or_b32_sdwa v128, v129, v128 dst_sel:WORD_1 dst_unused:UNUSED_PAD src0_sel:BYTE_0 src1_sel:DWORD
	v_add_u32_e32 v130, 0x4208, v133
	v_or_b32_sdwa v134, v131, v128 dst_sel:DWORD dst_unused:UNUSED_PAD src0_sel:WORD_0 src1_sel:DWORD
	ds_read2_b32 v[128:129], v127 offset0:2 offset1:3
	ds_read2_b32 v[130:131], v130 offset1:1
	s_waitcnt lgkmcnt(1)
	v_ashrrev_i32_e32 v128, s3, v128
	s_waitcnt lgkmcnt(0)
	v_ashrrev_i32_e32 v130, s22, v130
	v_lshlrev_b32_e32 v130, 2, v130
	v_and_b32_e32 v135, 0x3030303, v128
	v_bfe_u32 v128, v128, 24, 2
	v_and_b32_e32 v130, 0x4040404, v130
	v_sub_u16_e32 v136, v135, v130
	v_sub_u16_sdwa v137, v135, v130 dst_sel:BYTE_1 dst_unused:UNUSED_PAD src0_sel:BYTE_1 src1_sel:BYTE_1
	v_sub_u16_sdwa v128, v128, v130 dst_sel:BYTE_1 dst_unused:UNUSED_PAD src0_sel:DWORD src1_sel:BYTE_3
	v_sub_u16_sdwa v130, v135, v130 dst_sel:DWORD dst_unused:UNUSED_PAD src0_sel:WORD_1 src1_sel:WORD_1
	v_or_b32_sdwa v136, v136, v137 dst_sel:DWORD dst_unused:UNUSED_PAD src0_sel:BYTE_0 src1_sel:DWORD
	v_or_b32_sdwa v128, v130, v128 dst_sel:WORD_1 dst_unused:UNUSED_PAD src0_sel:BYTE_0 src1_sel:DWORD
	v_ashrrev_i32_e32 v130, s22, v131
	v_or_b32_sdwa v135, v136, v128 dst_sel:DWORD dst_unused:UNUSED_PAD src0_sel:WORD_0 src1_sel:DWORD
	v_ashrrev_i32_e32 v128, s3, v129
	v_lshlrev_b32_e32 v130, 2, v130
	v_and_b32_e32 v129, 0x3030303, v128
	v_bfe_u32 v128, v128, 24, 2
	v_and_b32_e32 v130, 0x4040404, v130
	v_sub_u16_e32 v131, v129, v130
	v_sub_u16_sdwa v136, v129, v130 dst_sel:BYTE_1 dst_unused:UNUSED_PAD src0_sel:BYTE_1 src1_sel:BYTE_1
	v_sub_u16_sdwa v128, v128, v130 dst_sel:BYTE_1 dst_unused:UNUSED_PAD src0_sel:DWORD src1_sel:BYTE_3
	v_sub_u16_sdwa v129, v129, v130 dst_sel:DWORD dst_unused:UNUSED_PAD src0_sel:WORD_1 src1_sel:WORD_1
	v_or_b32_sdwa v131, v131, v136 dst_sel:DWORD dst_unused:UNUSED_PAD src0_sel:BYTE_0 src1_sel:DWORD
	v_or_b32_sdwa v128, v129, v128 dst_sel:WORD_1 dst_unused:UNUSED_PAD src0_sel:BYTE_0 src1_sel:DWORD
	v_add_u32_e32 v130, 0x4210, v133
	v_or_b32_sdwa v136, v131, v128 dst_sel:DWORD dst_unused:UNUSED_PAD src0_sel:WORD_0 src1_sel:DWORD
	ds_read2_b32 v[128:129], v127 offset0:4 offset1:5
	ds_read2_b32 v[130:131], v130 offset1:1
	s_waitcnt lgkmcnt(1)
	v_ashrrev_i32_e32 v128, s3, v128
	s_waitcnt lgkmcnt(0)
	v_ashrrev_i32_e32 v130, s22, v130
	v_lshlrev_b32_e32 v130, 2, v130
	v_and_b32_e32 v137, 0x3030303, v128
	v_bfe_u32 v128, v128, 24, 2
	v_and_b32_e32 v130, 0x4040404, v130
	;; [unrolled: 31-line block ×3, first 2 shown]
	v_sub_u16_e32 v133, v128, v130
	v_sub_u16_sdwa v139, v128, v130 dst_sel:BYTE_1 dst_unused:UNUSED_PAD src0_sel:BYTE_1 src1_sel:BYTE_1
	v_sub_u16_sdwa v127, v127, v130 dst_sel:BYTE_1 dst_unused:UNUSED_PAD src0_sel:DWORD src1_sel:BYTE_3
	v_sub_u16_sdwa v128, v128, v130 dst_sel:DWORD dst_unused:UNUSED_PAD src0_sel:WORD_1 src1_sel:WORD_1
	v_ashrrev_i32_e32 v130, s22, v131
	v_or_b32_sdwa v127, v128, v127 dst_sel:WORD_1 dst_unused:UNUSED_PAD src0_sel:BYTE_0 src1_sel:DWORD
	v_ashrrev_i32_e32 v128, s3, v129
	v_lshlrev_b32_e32 v130, 2, v130
	v_or_b32_sdwa v133, v133, v139 dst_sel:DWORD dst_unused:UNUSED_PAD src0_sel:BYTE_0 src1_sel:DWORD
	v_and_b32_e32 v129, 0x3030303, v128
	v_bfe_u32 v128, v128, 24, 2
	v_and_b32_e32 v130, 0x4040404, v130
	v_or_b32_sdwa v127, v133, v127 dst_sel:DWORD dst_unused:UNUSED_PAD src0_sel:WORD_0 src1_sel:DWORD
	v_sub_u16_e32 v131, v129, v130
	v_sub_u16_sdwa v133, v129, v130 dst_sel:BYTE_1 dst_unused:UNUSED_PAD src0_sel:BYTE_1 src1_sel:BYTE_1
	v_sub_u16_sdwa v128, v128, v130 dst_sel:BYTE_1 dst_unused:UNUSED_PAD src0_sel:DWORD src1_sel:BYTE_3
	v_sub_u16_sdwa v129, v129, v130 dst_sel:DWORD dst_unused:UNUSED_PAD src0_sel:WORD_1 src1_sel:WORD_1
	v_or_b32_sdwa v128, v129, v128 dst_sel:WORD_1 dst_unused:UNUSED_PAD src0_sel:BYTE_0 src1_sel:DWORD
	v_add_u32_e32 v129, s38, v88
	v_mov_b32_e32 v130, 0
	ds_read_b32 v129, v129
	v_dot4c_i32_i8_e32 v130, v132, v6
	ds_read_u16 v6, v126
	v_dot4c_i32_i8_e32 v130, v134, v7
	v_dot4c_i32_i8_e32 v130, v135, v8
	v_mov_b32_e32 v8, 0
	v_dot4c_i32_i8_e32 v8, v137, v2
	v_or_b32_sdwa v131, v131, v133 dst_sel:DWORD dst_unused:UNUSED_PAD src0_sel:BYTE_0 src1_sel:DWORD
	v_dot4c_i32_i8_e32 v8, v138, v3
	v_or_b32_sdwa v128, v131, v128 dst_sel:DWORD dst_unused:UNUSED_PAD src0_sel:WORD_0 src1_sel:DWORD
	v_dot4c_i32_i8_e32 v130, v136, v9
	s_waitcnt lgkmcnt(0)
	v_lshrrev_b16_e32 v7, 8, v6
	v_bfe_i32 v6, v6, 0, 8
	v_dot4c_i32_i8_e32 v8, v127, v4
	v_mul_lo_u32 v6, v130, v6
	v_dot4c_i32_i8_e32 v8, v128, v5
	v_bfe_i32 v2, v7, 0, 8
	s_add_i32 s3, s3, 2
	s_add_i32 s22, s22, 1
	v_mad_u64_u32 v[2:3], s[36:37], v8, v2, v[6:7]
	v_cvt_f32_i32_e32 v2, v2
	v_mul_f32_e32 v3, v125, v129
	s_cmp_lt_u32 s23, 14
	v_fmac_f32_e32 v121, v3, v2
	s_cbranch_scc1 .LBB209_20
; %bb.21:                               ;   in Loop: Header=BB209_5 Depth=1
	s_or_b32 s2, s34, 0x100
	s_cmp_ge_i32 s2, s15
	s_barrier
	s_cbranch_scc1 .LBB209_4
; %bb.22:                               ;   in Loop: Header=BB209_5 Depth=1
	v_add_u32_e32 v2, s33, v90
	v_cmp_gt_i32_e64 s[2:3], s5, v2
	s_and_b64 s[22:23], s[0:1], s[2:3]
	s_and_saveexec_b64 s[2:3], s[22:23]
	s_cbranch_execz .LBB209_24
; %bb.23:                               ;   in Loop: Header=BB209_5 Depth=1
	v_add_u32_e32 v2, v84, v2
	v_mad_i64_i32 v[2:3], s[22:23], v2, 36, v[82:83]
	global_load_dword v2, v[2:3], off offset:4
	s_waitcnt vmcnt(0)
	ds_write_b32 v57, v2
.LBB209_24:                             ;   in Loop: Header=BB209_5 Depth=1
	s_or_b64 exec, exec, s[2:3]
	s_and_saveexec_b64 s[22:23], vcc
	s_cbranch_execz .LBB209_27
; %bb.25:                               ;   in Loop: Header=BB209_5 Depth=1
	v_or_b32_e32 v2, s33, v11
	v_or_b32_e32 v3, 8, v2
	v_cmp_gt_i32_e64 s[2:3], s5, v3
	s_and_b64 s[2:3], s[0:1], s[2:3]
	s_and_b64 exec, exec, s[2:3]
	s_cbranch_execz .LBB209_27
; %bb.26:                               ;   in Loop: Header=BB209_5 Depth=1
	v_ashrrev_i32_e32 v3, 31, v2
	v_lshl_add_u64 v[2:3], v[84:85], 0, v[2:3]
	v_mad_u64_u32 v[4:5], s[2:3], v2, 36, s[16:17]
	v_mad_i32_i24 v5, v3, 36, v5
	global_load_dword v2, v[4:5], off
	s_waitcnt vmcnt(0)
	v_cvt_f32_f16_e32 v2, v2
	ds_write_b32 v59, v2
.LBB209_27:                             ;   in Loop: Header=BB209_5 Depth=1
	s_or_b64 exec, exec, s[22:23]
	s_mov_b32 s2, 16
	s_mov_b32 s36, 14
	;; [unrolled: 1-line block ×3, first 2 shown]
	v_mov_b32_e32 v123, v96
	v_mov_b32_e32 v124, v97
	s_waitcnt lgkmcnt(0)
	s_barrier
.LBB209_28:                             ;   Parent Loop BB209_5 Depth=1
                                        ; =>  This Inner Loop Header: Depth=2
	s_add_i32 s22, s36, 2
	s_lshr_b32 s39, s22, 4
	s_and_b32 s37, s22, 0x3ffffff8
	s_lshl_b32 s35, s39, 3
	s_lshl_b32 s37, s37, 2
	v_add_lshl_u32 v132, v63, s35, 2
	v_add_u32_e32 v130, s37, v65
	v_add_u32_e32 v128, 0x4200, v132
	ds_read_b32 v125, v124
	ds_read_b128 v[6:9], v123
	ds_read_b128 v[2:5], v123 offset:16
	ds_read2_b32 v[126:127], v130 offset1:1
	ds_read2_b32 v[128:129], v128 offset1:1
	s_add_i32 s23, s36, -14
	s_and_b32 s38, s2, -16
	s_add_i32 s36, s36, s38
	s_waitcnt lgkmcnt(1)
	v_ashrrev_i32_e32 v126, s23, v126
	s_waitcnt lgkmcnt(0)
	v_ashrrev_i32_e32 v128, s3, v128
	v_lshlrev_b32_e32 v128, 2, v128
	v_and_b32_e32 v131, 0x3030303, v126
	v_bfe_u32 v126, v126, 24, 2
	v_and_b32_e32 v128, 0x4040404, v128
	v_sub_u16_e32 v133, v131, v128
	v_sub_u16_sdwa v134, v131, v128 dst_sel:BYTE_1 dst_unused:UNUSED_PAD src0_sel:BYTE_1 src1_sel:BYTE_1
	v_sub_u16_sdwa v126, v126, v128 dst_sel:BYTE_1 dst_unused:UNUSED_PAD src0_sel:DWORD src1_sel:BYTE_3
	v_sub_u16_sdwa v128, v131, v128 dst_sel:DWORD dst_unused:UNUSED_PAD src0_sel:WORD_1 src1_sel:WORD_1
	v_or_b32_sdwa v133, v133, v134 dst_sel:DWORD dst_unused:UNUSED_PAD src0_sel:BYTE_0 src1_sel:DWORD
	v_or_b32_sdwa v126, v128, v126 dst_sel:WORD_1 dst_unused:UNUSED_PAD src0_sel:BYTE_0 src1_sel:DWORD
	v_ashrrev_i32_e32 v128, s3, v129
	v_or_b32_sdwa v131, v133, v126 dst_sel:DWORD dst_unused:UNUSED_PAD src0_sel:WORD_0 src1_sel:DWORD
	v_ashrrev_i32_e32 v126, s23, v127
	v_lshlrev_b32_e32 v128, 2, v128
	v_and_b32_e32 v127, 0x3030303, v126
	v_bfe_u32 v126, v126, 24, 2
	v_and_b32_e32 v128, 0x4040404, v128
	v_sub_u16_e32 v129, v127, v128
	v_sub_u16_sdwa v133, v127, v128 dst_sel:BYTE_1 dst_unused:UNUSED_PAD src0_sel:BYTE_1 src1_sel:BYTE_1
	v_sub_u16_sdwa v126, v126, v128 dst_sel:BYTE_1 dst_unused:UNUSED_PAD src0_sel:DWORD src1_sel:BYTE_3
	v_sub_u16_sdwa v127, v127, v128 dst_sel:DWORD dst_unused:UNUSED_PAD src0_sel:WORD_1 src1_sel:WORD_1
	v_or_b32_sdwa v129, v129, v133 dst_sel:DWORD dst_unused:UNUSED_PAD src0_sel:BYTE_0 src1_sel:DWORD
	v_or_b32_sdwa v126, v127, v126 dst_sel:WORD_1 dst_unused:UNUSED_PAD src0_sel:BYTE_0 src1_sel:DWORD
	v_add_u32_e32 v128, 0x4208, v132
	v_or_b32_sdwa v133, v129, v126 dst_sel:DWORD dst_unused:UNUSED_PAD src0_sel:WORD_0 src1_sel:DWORD
	ds_read2_b32 v[126:127], v130 offset0:2 offset1:3
	ds_read2_b32 v[128:129], v128 offset1:1
	s_lshl_b32 s38, s39, 2
	s_add_i32 s2, s2, 2
	v_add_u32_e32 v124, 4, v124
	s_waitcnt lgkmcnt(1)
	v_ashrrev_i32_e32 v126, s23, v126
	s_waitcnt lgkmcnt(0)
	v_ashrrev_i32_e32 v128, s3, v128
	v_lshlrev_b32_e32 v128, 2, v128
	v_and_b32_e32 v134, 0x3030303, v126
	v_bfe_u32 v126, v126, 24, 2
	v_and_b32_e32 v128, 0x4040404, v128
	v_sub_u16_e32 v135, v134, v128
	v_sub_u16_sdwa v136, v134, v128 dst_sel:BYTE_1 dst_unused:UNUSED_PAD src0_sel:BYTE_1 src1_sel:BYTE_1
	v_sub_u16_sdwa v126, v126, v128 dst_sel:BYTE_1 dst_unused:UNUSED_PAD src0_sel:DWORD src1_sel:BYTE_3
	v_sub_u16_sdwa v128, v134, v128 dst_sel:DWORD dst_unused:UNUSED_PAD src0_sel:WORD_1 src1_sel:WORD_1
	v_or_b32_sdwa v135, v135, v136 dst_sel:DWORD dst_unused:UNUSED_PAD src0_sel:BYTE_0 src1_sel:DWORD
	v_or_b32_sdwa v126, v128, v126 dst_sel:WORD_1 dst_unused:UNUSED_PAD src0_sel:BYTE_0 src1_sel:DWORD
	v_ashrrev_i32_e32 v128, s3, v129
	v_or_b32_sdwa v134, v135, v126 dst_sel:DWORD dst_unused:UNUSED_PAD src0_sel:WORD_0 src1_sel:DWORD
	v_ashrrev_i32_e32 v126, s23, v127
	v_lshlrev_b32_e32 v128, 2, v128
	v_and_b32_e32 v127, 0x3030303, v126
	v_bfe_u32 v126, v126, 24, 2
	v_and_b32_e32 v128, 0x4040404, v128
	v_sub_u16_e32 v129, v127, v128
	v_sub_u16_sdwa v135, v127, v128 dst_sel:BYTE_1 dst_unused:UNUSED_PAD src0_sel:BYTE_1 src1_sel:BYTE_1
	v_sub_u16_sdwa v126, v126, v128 dst_sel:BYTE_1 dst_unused:UNUSED_PAD src0_sel:DWORD src1_sel:BYTE_3
	v_sub_u16_sdwa v127, v127, v128 dst_sel:DWORD dst_unused:UNUSED_PAD src0_sel:WORD_1 src1_sel:WORD_1
	v_or_b32_sdwa v129, v129, v135 dst_sel:DWORD dst_unused:UNUSED_PAD src0_sel:BYTE_0 src1_sel:DWORD
	v_or_b32_sdwa v126, v127, v126 dst_sel:WORD_1 dst_unused:UNUSED_PAD src0_sel:BYTE_0 src1_sel:DWORD
	v_add_u32_e32 v128, 0x4210, v132
	v_or_b32_sdwa v135, v129, v126 dst_sel:DWORD dst_unused:UNUSED_PAD src0_sel:WORD_0 src1_sel:DWORD
	ds_read2_b32 v[126:127], v130 offset0:4 offset1:5
	ds_read2_b32 v[128:129], v128 offset1:1
	v_add_u32_e32 v123, 32, v123
	s_waitcnt lgkmcnt(1)
	v_ashrrev_i32_e32 v126, s23, v126
	s_waitcnt lgkmcnt(0)
	v_ashrrev_i32_e32 v128, s3, v128
	v_lshlrev_b32_e32 v128, 2, v128
	v_and_b32_e32 v136, 0x3030303, v126
	v_bfe_u32 v126, v126, 24, 2
	v_and_b32_e32 v128, 0x4040404, v128
	v_sub_u16_e32 v137, v136, v128
	v_sub_u16_sdwa v138, v136, v128 dst_sel:BYTE_1 dst_unused:UNUSED_PAD src0_sel:BYTE_1 src1_sel:BYTE_1
	v_sub_u16_sdwa v126, v126, v128 dst_sel:BYTE_1 dst_unused:UNUSED_PAD src0_sel:DWORD src1_sel:BYTE_3
	v_sub_u16_sdwa v128, v136, v128 dst_sel:DWORD dst_unused:UNUSED_PAD src0_sel:WORD_1 src1_sel:WORD_1
	v_or_b32_sdwa v137, v137, v138 dst_sel:DWORD dst_unused:UNUSED_PAD src0_sel:BYTE_0 src1_sel:DWORD
	v_or_b32_sdwa v126, v128, v126 dst_sel:WORD_1 dst_unused:UNUSED_PAD src0_sel:BYTE_0 src1_sel:DWORD
	v_ashrrev_i32_e32 v128, s3, v129
	v_or_b32_sdwa v136, v137, v126 dst_sel:DWORD dst_unused:UNUSED_PAD src0_sel:WORD_0 src1_sel:DWORD
	v_ashrrev_i32_e32 v126, s23, v127
	v_lshlrev_b32_e32 v128, 2, v128
	v_and_b32_e32 v127, 0x3030303, v126
	v_bfe_u32 v126, v126, 24, 2
	v_and_b32_e32 v128, 0x4040404, v128
	v_sub_u16_e32 v129, v127, v128
	v_sub_u16_sdwa v137, v127, v128 dst_sel:BYTE_1 dst_unused:UNUSED_PAD src0_sel:BYTE_1 src1_sel:BYTE_1
	v_sub_u16_sdwa v126, v126, v128 dst_sel:BYTE_1 dst_unused:UNUSED_PAD src0_sel:DWORD src1_sel:BYTE_3
	v_sub_u16_sdwa v127, v127, v128 dst_sel:DWORD dst_unused:UNUSED_PAD src0_sel:WORD_1 src1_sel:WORD_1
	v_or_b32_sdwa v129, v129, v137 dst_sel:DWORD dst_unused:UNUSED_PAD src0_sel:BYTE_0 src1_sel:DWORD
	v_or_b32_sdwa v126, v127, v126 dst_sel:WORD_1 dst_unused:UNUSED_PAD src0_sel:BYTE_0 src1_sel:DWORD
	v_add_u32_e32 v128, 0x4218, v132
	v_or_b32_sdwa v137, v129, v126 dst_sel:DWORD dst_unused:UNUSED_PAD src0_sel:WORD_0 src1_sel:DWORD
	ds_read2_b32 v[126:127], v130 offset0:6 offset1:7
	ds_read2_b32 v[128:129], v128 offset1:1
	s_waitcnt lgkmcnt(1)
	v_ashrrev_i32_e32 v126, s23, v126
	s_waitcnt lgkmcnt(0)
	v_ashrrev_i32_e32 v128, s3, v128
	v_lshlrev_b32_e32 v128, 2, v128
	v_and_b32_e32 v130, 0x3030303, v126
	v_bfe_u32 v126, v126, 24, 2
	v_and_b32_e32 v128, 0x4040404, v128
	v_sub_u16_e32 v132, v130, v128
	v_sub_u16_sdwa v138, v130, v128 dst_sel:BYTE_1 dst_unused:UNUSED_PAD src0_sel:BYTE_1 src1_sel:BYTE_1
	v_sub_u16_sdwa v126, v126, v128 dst_sel:BYTE_1 dst_unused:UNUSED_PAD src0_sel:DWORD src1_sel:BYTE_3
	v_sub_u16_sdwa v128, v130, v128 dst_sel:DWORD dst_unused:UNUSED_PAD src0_sel:WORD_1 src1_sel:WORD_1
	v_or_b32_sdwa v132, v132, v138 dst_sel:DWORD dst_unused:UNUSED_PAD src0_sel:BYTE_0 src1_sel:DWORD
	v_or_b32_sdwa v126, v128, v126 dst_sel:WORD_1 dst_unused:UNUSED_PAD src0_sel:BYTE_0 src1_sel:DWORD
	v_ashrrev_i32_e32 v129, s3, v129
	v_or_b32_sdwa v128, v132, v126 dst_sel:DWORD dst_unused:UNUSED_PAD src0_sel:WORD_0 src1_sel:DWORD
	v_ashrrev_i32_e32 v126, s23, v127
	v_lshlrev_b32_e32 v129, 2, v129
	v_and_b32_e32 v127, 0x3030303, v126
	v_bfe_u32 v126, v126, 24, 2
	v_and_b32_e32 v129, 0x4040404, v129
	v_sub_u16_e32 v130, v127, v129
	v_sub_u16_sdwa v132, v127, v129 dst_sel:BYTE_1 dst_unused:UNUSED_PAD src0_sel:BYTE_1 src1_sel:BYTE_1
	v_sub_u16_sdwa v126, v126, v129 dst_sel:BYTE_1 dst_unused:UNUSED_PAD src0_sel:DWORD src1_sel:BYTE_3
	v_sub_u16_sdwa v127, v127, v129 dst_sel:DWORD dst_unused:UNUSED_PAD src0_sel:WORD_1 src1_sel:WORD_1
	v_or_b32_sdwa v130, v130, v132 dst_sel:DWORD dst_unused:UNUSED_PAD src0_sel:BYTE_0 src1_sel:DWORD
	v_or_b32_sdwa v126, v127, v126 dst_sel:WORD_1 dst_unused:UNUSED_PAD src0_sel:BYTE_0 src1_sel:DWORD
	v_add_u32_e32 v129, s38, v67
	v_or_b32_sdwa v127, v130, v126 dst_sel:DWORD dst_unused:UNUSED_PAD src0_sel:WORD_0 src1_sel:DWORD
	v_add_u32_e32 v126, s36, v105
	ds_read_b32 v129, v129
	ds_read_u16 v126, v126 offset:25330
	v_mov_b32_e32 v130, 0
	v_dot4c_i32_i8_e32 v130, v131, v6
	v_dot4c_i32_i8_e32 v130, v133, v7
	;; [unrolled: 1-line block ×4, first 2 shown]
	s_waitcnt lgkmcnt(0)
	v_lshrrev_b16_e32 v131, 8, v126
	v_bfe_i32 v126, v126, 0, 8
	v_add_lshl_u32 v132, v69, s35, 2
	v_mul_lo_u32 v126, v130, v126
	v_mov_b32_e32 v130, 0
	v_dot4c_i32_i8_e32 v130, v136, v2
	v_dot4c_i32_i8_e32 v130, v137, v3
	;; [unrolled: 1-line block ×4, first 2 shown]
	v_bfe_i32 v127, v131, 0, 8
	v_add_u32_e32 v128, 0x4200, v132
	s_nop 0
	v_mad_u64_u32 v[126:127], s[40:41], v130, v127, v[126:127]
	v_cvt_f32_i32_e32 v126, v126
	v_mul_f32_e32 v127, v125, v129
	v_add_u32_e32 v130, s37, v71
	ds_read2_b32 v[128:129], v128 offset1:1
	v_fmac_f32_e32 v118, v127, v126
	ds_read2_b32 v[126:127], v130 offset1:1
	s_waitcnt lgkmcnt(1)
	v_ashrrev_i32_e32 v128, s3, v128
	v_lshlrev_b32_e32 v128, 2, v128
	s_waitcnt lgkmcnt(0)
	v_ashrrev_i32_e32 v126, s23, v126
	v_and_b32_e32 v131, 0x3030303, v126
	v_bfe_u32 v126, v126, 24, 2
	v_and_b32_e32 v128, 0x4040404, v128
	v_sub_u16_e32 v133, v131, v128
	v_sub_u16_sdwa v134, v131, v128 dst_sel:BYTE_1 dst_unused:UNUSED_PAD src0_sel:BYTE_1 src1_sel:BYTE_1
	v_sub_u16_sdwa v126, v126, v128 dst_sel:BYTE_1 dst_unused:UNUSED_PAD src0_sel:DWORD src1_sel:BYTE_3
	v_sub_u16_sdwa v128, v131, v128 dst_sel:DWORD dst_unused:UNUSED_PAD src0_sel:WORD_1 src1_sel:WORD_1
	v_or_b32_sdwa v133, v133, v134 dst_sel:DWORD dst_unused:UNUSED_PAD src0_sel:BYTE_0 src1_sel:DWORD
	v_or_b32_sdwa v126, v128, v126 dst_sel:WORD_1 dst_unused:UNUSED_PAD src0_sel:BYTE_0 src1_sel:DWORD
	v_ashrrev_i32_e32 v128, s3, v129
	v_or_b32_sdwa v131, v133, v126 dst_sel:DWORD dst_unused:UNUSED_PAD src0_sel:WORD_0 src1_sel:DWORD
	v_ashrrev_i32_e32 v126, s23, v127
	v_lshlrev_b32_e32 v128, 2, v128
	v_and_b32_e32 v127, 0x3030303, v126
	v_bfe_u32 v126, v126, 24, 2
	v_and_b32_e32 v128, 0x4040404, v128
	v_sub_u16_e32 v129, v127, v128
	v_sub_u16_sdwa v133, v127, v128 dst_sel:BYTE_1 dst_unused:UNUSED_PAD src0_sel:BYTE_1 src1_sel:BYTE_1
	v_sub_u16_sdwa v126, v126, v128 dst_sel:BYTE_1 dst_unused:UNUSED_PAD src0_sel:DWORD src1_sel:BYTE_3
	v_sub_u16_sdwa v127, v127, v128 dst_sel:DWORD dst_unused:UNUSED_PAD src0_sel:WORD_1 src1_sel:WORD_1
	v_or_b32_sdwa v129, v129, v133 dst_sel:DWORD dst_unused:UNUSED_PAD src0_sel:BYTE_0 src1_sel:DWORD
	v_or_b32_sdwa v126, v127, v126 dst_sel:WORD_1 dst_unused:UNUSED_PAD src0_sel:BYTE_0 src1_sel:DWORD
	v_add_u32_e32 v128, 0x4208, v132
	v_or_b32_sdwa v133, v129, v126 dst_sel:DWORD dst_unused:UNUSED_PAD src0_sel:WORD_0 src1_sel:DWORD
	ds_read2_b32 v[126:127], v130 offset0:2 offset1:3
	ds_read2_b32 v[128:129], v128 offset1:1
	s_waitcnt lgkmcnt(1)
	v_ashrrev_i32_e32 v126, s23, v126
	s_waitcnt lgkmcnt(0)
	v_ashrrev_i32_e32 v128, s3, v128
	v_lshlrev_b32_e32 v128, 2, v128
	v_and_b32_e32 v134, 0x3030303, v126
	v_bfe_u32 v126, v126, 24, 2
	v_and_b32_e32 v128, 0x4040404, v128
	v_sub_u16_e32 v135, v134, v128
	v_sub_u16_sdwa v136, v134, v128 dst_sel:BYTE_1 dst_unused:UNUSED_PAD src0_sel:BYTE_1 src1_sel:BYTE_1
	v_sub_u16_sdwa v126, v126, v128 dst_sel:BYTE_1 dst_unused:UNUSED_PAD src0_sel:DWORD src1_sel:BYTE_3
	v_sub_u16_sdwa v128, v134, v128 dst_sel:DWORD dst_unused:UNUSED_PAD src0_sel:WORD_1 src1_sel:WORD_1
	v_or_b32_sdwa v135, v135, v136 dst_sel:DWORD dst_unused:UNUSED_PAD src0_sel:BYTE_0 src1_sel:DWORD
	v_or_b32_sdwa v126, v128, v126 dst_sel:WORD_1 dst_unused:UNUSED_PAD src0_sel:BYTE_0 src1_sel:DWORD
	v_ashrrev_i32_e32 v128, s3, v129
	v_or_b32_sdwa v134, v135, v126 dst_sel:DWORD dst_unused:UNUSED_PAD src0_sel:WORD_0 src1_sel:DWORD
	v_ashrrev_i32_e32 v126, s23, v127
	v_lshlrev_b32_e32 v128, 2, v128
	v_and_b32_e32 v127, 0x3030303, v126
	v_bfe_u32 v126, v126, 24, 2
	v_and_b32_e32 v128, 0x4040404, v128
	v_sub_u16_e32 v129, v127, v128
	v_sub_u16_sdwa v135, v127, v128 dst_sel:BYTE_1 dst_unused:UNUSED_PAD src0_sel:BYTE_1 src1_sel:BYTE_1
	v_sub_u16_sdwa v126, v126, v128 dst_sel:BYTE_1 dst_unused:UNUSED_PAD src0_sel:DWORD src1_sel:BYTE_3
	v_sub_u16_sdwa v127, v127, v128 dst_sel:DWORD dst_unused:UNUSED_PAD src0_sel:WORD_1 src1_sel:WORD_1
	v_or_b32_sdwa v129, v129, v135 dst_sel:DWORD dst_unused:UNUSED_PAD src0_sel:BYTE_0 src1_sel:DWORD
	v_or_b32_sdwa v126, v127, v126 dst_sel:WORD_1 dst_unused:UNUSED_PAD src0_sel:BYTE_0 src1_sel:DWORD
	v_add_u32_e32 v128, 0x4210, v132
	v_or_b32_sdwa v135, v129, v126 dst_sel:DWORD dst_unused:UNUSED_PAD src0_sel:WORD_0 src1_sel:DWORD
	ds_read2_b32 v[126:127], v130 offset0:4 offset1:5
	ds_read2_b32 v[128:129], v128 offset1:1
	s_waitcnt lgkmcnt(1)
	v_ashrrev_i32_e32 v126, s23, v126
	s_waitcnt lgkmcnt(0)
	v_ashrrev_i32_e32 v128, s3, v128
	v_lshlrev_b32_e32 v128, 2, v128
	;; [unrolled: 31-line block ×3, first 2 shown]
	v_and_b32_e32 v130, 0x3030303, v126
	v_bfe_u32 v126, v126, 24, 2
	v_and_b32_e32 v128, 0x4040404, v128
	v_sub_u16_e32 v132, v130, v128
	v_sub_u16_sdwa v138, v130, v128 dst_sel:BYTE_1 dst_unused:UNUSED_PAD src0_sel:BYTE_1 src1_sel:BYTE_1
	v_sub_u16_sdwa v126, v126, v128 dst_sel:BYTE_1 dst_unused:UNUSED_PAD src0_sel:DWORD src1_sel:BYTE_3
	v_sub_u16_sdwa v128, v130, v128 dst_sel:DWORD dst_unused:UNUSED_PAD src0_sel:WORD_1 src1_sel:WORD_1
	v_or_b32_sdwa v132, v132, v138 dst_sel:DWORD dst_unused:UNUSED_PAD src0_sel:BYTE_0 src1_sel:DWORD
	v_or_b32_sdwa v126, v128, v126 dst_sel:WORD_1 dst_unused:UNUSED_PAD src0_sel:BYTE_0 src1_sel:DWORD
	v_ashrrev_i32_e32 v129, s3, v129
	v_or_b32_sdwa v128, v132, v126 dst_sel:DWORD dst_unused:UNUSED_PAD src0_sel:WORD_0 src1_sel:DWORD
	v_ashrrev_i32_e32 v126, s23, v127
	v_lshlrev_b32_e32 v129, 2, v129
	v_and_b32_e32 v127, 0x3030303, v126
	v_bfe_u32 v126, v126, 24, 2
	v_and_b32_e32 v129, 0x4040404, v129
	v_sub_u16_e32 v130, v127, v129
	v_sub_u16_sdwa v132, v127, v129 dst_sel:BYTE_1 dst_unused:UNUSED_PAD src0_sel:BYTE_1 src1_sel:BYTE_1
	v_sub_u16_sdwa v126, v126, v129 dst_sel:BYTE_1 dst_unused:UNUSED_PAD src0_sel:DWORD src1_sel:BYTE_3
	v_sub_u16_sdwa v127, v127, v129 dst_sel:DWORD dst_unused:UNUSED_PAD src0_sel:WORD_1 src1_sel:WORD_1
	v_or_b32_sdwa v130, v130, v132 dst_sel:DWORD dst_unused:UNUSED_PAD src0_sel:BYTE_0 src1_sel:DWORD
	v_or_b32_sdwa v126, v127, v126 dst_sel:WORD_1 dst_unused:UNUSED_PAD src0_sel:BYTE_0 src1_sel:DWORD
	v_add_u32_e32 v129, s38, v75
	v_or_b32_sdwa v127, v130, v126 dst_sel:DWORD dst_unused:UNUSED_PAD src0_sel:WORD_0 src1_sel:DWORD
	v_add_u32_e32 v126, s36, v104
	ds_read_b32 v129, v129
	ds_read_u16 v126, v126 offset:26354
	v_mov_b32_e32 v130, 0
	v_dot4c_i32_i8_e32 v130, v131, v6
	v_dot4c_i32_i8_e32 v130, v133, v7
	;; [unrolled: 1-line block ×4, first 2 shown]
	s_waitcnt lgkmcnt(0)
	v_lshrrev_b16_e32 v131, 8, v126
	v_bfe_i32 v126, v126, 0, 8
	v_add_lshl_u32 v132, v77, s35, 2
	v_mul_lo_u32 v126, v130, v126
	v_mov_b32_e32 v130, 0
	v_dot4c_i32_i8_e32 v130, v136, v2
	v_dot4c_i32_i8_e32 v130, v137, v3
	;; [unrolled: 1-line block ×4, first 2 shown]
	v_bfe_i32 v127, v131, 0, 8
	v_add_u32_e32 v128, 0x4200, v132
	s_nop 0
	v_mad_u64_u32 v[126:127], s[40:41], v130, v127, v[126:127]
	v_cvt_f32_i32_e32 v126, v126
	v_mul_f32_e32 v127, v125, v129
	v_add_u32_e32 v130, s37, v79
	ds_read2_b32 v[128:129], v128 offset1:1
	v_fmac_f32_e32 v119, v127, v126
	ds_read2_b32 v[126:127], v130 offset1:1
	s_waitcnt lgkmcnt(1)
	v_ashrrev_i32_e32 v128, s3, v128
	v_lshlrev_b32_e32 v128, 2, v128
	s_waitcnt lgkmcnt(0)
	v_ashrrev_i32_e32 v126, s23, v126
	v_and_b32_e32 v131, 0x3030303, v126
	v_bfe_u32 v126, v126, 24, 2
	v_and_b32_e32 v128, 0x4040404, v128
	v_sub_u16_e32 v133, v131, v128
	v_sub_u16_sdwa v134, v131, v128 dst_sel:BYTE_1 dst_unused:UNUSED_PAD src0_sel:BYTE_1 src1_sel:BYTE_1
	v_sub_u16_sdwa v126, v126, v128 dst_sel:BYTE_1 dst_unused:UNUSED_PAD src0_sel:DWORD src1_sel:BYTE_3
	v_sub_u16_sdwa v128, v131, v128 dst_sel:DWORD dst_unused:UNUSED_PAD src0_sel:WORD_1 src1_sel:WORD_1
	v_or_b32_sdwa v133, v133, v134 dst_sel:DWORD dst_unused:UNUSED_PAD src0_sel:BYTE_0 src1_sel:DWORD
	v_or_b32_sdwa v126, v128, v126 dst_sel:WORD_1 dst_unused:UNUSED_PAD src0_sel:BYTE_0 src1_sel:DWORD
	v_ashrrev_i32_e32 v128, s3, v129
	v_or_b32_sdwa v131, v133, v126 dst_sel:DWORD dst_unused:UNUSED_PAD src0_sel:WORD_0 src1_sel:DWORD
	v_ashrrev_i32_e32 v126, s23, v127
	v_lshlrev_b32_e32 v128, 2, v128
	v_and_b32_e32 v127, 0x3030303, v126
	v_bfe_u32 v126, v126, 24, 2
	v_and_b32_e32 v128, 0x4040404, v128
	v_sub_u16_e32 v129, v127, v128
	v_sub_u16_sdwa v133, v127, v128 dst_sel:BYTE_1 dst_unused:UNUSED_PAD src0_sel:BYTE_1 src1_sel:BYTE_1
	v_sub_u16_sdwa v126, v126, v128 dst_sel:BYTE_1 dst_unused:UNUSED_PAD src0_sel:DWORD src1_sel:BYTE_3
	v_sub_u16_sdwa v127, v127, v128 dst_sel:DWORD dst_unused:UNUSED_PAD src0_sel:WORD_1 src1_sel:WORD_1
	v_or_b32_sdwa v129, v129, v133 dst_sel:DWORD dst_unused:UNUSED_PAD src0_sel:BYTE_0 src1_sel:DWORD
	v_or_b32_sdwa v126, v127, v126 dst_sel:WORD_1 dst_unused:UNUSED_PAD src0_sel:BYTE_0 src1_sel:DWORD
	v_add_u32_e32 v128, 0x4208, v132
	v_or_b32_sdwa v133, v129, v126 dst_sel:DWORD dst_unused:UNUSED_PAD src0_sel:WORD_0 src1_sel:DWORD
	ds_read2_b32 v[126:127], v130 offset0:2 offset1:3
	ds_read2_b32 v[128:129], v128 offset1:1
	s_waitcnt lgkmcnt(1)
	v_ashrrev_i32_e32 v126, s23, v126
	s_waitcnt lgkmcnt(0)
	v_ashrrev_i32_e32 v128, s3, v128
	v_lshlrev_b32_e32 v128, 2, v128
	v_and_b32_e32 v134, 0x3030303, v126
	v_bfe_u32 v126, v126, 24, 2
	v_and_b32_e32 v128, 0x4040404, v128
	v_sub_u16_e32 v135, v134, v128
	v_sub_u16_sdwa v136, v134, v128 dst_sel:BYTE_1 dst_unused:UNUSED_PAD src0_sel:BYTE_1 src1_sel:BYTE_1
	v_sub_u16_sdwa v126, v126, v128 dst_sel:BYTE_1 dst_unused:UNUSED_PAD src0_sel:DWORD src1_sel:BYTE_3
	v_sub_u16_sdwa v128, v134, v128 dst_sel:DWORD dst_unused:UNUSED_PAD src0_sel:WORD_1 src1_sel:WORD_1
	v_or_b32_sdwa v135, v135, v136 dst_sel:DWORD dst_unused:UNUSED_PAD src0_sel:BYTE_0 src1_sel:DWORD
	v_or_b32_sdwa v126, v128, v126 dst_sel:WORD_1 dst_unused:UNUSED_PAD src0_sel:BYTE_0 src1_sel:DWORD
	v_ashrrev_i32_e32 v128, s3, v129
	v_or_b32_sdwa v134, v135, v126 dst_sel:DWORD dst_unused:UNUSED_PAD src0_sel:WORD_0 src1_sel:DWORD
	v_ashrrev_i32_e32 v126, s23, v127
	v_lshlrev_b32_e32 v128, 2, v128
	v_and_b32_e32 v127, 0x3030303, v126
	v_bfe_u32 v126, v126, 24, 2
	v_and_b32_e32 v128, 0x4040404, v128
	v_sub_u16_e32 v129, v127, v128
	v_sub_u16_sdwa v135, v127, v128 dst_sel:BYTE_1 dst_unused:UNUSED_PAD src0_sel:BYTE_1 src1_sel:BYTE_1
	v_sub_u16_sdwa v126, v126, v128 dst_sel:BYTE_1 dst_unused:UNUSED_PAD src0_sel:DWORD src1_sel:BYTE_3
	v_sub_u16_sdwa v127, v127, v128 dst_sel:DWORD dst_unused:UNUSED_PAD src0_sel:WORD_1 src1_sel:WORD_1
	v_or_b32_sdwa v129, v129, v135 dst_sel:DWORD dst_unused:UNUSED_PAD src0_sel:BYTE_0 src1_sel:DWORD
	v_or_b32_sdwa v126, v127, v126 dst_sel:WORD_1 dst_unused:UNUSED_PAD src0_sel:BYTE_0 src1_sel:DWORD
	v_add_u32_e32 v128, 0x4210, v132
	v_or_b32_sdwa v135, v129, v126 dst_sel:DWORD dst_unused:UNUSED_PAD src0_sel:WORD_0 src1_sel:DWORD
	ds_read2_b32 v[126:127], v130 offset0:4 offset1:5
	ds_read2_b32 v[128:129], v128 offset1:1
	s_waitcnt lgkmcnt(1)
	v_ashrrev_i32_e32 v126, s23, v126
	s_waitcnt lgkmcnt(0)
	v_ashrrev_i32_e32 v128, s3, v128
	v_lshlrev_b32_e32 v128, 2, v128
	;; [unrolled: 31-line block ×3, first 2 shown]
	v_and_b32_e32 v130, 0x3030303, v126
	v_bfe_u32 v126, v126, 24, 2
	v_and_b32_e32 v128, 0x4040404, v128
	v_sub_u16_e32 v132, v130, v128
	v_sub_u16_sdwa v138, v130, v128 dst_sel:BYTE_1 dst_unused:UNUSED_PAD src0_sel:BYTE_1 src1_sel:BYTE_1
	v_sub_u16_sdwa v126, v126, v128 dst_sel:BYTE_1 dst_unused:UNUSED_PAD src0_sel:DWORD src1_sel:BYTE_3
	v_sub_u16_sdwa v128, v130, v128 dst_sel:DWORD dst_unused:UNUSED_PAD src0_sel:WORD_1 src1_sel:WORD_1
	v_or_b32_sdwa v132, v132, v138 dst_sel:DWORD dst_unused:UNUSED_PAD src0_sel:BYTE_0 src1_sel:DWORD
	v_or_b32_sdwa v126, v128, v126 dst_sel:WORD_1 dst_unused:UNUSED_PAD src0_sel:BYTE_0 src1_sel:DWORD
	v_ashrrev_i32_e32 v129, s3, v129
	v_or_b32_sdwa v128, v132, v126 dst_sel:DWORD dst_unused:UNUSED_PAD src0_sel:WORD_0 src1_sel:DWORD
	v_ashrrev_i32_e32 v126, s23, v127
	v_lshlrev_b32_e32 v129, 2, v129
	v_and_b32_e32 v127, 0x3030303, v126
	v_bfe_u32 v126, v126, 24, 2
	v_and_b32_e32 v129, 0x4040404, v129
	v_sub_u16_e32 v130, v127, v129
	v_sub_u16_sdwa v132, v127, v129 dst_sel:BYTE_1 dst_unused:UNUSED_PAD src0_sel:BYTE_1 src1_sel:BYTE_1
	v_sub_u16_sdwa v126, v126, v129 dst_sel:BYTE_1 dst_unused:UNUSED_PAD src0_sel:DWORD src1_sel:BYTE_3
	v_sub_u16_sdwa v127, v127, v129 dst_sel:DWORD dst_unused:UNUSED_PAD src0_sel:WORD_1 src1_sel:WORD_1
	v_or_b32_sdwa v130, v130, v132 dst_sel:DWORD dst_unused:UNUSED_PAD src0_sel:BYTE_0 src1_sel:DWORD
	v_or_b32_sdwa v126, v127, v126 dst_sel:WORD_1 dst_unused:UNUSED_PAD src0_sel:BYTE_0 src1_sel:DWORD
	v_add_u32_e32 v129, s38, v81
	v_or_b32_sdwa v127, v130, v126 dst_sel:DWORD dst_unused:UNUSED_PAD src0_sel:WORD_0 src1_sel:DWORD
	v_add_u32_e32 v126, s36, v103
	ds_read_b32 v129, v129
	ds_read_u16 v126, v126 offset:27378
	v_mov_b32_e32 v130, 0
	v_dot4c_i32_i8_e32 v130, v131, v6
	v_dot4c_i32_i8_e32 v130, v133, v7
	;; [unrolled: 1-line block ×4, first 2 shown]
	s_waitcnt lgkmcnt(0)
	v_lshrrev_b16_e32 v131, 8, v126
	v_bfe_i32 v126, v126, 0, 8
	v_add_lshl_u32 v132, v86, s35, 2
	v_mul_lo_u32 v126, v130, v126
	v_mov_b32_e32 v130, 0
	v_dot4c_i32_i8_e32 v130, v136, v2
	v_dot4c_i32_i8_e32 v130, v137, v3
	;; [unrolled: 1-line block ×4, first 2 shown]
	v_bfe_i32 v127, v131, 0, 8
	v_add_u32_e32 v128, 0x4200, v132
	s_nop 0
	v_mad_u64_u32 v[126:127], s[40:41], v130, v127, v[126:127]
	v_cvt_f32_i32_e32 v126, v126
	v_mul_f32_e32 v127, v125, v129
	v_add_u32_e32 v130, s37, v87
	ds_read2_b32 v[128:129], v128 offset1:1
	v_fmac_f32_e32 v120, v127, v126
	ds_read2_b32 v[126:127], v130 offset1:1
	s_waitcnt lgkmcnt(1)
	v_ashrrev_i32_e32 v128, s3, v128
	v_lshlrev_b32_e32 v128, 2, v128
	s_waitcnt lgkmcnt(0)
	v_ashrrev_i32_e32 v126, s23, v126
	v_and_b32_e32 v131, 0x3030303, v126
	v_bfe_u32 v126, v126, 24, 2
	v_and_b32_e32 v128, 0x4040404, v128
	v_sub_u16_e32 v133, v131, v128
	v_sub_u16_sdwa v134, v131, v128 dst_sel:BYTE_1 dst_unused:UNUSED_PAD src0_sel:BYTE_1 src1_sel:BYTE_1
	v_sub_u16_sdwa v126, v126, v128 dst_sel:BYTE_1 dst_unused:UNUSED_PAD src0_sel:DWORD src1_sel:BYTE_3
	v_sub_u16_sdwa v128, v131, v128 dst_sel:DWORD dst_unused:UNUSED_PAD src0_sel:WORD_1 src1_sel:WORD_1
	v_or_b32_sdwa v133, v133, v134 dst_sel:DWORD dst_unused:UNUSED_PAD src0_sel:BYTE_0 src1_sel:DWORD
	v_or_b32_sdwa v126, v128, v126 dst_sel:WORD_1 dst_unused:UNUSED_PAD src0_sel:BYTE_0 src1_sel:DWORD
	v_ashrrev_i32_e32 v128, s3, v129
	v_or_b32_sdwa v131, v133, v126 dst_sel:DWORD dst_unused:UNUSED_PAD src0_sel:WORD_0 src1_sel:DWORD
	v_ashrrev_i32_e32 v126, s23, v127
	v_lshlrev_b32_e32 v128, 2, v128
	v_and_b32_e32 v127, 0x3030303, v126
	v_bfe_u32 v126, v126, 24, 2
	v_and_b32_e32 v128, 0x4040404, v128
	v_sub_u16_e32 v129, v127, v128
	v_sub_u16_sdwa v133, v127, v128 dst_sel:BYTE_1 dst_unused:UNUSED_PAD src0_sel:BYTE_1 src1_sel:BYTE_1
	v_sub_u16_sdwa v126, v126, v128 dst_sel:BYTE_1 dst_unused:UNUSED_PAD src0_sel:DWORD src1_sel:BYTE_3
	v_sub_u16_sdwa v127, v127, v128 dst_sel:DWORD dst_unused:UNUSED_PAD src0_sel:WORD_1 src1_sel:WORD_1
	v_or_b32_sdwa v129, v129, v133 dst_sel:DWORD dst_unused:UNUSED_PAD src0_sel:BYTE_0 src1_sel:DWORD
	v_or_b32_sdwa v126, v127, v126 dst_sel:WORD_1 dst_unused:UNUSED_PAD src0_sel:BYTE_0 src1_sel:DWORD
	v_add_u32_e32 v128, 0x4208, v132
	v_or_b32_sdwa v133, v129, v126 dst_sel:DWORD dst_unused:UNUSED_PAD src0_sel:WORD_0 src1_sel:DWORD
	ds_read2_b32 v[126:127], v130 offset0:2 offset1:3
	ds_read2_b32 v[128:129], v128 offset1:1
	s_waitcnt lgkmcnt(1)
	v_ashrrev_i32_e32 v126, s23, v126
	s_waitcnt lgkmcnt(0)
	v_ashrrev_i32_e32 v128, s3, v128
	v_lshlrev_b32_e32 v128, 2, v128
	v_and_b32_e32 v134, 0x3030303, v126
	v_bfe_u32 v126, v126, 24, 2
	v_and_b32_e32 v128, 0x4040404, v128
	v_sub_u16_e32 v135, v134, v128
	v_sub_u16_sdwa v136, v134, v128 dst_sel:BYTE_1 dst_unused:UNUSED_PAD src0_sel:BYTE_1 src1_sel:BYTE_1
	v_sub_u16_sdwa v126, v126, v128 dst_sel:BYTE_1 dst_unused:UNUSED_PAD src0_sel:DWORD src1_sel:BYTE_3
	v_sub_u16_sdwa v128, v134, v128 dst_sel:DWORD dst_unused:UNUSED_PAD src0_sel:WORD_1 src1_sel:WORD_1
	v_or_b32_sdwa v135, v135, v136 dst_sel:DWORD dst_unused:UNUSED_PAD src0_sel:BYTE_0 src1_sel:DWORD
	v_or_b32_sdwa v126, v128, v126 dst_sel:WORD_1 dst_unused:UNUSED_PAD src0_sel:BYTE_0 src1_sel:DWORD
	v_ashrrev_i32_e32 v128, s3, v129
	v_or_b32_sdwa v134, v135, v126 dst_sel:DWORD dst_unused:UNUSED_PAD src0_sel:WORD_0 src1_sel:DWORD
	v_ashrrev_i32_e32 v126, s23, v127
	v_lshlrev_b32_e32 v128, 2, v128
	v_and_b32_e32 v127, 0x3030303, v126
	v_bfe_u32 v126, v126, 24, 2
	v_and_b32_e32 v128, 0x4040404, v128
	v_sub_u16_e32 v129, v127, v128
	v_sub_u16_sdwa v135, v127, v128 dst_sel:BYTE_1 dst_unused:UNUSED_PAD src0_sel:BYTE_1 src1_sel:BYTE_1
	v_sub_u16_sdwa v126, v126, v128 dst_sel:BYTE_1 dst_unused:UNUSED_PAD src0_sel:DWORD src1_sel:BYTE_3
	v_sub_u16_sdwa v127, v127, v128 dst_sel:DWORD dst_unused:UNUSED_PAD src0_sel:WORD_1 src1_sel:WORD_1
	v_or_b32_sdwa v129, v129, v135 dst_sel:DWORD dst_unused:UNUSED_PAD src0_sel:BYTE_0 src1_sel:DWORD
	v_or_b32_sdwa v126, v127, v126 dst_sel:WORD_1 dst_unused:UNUSED_PAD src0_sel:BYTE_0 src1_sel:DWORD
	v_add_u32_e32 v128, 0x4210, v132
	v_or_b32_sdwa v135, v129, v126 dst_sel:DWORD dst_unused:UNUSED_PAD src0_sel:WORD_0 src1_sel:DWORD
	ds_read2_b32 v[126:127], v130 offset0:4 offset1:5
	ds_read2_b32 v[128:129], v128 offset1:1
	s_waitcnt lgkmcnt(1)
	v_ashrrev_i32_e32 v126, s23, v126
	s_waitcnt lgkmcnt(0)
	v_ashrrev_i32_e32 v128, s3, v128
	v_lshlrev_b32_e32 v128, 2, v128
	;; [unrolled: 31-line block ×3, first 2 shown]
	v_and_b32_e32 v130, 0x3030303, v126
	v_bfe_u32 v126, v126, 24, 2
	v_and_b32_e32 v128, 0x4040404, v128
	v_ashrrev_i32_e32 v129, s3, v129
	v_sub_u16_e32 v132, v130, v128
	v_sub_u16_sdwa v138, v130, v128 dst_sel:BYTE_1 dst_unused:UNUSED_PAD src0_sel:BYTE_1 src1_sel:BYTE_1
	v_sub_u16_sdwa v126, v126, v128 dst_sel:BYTE_1 dst_unused:UNUSED_PAD src0_sel:DWORD src1_sel:BYTE_3
	v_sub_u16_sdwa v128, v130, v128 dst_sel:DWORD dst_unused:UNUSED_PAD src0_sel:WORD_1 src1_sel:WORD_1
	v_ashrrev_i32_e32 v127, s23, v127
	v_lshlrev_b32_e32 v129, 2, v129
	v_or_b32_sdwa v132, v132, v138 dst_sel:DWORD dst_unused:UNUSED_PAD src0_sel:BYTE_0 src1_sel:DWORD
	v_or_b32_sdwa v126, v128, v126 dst_sel:WORD_1 dst_unused:UNUSED_PAD src0_sel:BYTE_0 src1_sel:DWORD
	v_and_b32_e32 v128, 0x3030303, v127
	v_bfe_u32 v127, v127, 24, 2
	v_and_b32_e32 v129, 0x4040404, v129
	v_or_b32_sdwa v126, v132, v126 dst_sel:DWORD dst_unused:UNUSED_PAD src0_sel:WORD_0 src1_sel:DWORD
	v_sub_u16_e32 v130, v128, v129
	v_sub_u16_sdwa v132, v128, v129 dst_sel:BYTE_1 dst_unused:UNUSED_PAD src0_sel:BYTE_1 src1_sel:BYTE_1
	v_sub_u16_sdwa v127, v127, v129 dst_sel:BYTE_1 dst_unused:UNUSED_PAD src0_sel:DWORD src1_sel:BYTE_3
	v_sub_u16_sdwa v128, v128, v129 dst_sel:DWORD dst_unused:UNUSED_PAD src0_sel:WORD_1 src1_sel:WORD_1
	v_or_b32_sdwa v130, v130, v132 dst_sel:DWORD dst_unused:UNUSED_PAD src0_sel:BYTE_0 src1_sel:DWORD
	v_or_b32_sdwa v127, v128, v127 dst_sel:WORD_1 dst_unused:UNUSED_PAD src0_sel:BYTE_0 src1_sel:DWORD
	v_add_u32_e32 v128, s36, v102
	v_or_b32_sdwa v127, v130, v127 dst_sel:DWORD dst_unused:UNUSED_PAD src0_sel:WORD_0 src1_sel:DWORD
	v_add_u32_e32 v129, s38, v88
	v_mov_b32_e32 v130, 0
	ds_read_b32 v129, v129
	v_dot4c_i32_i8_e32 v130, v131, v6
	ds_read_u16 v6, v128 offset:28402
	v_dot4c_i32_i8_e32 v130, v133, v7
	v_dot4c_i32_i8_e32 v130, v134, v8
	v_mov_b32_e32 v8, 0
	v_dot4c_i32_i8_e32 v8, v136, v2
	v_dot4c_i32_i8_e32 v8, v137, v3
	;; [unrolled: 1-line block ×3, first 2 shown]
	s_waitcnt lgkmcnt(0)
	v_lshrrev_b16_e32 v7, 8, v6
	v_bfe_i32 v6, v6, 0, 8
	v_dot4c_i32_i8_e32 v8, v126, v4
	v_mul_lo_u32 v6, v130, v6
	v_dot4c_i32_i8_e32 v8, v127, v5
	v_bfe_i32 v2, v7, 0, 8
	s_add_i32 s3, s3, 1
	s_cmp_lt_u32 s22, 22
	v_mad_u64_u32 v[2:3], s[36:37], v8, v2, v[6:7]
	v_cvt_f32_i32_e32 v2, v2
	v_mul_f32_e32 v3, v125, v129
	s_mov_b32 s36, s22
	v_fmac_f32_e32 v121, v3, v2
	s_cbranch_scc1 .LBB209_28
; %bb.29:                               ;   in Loop: Header=BB209_5 Depth=1
	s_or_b32 s2, s34, 0x180
	s_cmp_ge_i32 s2, s15
	s_barrier
	s_cbranch_scc1 .LBB209_4
; %bb.30:                               ;   in Loop: Header=BB209_5 Depth=1
	v_add_u32_e32 v2, s33, v91
	v_cmp_gt_i32_e64 s[2:3], s5, v2
	s_and_b64 s[22:23], s[0:1], s[2:3]
	s_and_saveexec_b64 s[2:3], s[22:23]
	s_cbranch_execz .LBB209_32
; %bb.31:                               ;   in Loop: Header=BB209_5 Depth=1
	v_add_u32_e32 v2, v84, v2
	v_mad_i64_i32 v[2:3], s[22:23], v2, 36, v[82:83]
	global_load_dword v2, v[2:3], off offset:4
	s_waitcnt vmcnt(0)
	ds_write_b32 v57, v2
.LBB209_32:                             ;   in Loop: Header=BB209_5 Depth=1
	s_or_b64 exec, exec, s[2:3]
	s_and_saveexec_b64 s[22:23], vcc
	s_cbranch_execz .LBB209_35
; %bb.33:                               ;   in Loop: Header=BB209_5 Depth=1
	v_or_b32_e32 v2, s33, v11
	v_or_b32_e32 v3, 12, v2
	v_cmp_gt_i32_e64 s[2:3], s5, v3
	s_and_b64 s[2:3], s[0:1], s[2:3]
	s_and_b64 exec, exec, s[2:3]
	s_cbranch_execz .LBB209_35
; %bb.34:                               ;   in Loop: Header=BB209_5 Depth=1
	v_ashrrev_i32_e32 v3, 31, v2
	v_lshl_add_u64 v[2:3], v[84:85], 0, v[2:3]
	v_mad_u64_u32 v[4:5], s[2:3], v2, 36, s[18:19]
	v_mad_i32_i24 v5, v3, 36, v5
	global_load_dword v2, v[4:5], off
	s_waitcnt vmcnt(0)
	v_cvt_f32_f16_e32 v2, v2
	ds_write_b32 v59, v2
.LBB209_35:                             ;   in Loop: Header=BB209_5 Depth=1
	s_or_b64 exec, exec, s[22:23]
	s_mov_b32 s2, 24
	s_mov_b32 s34, 22
	;; [unrolled: 1-line block ×3, first 2 shown]
	v_mov_b32_e32 v123, v96
	v_mov_b32_e32 v124, v97
	s_waitcnt lgkmcnt(0)
	s_barrier
.LBB209_36:                             ;   Parent Loop BB209_5 Depth=1
                                        ; =>  This Inner Loop Header: Depth=2
	s_add_i32 s22, s34, 2
	s_lshr_b32 s37, s22, 4
	s_and_b32 s35, s22, 0x3ffffff8
	s_lshl_b32 s33, s37, 3
	s_lshl_b32 s35, s35, 2
	v_add_lshl_u32 v132, v63, s33, 2
	v_add_u32_e32 v130, s35, v65
	v_add_u32_e32 v128, 0x4200, v132
	ds_read_b32 v125, v124
	ds_read_b128 v[6:9], v123
	ds_read_b128 v[2:5], v123 offset:16
	ds_read2_b32 v[126:127], v130 offset1:1
	ds_read2_b32 v[128:129], v128 offset1:1
	s_sub_i32 s23, s34, 22
	s_and_b32 s36, s2, -16
	s_add_i32 s34, s34, s36
	s_waitcnt lgkmcnt(1)
	v_ashrrev_i32_e32 v126, s23, v126
	s_waitcnt lgkmcnt(0)
	v_ashrrev_i32_e32 v128, s3, v128
	v_lshlrev_b32_e32 v128, 2, v128
	v_and_b32_e32 v131, 0x3030303, v126
	v_bfe_u32 v126, v126, 24, 2
	v_and_b32_e32 v128, 0x4040404, v128
	v_sub_u16_e32 v133, v131, v128
	v_sub_u16_sdwa v134, v131, v128 dst_sel:BYTE_1 dst_unused:UNUSED_PAD src0_sel:BYTE_1 src1_sel:BYTE_1
	v_sub_u16_sdwa v126, v126, v128 dst_sel:BYTE_1 dst_unused:UNUSED_PAD src0_sel:DWORD src1_sel:BYTE_3
	v_sub_u16_sdwa v128, v131, v128 dst_sel:DWORD dst_unused:UNUSED_PAD src0_sel:WORD_1 src1_sel:WORD_1
	v_or_b32_sdwa v133, v133, v134 dst_sel:DWORD dst_unused:UNUSED_PAD src0_sel:BYTE_0 src1_sel:DWORD
	v_or_b32_sdwa v126, v128, v126 dst_sel:WORD_1 dst_unused:UNUSED_PAD src0_sel:BYTE_0 src1_sel:DWORD
	v_ashrrev_i32_e32 v128, s3, v129
	v_or_b32_sdwa v131, v133, v126 dst_sel:DWORD dst_unused:UNUSED_PAD src0_sel:WORD_0 src1_sel:DWORD
	v_ashrrev_i32_e32 v126, s23, v127
	v_lshlrev_b32_e32 v128, 2, v128
	v_and_b32_e32 v127, 0x3030303, v126
	v_bfe_u32 v126, v126, 24, 2
	v_and_b32_e32 v128, 0x4040404, v128
	v_sub_u16_e32 v129, v127, v128
	v_sub_u16_sdwa v133, v127, v128 dst_sel:BYTE_1 dst_unused:UNUSED_PAD src0_sel:BYTE_1 src1_sel:BYTE_1
	v_sub_u16_sdwa v126, v126, v128 dst_sel:BYTE_1 dst_unused:UNUSED_PAD src0_sel:DWORD src1_sel:BYTE_3
	v_sub_u16_sdwa v127, v127, v128 dst_sel:DWORD dst_unused:UNUSED_PAD src0_sel:WORD_1 src1_sel:WORD_1
	v_or_b32_sdwa v129, v129, v133 dst_sel:DWORD dst_unused:UNUSED_PAD src0_sel:BYTE_0 src1_sel:DWORD
	v_or_b32_sdwa v126, v127, v126 dst_sel:WORD_1 dst_unused:UNUSED_PAD src0_sel:BYTE_0 src1_sel:DWORD
	v_add_u32_e32 v128, 0x4208, v132
	v_or_b32_sdwa v133, v129, v126 dst_sel:DWORD dst_unused:UNUSED_PAD src0_sel:WORD_0 src1_sel:DWORD
	ds_read2_b32 v[126:127], v130 offset0:2 offset1:3
	ds_read2_b32 v[128:129], v128 offset1:1
	s_lshl_b32 s36, s37, 2
	s_add_i32 s2, s2, 2
	v_add_u32_e32 v124, 4, v124
	s_waitcnt lgkmcnt(1)
	v_ashrrev_i32_e32 v126, s23, v126
	s_waitcnt lgkmcnt(0)
	v_ashrrev_i32_e32 v128, s3, v128
	v_lshlrev_b32_e32 v128, 2, v128
	v_and_b32_e32 v134, 0x3030303, v126
	v_bfe_u32 v126, v126, 24, 2
	v_and_b32_e32 v128, 0x4040404, v128
	v_sub_u16_e32 v135, v134, v128
	v_sub_u16_sdwa v136, v134, v128 dst_sel:BYTE_1 dst_unused:UNUSED_PAD src0_sel:BYTE_1 src1_sel:BYTE_1
	v_sub_u16_sdwa v126, v126, v128 dst_sel:BYTE_1 dst_unused:UNUSED_PAD src0_sel:DWORD src1_sel:BYTE_3
	v_sub_u16_sdwa v128, v134, v128 dst_sel:DWORD dst_unused:UNUSED_PAD src0_sel:WORD_1 src1_sel:WORD_1
	v_or_b32_sdwa v135, v135, v136 dst_sel:DWORD dst_unused:UNUSED_PAD src0_sel:BYTE_0 src1_sel:DWORD
	v_or_b32_sdwa v126, v128, v126 dst_sel:WORD_1 dst_unused:UNUSED_PAD src0_sel:BYTE_0 src1_sel:DWORD
	v_ashrrev_i32_e32 v128, s3, v129
	v_or_b32_sdwa v134, v135, v126 dst_sel:DWORD dst_unused:UNUSED_PAD src0_sel:WORD_0 src1_sel:DWORD
	v_ashrrev_i32_e32 v126, s23, v127
	v_lshlrev_b32_e32 v128, 2, v128
	v_and_b32_e32 v127, 0x3030303, v126
	v_bfe_u32 v126, v126, 24, 2
	v_and_b32_e32 v128, 0x4040404, v128
	v_sub_u16_e32 v129, v127, v128
	v_sub_u16_sdwa v135, v127, v128 dst_sel:BYTE_1 dst_unused:UNUSED_PAD src0_sel:BYTE_1 src1_sel:BYTE_1
	v_sub_u16_sdwa v126, v126, v128 dst_sel:BYTE_1 dst_unused:UNUSED_PAD src0_sel:DWORD src1_sel:BYTE_3
	v_sub_u16_sdwa v127, v127, v128 dst_sel:DWORD dst_unused:UNUSED_PAD src0_sel:WORD_1 src1_sel:WORD_1
	v_or_b32_sdwa v129, v129, v135 dst_sel:DWORD dst_unused:UNUSED_PAD src0_sel:BYTE_0 src1_sel:DWORD
	v_or_b32_sdwa v126, v127, v126 dst_sel:WORD_1 dst_unused:UNUSED_PAD src0_sel:BYTE_0 src1_sel:DWORD
	v_add_u32_e32 v128, 0x4210, v132
	v_or_b32_sdwa v135, v129, v126 dst_sel:DWORD dst_unused:UNUSED_PAD src0_sel:WORD_0 src1_sel:DWORD
	ds_read2_b32 v[126:127], v130 offset0:4 offset1:5
	ds_read2_b32 v[128:129], v128 offset1:1
	v_add_u32_e32 v123, 32, v123
	s_waitcnt lgkmcnt(1)
	v_ashrrev_i32_e32 v126, s23, v126
	s_waitcnt lgkmcnt(0)
	v_ashrrev_i32_e32 v128, s3, v128
	v_lshlrev_b32_e32 v128, 2, v128
	v_and_b32_e32 v136, 0x3030303, v126
	v_bfe_u32 v126, v126, 24, 2
	v_and_b32_e32 v128, 0x4040404, v128
	v_sub_u16_e32 v137, v136, v128
	v_sub_u16_sdwa v138, v136, v128 dst_sel:BYTE_1 dst_unused:UNUSED_PAD src0_sel:BYTE_1 src1_sel:BYTE_1
	v_sub_u16_sdwa v126, v126, v128 dst_sel:BYTE_1 dst_unused:UNUSED_PAD src0_sel:DWORD src1_sel:BYTE_3
	v_sub_u16_sdwa v128, v136, v128 dst_sel:DWORD dst_unused:UNUSED_PAD src0_sel:WORD_1 src1_sel:WORD_1
	v_or_b32_sdwa v137, v137, v138 dst_sel:DWORD dst_unused:UNUSED_PAD src0_sel:BYTE_0 src1_sel:DWORD
	v_or_b32_sdwa v126, v128, v126 dst_sel:WORD_1 dst_unused:UNUSED_PAD src0_sel:BYTE_0 src1_sel:DWORD
	v_ashrrev_i32_e32 v128, s3, v129
	v_or_b32_sdwa v136, v137, v126 dst_sel:DWORD dst_unused:UNUSED_PAD src0_sel:WORD_0 src1_sel:DWORD
	v_ashrrev_i32_e32 v126, s23, v127
	v_lshlrev_b32_e32 v128, 2, v128
	v_and_b32_e32 v127, 0x3030303, v126
	v_bfe_u32 v126, v126, 24, 2
	v_and_b32_e32 v128, 0x4040404, v128
	v_sub_u16_e32 v129, v127, v128
	v_sub_u16_sdwa v137, v127, v128 dst_sel:BYTE_1 dst_unused:UNUSED_PAD src0_sel:BYTE_1 src1_sel:BYTE_1
	v_sub_u16_sdwa v126, v126, v128 dst_sel:BYTE_1 dst_unused:UNUSED_PAD src0_sel:DWORD src1_sel:BYTE_3
	v_sub_u16_sdwa v127, v127, v128 dst_sel:DWORD dst_unused:UNUSED_PAD src0_sel:WORD_1 src1_sel:WORD_1
	v_or_b32_sdwa v129, v129, v137 dst_sel:DWORD dst_unused:UNUSED_PAD src0_sel:BYTE_0 src1_sel:DWORD
	v_or_b32_sdwa v126, v127, v126 dst_sel:WORD_1 dst_unused:UNUSED_PAD src0_sel:BYTE_0 src1_sel:DWORD
	v_add_u32_e32 v128, 0x4218, v132
	v_or_b32_sdwa v137, v129, v126 dst_sel:DWORD dst_unused:UNUSED_PAD src0_sel:WORD_0 src1_sel:DWORD
	ds_read2_b32 v[126:127], v130 offset0:6 offset1:7
	ds_read2_b32 v[128:129], v128 offset1:1
	s_waitcnt lgkmcnt(1)
	v_ashrrev_i32_e32 v126, s23, v126
	s_waitcnt lgkmcnt(0)
	v_ashrrev_i32_e32 v128, s3, v128
	v_lshlrev_b32_e32 v128, 2, v128
	v_and_b32_e32 v130, 0x3030303, v126
	v_bfe_u32 v126, v126, 24, 2
	v_and_b32_e32 v128, 0x4040404, v128
	v_sub_u16_e32 v132, v130, v128
	v_sub_u16_sdwa v138, v130, v128 dst_sel:BYTE_1 dst_unused:UNUSED_PAD src0_sel:BYTE_1 src1_sel:BYTE_1
	v_sub_u16_sdwa v126, v126, v128 dst_sel:BYTE_1 dst_unused:UNUSED_PAD src0_sel:DWORD src1_sel:BYTE_3
	v_sub_u16_sdwa v128, v130, v128 dst_sel:DWORD dst_unused:UNUSED_PAD src0_sel:WORD_1 src1_sel:WORD_1
	v_or_b32_sdwa v132, v132, v138 dst_sel:DWORD dst_unused:UNUSED_PAD src0_sel:BYTE_0 src1_sel:DWORD
	v_or_b32_sdwa v126, v128, v126 dst_sel:WORD_1 dst_unused:UNUSED_PAD src0_sel:BYTE_0 src1_sel:DWORD
	v_ashrrev_i32_e32 v129, s3, v129
	v_or_b32_sdwa v128, v132, v126 dst_sel:DWORD dst_unused:UNUSED_PAD src0_sel:WORD_0 src1_sel:DWORD
	v_ashrrev_i32_e32 v126, s23, v127
	v_lshlrev_b32_e32 v129, 2, v129
	v_and_b32_e32 v127, 0x3030303, v126
	v_bfe_u32 v126, v126, 24, 2
	v_and_b32_e32 v129, 0x4040404, v129
	v_sub_u16_e32 v130, v127, v129
	v_sub_u16_sdwa v132, v127, v129 dst_sel:BYTE_1 dst_unused:UNUSED_PAD src0_sel:BYTE_1 src1_sel:BYTE_1
	v_sub_u16_sdwa v126, v126, v129 dst_sel:BYTE_1 dst_unused:UNUSED_PAD src0_sel:DWORD src1_sel:BYTE_3
	v_sub_u16_sdwa v127, v127, v129 dst_sel:DWORD dst_unused:UNUSED_PAD src0_sel:WORD_1 src1_sel:WORD_1
	v_or_b32_sdwa v130, v130, v132 dst_sel:DWORD dst_unused:UNUSED_PAD src0_sel:BYTE_0 src1_sel:DWORD
	v_or_b32_sdwa v126, v127, v126 dst_sel:WORD_1 dst_unused:UNUSED_PAD src0_sel:BYTE_0 src1_sel:DWORD
	v_add_u32_e32 v129, s36, v67
	v_or_b32_sdwa v127, v130, v126 dst_sel:DWORD dst_unused:UNUSED_PAD src0_sel:WORD_0 src1_sel:DWORD
	v_add_u32_e32 v126, s34, v105
	ds_read_b32 v129, v129
	ds_read_u16 v126, v126 offset:25330
	v_mov_b32_e32 v130, 0
	v_dot4c_i32_i8_e32 v130, v131, v6
	v_dot4c_i32_i8_e32 v130, v133, v7
	;; [unrolled: 1-line block ×4, first 2 shown]
	s_waitcnt lgkmcnt(0)
	v_lshrrev_b16_e32 v131, 8, v126
	v_bfe_i32 v126, v126, 0, 8
	v_add_lshl_u32 v132, v69, s33, 2
	v_mul_lo_u32 v126, v130, v126
	v_mov_b32_e32 v130, 0
	v_dot4c_i32_i8_e32 v130, v136, v2
	v_dot4c_i32_i8_e32 v130, v137, v3
	;; [unrolled: 1-line block ×4, first 2 shown]
	v_bfe_i32 v127, v131, 0, 8
	v_add_u32_e32 v128, 0x4200, v132
	s_nop 0
	v_mad_u64_u32 v[126:127], s[38:39], v130, v127, v[126:127]
	v_cvt_f32_i32_e32 v126, v126
	v_mul_f32_e32 v127, v125, v129
	v_add_u32_e32 v130, s35, v71
	ds_read2_b32 v[128:129], v128 offset1:1
	v_fmac_f32_e32 v118, v127, v126
	ds_read2_b32 v[126:127], v130 offset1:1
	s_waitcnt lgkmcnt(1)
	v_ashrrev_i32_e32 v128, s3, v128
	v_lshlrev_b32_e32 v128, 2, v128
	s_waitcnt lgkmcnt(0)
	v_ashrrev_i32_e32 v126, s23, v126
	v_and_b32_e32 v131, 0x3030303, v126
	v_bfe_u32 v126, v126, 24, 2
	v_and_b32_e32 v128, 0x4040404, v128
	v_sub_u16_e32 v133, v131, v128
	v_sub_u16_sdwa v134, v131, v128 dst_sel:BYTE_1 dst_unused:UNUSED_PAD src0_sel:BYTE_1 src1_sel:BYTE_1
	v_sub_u16_sdwa v126, v126, v128 dst_sel:BYTE_1 dst_unused:UNUSED_PAD src0_sel:DWORD src1_sel:BYTE_3
	v_sub_u16_sdwa v128, v131, v128 dst_sel:DWORD dst_unused:UNUSED_PAD src0_sel:WORD_1 src1_sel:WORD_1
	v_or_b32_sdwa v133, v133, v134 dst_sel:DWORD dst_unused:UNUSED_PAD src0_sel:BYTE_0 src1_sel:DWORD
	v_or_b32_sdwa v126, v128, v126 dst_sel:WORD_1 dst_unused:UNUSED_PAD src0_sel:BYTE_0 src1_sel:DWORD
	v_ashrrev_i32_e32 v128, s3, v129
	v_or_b32_sdwa v131, v133, v126 dst_sel:DWORD dst_unused:UNUSED_PAD src0_sel:WORD_0 src1_sel:DWORD
	v_ashrrev_i32_e32 v126, s23, v127
	v_lshlrev_b32_e32 v128, 2, v128
	v_and_b32_e32 v127, 0x3030303, v126
	v_bfe_u32 v126, v126, 24, 2
	v_and_b32_e32 v128, 0x4040404, v128
	v_sub_u16_e32 v129, v127, v128
	v_sub_u16_sdwa v133, v127, v128 dst_sel:BYTE_1 dst_unused:UNUSED_PAD src0_sel:BYTE_1 src1_sel:BYTE_1
	v_sub_u16_sdwa v126, v126, v128 dst_sel:BYTE_1 dst_unused:UNUSED_PAD src0_sel:DWORD src1_sel:BYTE_3
	v_sub_u16_sdwa v127, v127, v128 dst_sel:DWORD dst_unused:UNUSED_PAD src0_sel:WORD_1 src1_sel:WORD_1
	v_or_b32_sdwa v129, v129, v133 dst_sel:DWORD dst_unused:UNUSED_PAD src0_sel:BYTE_0 src1_sel:DWORD
	v_or_b32_sdwa v126, v127, v126 dst_sel:WORD_1 dst_unused:UNUSED_PAD src0_sel:BYTE_0 src1_sel:DWORD
	v_add_u32_e32 v128, 0x4208, v132
	v_or_b32_sdwa v133, v129, v126 dst_sel:DWORD dst_unused:UNUSED_PAD src0_sel:WORD_0 src1_sel:DWORD
	ds_read2_b32 v[126:127], v130 offset0:2 offset1:3
	ds_read2_b32 v[128:129], v128 offset1:1
	s_waitcnt lgkmcnt(1)
	v_ashrrev_i32_e32 v126, s23, v126
	s_waitcnt lgkmcnt(0)
	v_ashrrev_i32_e32 v128, s3, v128
	v_lshlrev_b32_e32 v128, 2, v128
	v_and_b32_e32 v134, 0x3030303, v126
	v_bfe_u32 v126, v126, 24, 2
	v_and_b32_e32 v128, 0x4040404, v128
	v_sub_u16_e32 v135, v134, v128
	v_sub_u16_sdwa v136, v134, v128 dst_sel:BYTE_1 dst_unused:UNUSED_PAD src0_sel:BYTE_1 src1_sel:BYTE_1
	v_sub_u16_sdwa v126, v126, v128 dst_sel:BYTE_1 dst_unused:UNUSED_PAD src0_sel:DWORD src1_sel:BYTE_3
	v_sub_u16_sdwa v128, v134, v128 dst_sel:DWORD dst_unused:UNUSED_PAD src0_sel:WORD_1 src1_sel:WORD_1
	v_or_b32_sdwa v135, v135, v136 dst_sel:DWORD dst_unused:UNUSED_PAD src0_sel:BYTE_0 src1_sel:DWORD
	v_or_b32_sdwa v126, v128, v126 dst_sel:WORD_1 dst_unused:UNUSED_PAD src0_sel:BYTE_0 src1_sel:DWORD
	v_ashrrev_i32_e32 v128, s3, v129
	v_or_b32_sdwa v134, v135, v126 dst_sel:DWORD dst_unused:UNUSED_PAD src0_sel:WORD_0 src1_sel:DWORD
	v_ashrrev_i32_e32 v126, s23, v127
	v_lshlrev_b32_e32 v128, 2, v128
	v_and_b32_e32 v127, 0x3030303, v126
	v_bfe_u32 v126, v126, 24, 2
	v_and_b32_e32 v128, 0x4040404, v128
	v_sub_u16_e32 v129, v127, v128
	v_sub_u16_sdwa v135, v127, v128 dst_sel:BYTE_1 dst_unused:UNUSED_PAD src0_sel:BYTE_1 src1_sel:BYTE_1
	v_sub_u16_sdwa v126, v126, v128 dst_sel:BYTE_1 dst_unused:UNUSED_PAD src0_sel:DWORD src1_sel:BYTE_3
	v_sub_u16_sdwa v127, v127, v128 dst_sel:DWORD dst_unused:UNUSED_PAD src0_sel:WORD_1 src1_sel:WORD_1
	v_or_b32_sdwa v129, v129, v135 dst_sel:DWORD dst_unused:UNUSED_PAD src0_sel:BYTE_0 src1_sel:DWORD
	v_or_b32_sdwa v126, v127, v126 dst_sel:WORD_1 dst_unused:UNUSED_PAD src0_sel:BYTE_0 src1_sel:DWORD
	v_add_u32_e32 v128, 0x4210, v132
	v_or_b32_sdwa v135, v129, v126 dst_sel:DWORD dst_unused:UNUSED_PAD src0_sel:WORD_0 src1_sel:DWORD
	ds_read2_b32 v[126:127], v130 offset0:4 offset1:5
	ds_read2_b32 v[128:129], v128 offset1:1
	s_waitcnt lgkmcnt(1)
	v_ashrrev_i32_e32 v126, s23, v126
	s_waitcnt lgkmcnt(0)
	v_ashrrev_i32_e32 v128, s3, v128
	v_lshlrev_b32_e32 v128, 2, v128
	;; [unrolled: 31-line block ×3, first 2 shown]
	v_and_b32_e32 v130, 0x3030303, v126
	v_bfe_u32 v126, v126, 24, 2
	v_and_b32_e32 v128, 0x4040404, v128
	v_sub_u16_e32 v132, v130, v128
	v_sub_u16_sdwa v138, v130, v128 dst_sel:BYTE_1 dst_unused:UNUSED_PAD src0_sel:BYTE_1 src1_sel:BYTE_1
	v_sub_u16_sdwa v126, v126, v128 dst_sel:BYTE_1 dst_unused:UNUSED_PAD src0_sel:DWORD src1_sel:BYTE_3
	v_sub_u16_sdwa v128, v130, v128 dst_sel:DWORD dst_unused:UNUSED_PAD src0_sel:WORD_1 src1_sel:WORD_1
	v_or_b32_sdwa v132, v132, v138 dst_sel:DWORD dst_unused:UNUSED_PAD src0_sel:BYTE_0 src1_sel:DWORD
	v_or_b32_sdwa v126, v128, v126 dst_sel:WORD_1 dst_unused:UNUSED_PAD src0_sel:BYTE_0 src1_sel:DWORD
	v_ashrrev_i32_e32 v129, s3, v129
	v_or_b32_sdwa v128, v132, v126 dst_sel:DWORD dst_unused:UNUSED_PAD src0_sel:WORD_0 src1_sel:DWORD
	v_ashrrev_i32_e32 v126, s23, v127
	v_lshlrev_b32_e32 v129, 2, v129
	v_and_b32_e32 v127, 0x3030303, v126
	v_bfe_u32 v126, v126, 24, 2
	v_and_b32_e32 v129, 0x4040404, v129
	v_sub_u16_e32 v130, v127, v129
	v_sub_u16_sdwa v132, v127, v129 dst_sel:BYTE_1 dst_unused:UNUSED_PAD src0_sel:BYTE_1 src1_sel:BYTE_1
	v_sub_u16_sdwa v126, v126, v129 dst_sel:BYTE_1 dst_unused:UNUSED_PAD src0_sel:DWORD src1_sel:BYTE_3
	v_sub_u16_sdwa v127, v127, v129 dst_sel:DWORD dst_unused:UNUSED_PAD src0_sel:WORD_1 src1_sel:WORD_1
	v_or_b32_sdwa v130, v130, v132 dst_sel:DWORD dst_unused:UNUSED_PAD src0_sel:BYTE_0 src1_sel:DWORD
	v_or_b32_sdwa v126, v127, v126 dst_sel:WORD_1 dst_unused:UNUSED_PAD src0_sel:BYTE_0 src1_sel:DWORD
	v_add_u32_e32 v129, s36, v75
	v_or_b32_sdwa v127, v130, v126 dst_sel:DWORD dst_unused:UNUSED_PAD src0_sel:WORD_0 src1_sel:DWORD
	v_add_u32_e32 v126, s34, v104
	ds_read_b32 v129, v129
	ds_read_u16 v126, v126 offset:26354
	v_mov_b32_e32 v130, 0
	v_dot4c_i32_i8_e32 v130, v131, v6
	v_dot4c_i32_i8_e32 v130, v133, v7
	;; [unrolled: 1-line block ×4, first 2 shown]
	s_waitcnt lgkmcnt(0)
	v_lshrrev_b16_e32 v131, 8, v126
	v_bfe_i32 v126, v126, 0, 8
	v_add_lshl_u32 v132, v77, s33, 2
	v_mul_lo_u32 v126, v130, v126
	v_mov_b32_e32 v130, 0
	v_dot4c_i32_i8_e32 v130, v136, v2
	v_dot4c_i32_i8_e32 v130, v137, v3
	;; [unrolled: 1-line block ×4, first 2 shown]
	v_bfe_i32 v127, v131, 0, 8
	v_add_u32_e32 v128, 0x4200, v132
	s_nop 0
	v_mad_u64_u32 v[126:127], s[38:39], v130, v127, v[126:127]
	v_cvt_f32_i32_e32 v126, v126
	v_mul_f32_e32 v127, v125, v129
	v_add_u32_e32 v130, s35, v79
	ds_read2_b32 v[128:129], v128 offset1:1
	v_fmac_f32_e32 v119, v127, v126
	ds_read2_b32 v[126:127], v130 offset1:1
	s_waitcnt lgkmcnt(1)
	v_ashrrev_i32_e32 v128, s3, v128
	v_lshlrev_b32_e32 v128, 2, v128
	s_waitcnt lgkmcnt(0)
	v_ashrrev_i32_e32 v126, s23, v126
	v_and_b32_e32 v131, 0x3030303, v126
	v_bfe_u32 v126, v126, 24, 2
	v_and_b32_e32 v128, 0x4040404, v128
	v_sub_u16_e32 v133, v131, v128
	v_sub_u16_sdwa v134, v131, v128 dst_sel:BYTE_1 dst_unused:UNUSED_PAD src0_sel:BYTE_1 src1_sel:BYTE_1
	v_sub_u16_sdwa v126, v126, v128 dst_sel:BYTE_1 dst_unused:UNUSED_PAD src0_sel:DWORD src1_sel:BYTE_3
	v_sub_u16_sdwa v128, v131, v128 dst_sel:DWORD dst_unused:UNUSED_PAD src0_sel:WORD_1 src1_sel:WORD_1
	v_or_b32_sdwa v133, v133, v134 dst_sel:DWORD dst_unused:UNUSED_PAD src0_sel:BYTE_0 src1_sel:DWORD
	v_or_b32_sdwa v126, v128, v126 dst_sel:WORD_1 dst_unused:UNUSED_PAD src0_sel:BYTE_0 src1_sel:DWORD
	v_ashrrev_i32_e32 v128, s3, v129
	v_or_b32_sdwa v131, v133, v126 dst_sel:DWORD dst_unused:UNUSED_PAD src0_sel:WORD_0 src1_sel:DWORD
	v_ashrrev_i32_e32 v126, s23, v127
	v_lshlrev_b32_e32 v128, 2, v128
	v_and_b32_e32 v127, 0x3030303, v126
	v_bfe_u32 v126, v126, 24, 2
	v_and_b32_e32 v128, 0x4040404, v128
	v_sub_u16_e32 v129, v127, v128
	v_sub_u16_sdwa v133, v127, v128 dst_sel:BYTE_1 dst_unused:UNUSED_PAD src0_sel:BYTE_1 src1_sel:BYTE_1
	v_sub_u16_sdwa v126, v126, v128 dst_sel:BYTE_1 dst_unused:UNUSED_PAD src0_sel:DWORD src1_sel:BYTE_3
	v_sub_u16_sdwa v127, v127, v128 dst_sel:DWORD dst_unused:UNUSED_PAD src0_sel:WORD_1 src1_sel:WORD_1
	v_or_b32_sdwa v129, v129, v133 dst_sel:DWORD dst_unused:UNUSED_PAD src0_sel:BYTE_0 src1_sel:DWORD
	v_or_b32_sdwa v126, v127, v126 dst_sel:WORD_1 dst_unused:UNUSED_PAD src0_sel:BYTE_0 src1_sel:DWORD
	v_add_u32_e32 v128, 0x4208, v132
	v_or_b32_sdwa v133, v129, v126 dst_sel:DWORD dst_unused:UNUSED_PAD src0_sel:WORD_0 src1_sel:DWORD
	ds_read2_b32 v[126:127], v130 offset0:2 offset1:3
	ds_read2_b32 v[128:129], v128 offset1:1
	s_waitcnt lgkmcnt(1)
	v_ashrrev_i32_e32 v126, s23, v126
	s_waitcnt lgkmcnt(0)
	v_ashrrev_i32_e32 v128, s3, v128
	v_lshlrev_b32_e32 v128, 2, v128
	v_and_b32_e32 v134, 0x3030303, v126
	v_bfe_u32 v126, v126, 24, 2
	v_and_b32_e32 v128, 0x4040404, v128
	v_sub_u16_e32 v135, v134, v128
	v_sub_u16_sdwa v136, v134, v128 dst_sel:BYTE_1 dst_unused:UNUSED_PAD src0_sel:BYTE_1 src1_sel:BYTE_1
	v_sub_u16_sdwa v126, v126, v128 dst_sel:BYTE_1 dst_unused:UNUSED_PAD src0_sel:DWORD src1_sel:BYTE_3
	v_sub_u16_sdwa v128, v134, v128 dst_sel:DWORD dst_unused:UNUSED_PAD src0_sel:WORD_1 src1_sel:WORD_1
	v_or_b32_sdwa v135, v135, v136 dst_sel:DWORD dst_unused:UNUSED_PAD src0_sel:BYTE_0 src1_sel:DWORD
	v_or_b32_sdwa v126, v128, v126 dst_sel:WORD_1 dst_unused:UNUSED_PAD src0_sel:BYTE_0 src1_sel:DWORD
	v_ashrrev_i32_e32 v128, s3, v129
	v_or_b32_sdwa v134, v135, v126 dst_sel:DWORD dst_unused:UNUSED_PAD src0_sel:WORD_0 src1_sel:DWORD
	v_ashrrev_i32_e32 v126, s23, v127
	v_lshlrev_b32_e32 v128, 2, v128
	v_and_b32_e32 v127, 0x3030303, v126
	v_bfe_u32 v126, v126, 24, 2
	v_and_b32_e32 v128, 0x4040404, v128
	v_sub_u16_e32 v129, v127, v128
	v_sub_u16_sdwa v135, v127, v128 dst_sel:BYTE_1 dst_unused:UNUSED_PAD src0_sel:BYTE_1 src1_sel:BYTE_1
	v_sub_u16_sdwa v126, v126, v128 dst_sel:BYTE_1 dst_unused:UNUSED_PAD src0_sel:DWORD src1_sel:BYTE_3
	v_sub_u16_sdwa v127, v127, v128 dst_sel:DWORD dst_unused:UNUSED_PAD src0_sel:WORD_1 src1_sel:WORD_1
	v_or_b32_sdwa v129, v129, v135 dst_sel:DWORD dst_unused:UNUSED_PAD src0_sel:BYTE_0 src1_sel:DWORD
	v_or_b32_sdwa v126, v127, v126 dst_sel:WORD_1 dst_unused:UNUSED_PAD src0_sel:BYTE_0 src1_sel:DWORD
	v_add_u32_e32 v128, 0x4210, v132
	v_or_b32_sdwa v135, v129, v126 dst_sel:DWORD dst_unused:UNUSED_PAD src0_sel:WORD_0 src1_sel:DWORD
	ds_read2_b32 v[126:127], v130 offset0:4 offset1:5
	ds_read2_b32 v[128:129], v128 offset1:1
	s_waitcnt lgkmcnt(1)
	v_ashrrev_i32_e32 v126, s23, v126
	s_waitcnt lgkmcnt(0)
	v_ashrrev_i32_e32 v128, s3, v128
	v_lshlrev_b32_e32 v128, 2, v128
	;; [unrolled: 31-line block ×3, first 2 shown]
	v_and_b32_e32 v130, 0x3030303, v126
	v_bfe_u32 v126, v126, 24, 2
	v_and_b32_e32 v128, 0x4040404, v128
	v_sub_u16_e32 v132, v130, v128
	v_sub_u16_sdwa v138, v130, v128 dst_sel:BYTE_1 dst_unused:UNUSED_PAD src0_sel:BYTE_1 src1_sel:BYTE_1
	v_sub_u16_sdwa v126, v126, v128 dst_sel:BYTE_1 dst_unused:UNUSED_PAD src0_sel:DWORD src1_sel:BYTE_3
	v_sub_u16_sdwa v128, v130, v128 dst_sel:DWORD dst_unused:UNUSED_PAD src0_sel:WORD_1 src1_sel:WORD_1
	v_or_b32_sdwa v132, v132, v138 dst_sel:DWORD dst_unused:UNUSED_PAD src0_sel:BYTE_0 src1_sel:DWORD
	v_or_b32_sdwa v126, v128, v126 dst_sel:WORD_1 dst_unused:UNUSED_PAD src0_sel:BYTE_0 src1_sel:DWORD
	v_ashrrev_i32_e32 v129, s3, v129
	v_or_b32_sdwa v128, v132, v126 dst_sel:DWORD dst_unused:UNUSED_PAD src0_sel:WORD_0 src1_sel:DWORD
	v_ashrrev_i32_e32 v126, s23, v127
	v_lshlrev_b32_e32 v129, 2, v129
	v_and_b32_e32 v127, 0x3030303, v126
	v_bfe_u32 v126, v126, 24, 2
	v_and_b32_e32 v129, 0x4040404, v129
	v_sub_u16_e32 v130, v127, v129
	v_sub_u16_sdwa v132, v127, v129 dst_sel:BYTE_1 dst_unused:UNUSED_PAD src0_sel:BYTE_1 src1_sel:BYTE_1
	v_sub_u16_sdwa v126, v126, v129 dst_sel:BYTE_1 dst_unused:UNUSED_PAD src0_sel:DWORD src1_sel:BYTE_3
	v_sub_u16_sdwa v127, v127, v129 dst_sel:DWORD dst_unused:UNUSED_PAD src0_sel:WORD_1 src1_sel:WORD_1
	v_or_b32_sdwa v130, v130, v132 dst_sel:DWORD dst_unused:UNUSED_PAD src0_sel:BYTE_0 src1_sel:DWORD
	v_or_b32_sdwa v126, v127, v126 dst_sel:WORD_1 dst_unused:UNUSED_PAD src0_sel:BYTE_0 src1_sel:DWORD
	v_add_u32_e32 v129, s36, v81
	v_or_b32_sdwa v127, v130, v126 dst_sel:DWORD dst_unused:UNUSED_PAD src0_sel:WORD_0 src1_sel:DWORD
	v_add_u32_e32 v126, s34, v103
	ds_read_b32 v129, v129
	ds_read_u16 v126, v126 offset:27378
	v_mov_b32_e32 v130, 0
	v_dot4c_i32_i8_e32 v130, v131, v6
	v_dot4c_i32_i8_e32 v130, v133, v7
	;; [unrolled: 1-line block ×4, first 2 shown]
	s_waitcnt lgkmcnt(0)
	v_lshrrev_b16_e32 v131, 8, v126
	v_bfe_i32 v126, v126, 0, 8
	v_add_lshl_u32 v132, v86, s33, 2
	v_mul_lo_u32 v126, v130, v126
	v_mov_b32_e32 v130, 0
	v_dot4c_i32_i8_e32 v130, v136, v2
	v_dot4c_i32_i8_e32 v130, v137, v3
	;; [unrolled: 1-line block ×4, first 2 shown]
	v_bfe_i32 v127, v131, 0, 8
	v_add_u32_e32 v128, 0x4200, v132
	s_nop 0
	v_mad_u64_u32 v[126:127], s[38:39], v130, v127, v[126:127]
	v_cvt_f32_i32_e32 v126, v126
	v_mul_f32_e32 v127, v125, v129
	v_add_u32_e32 v130, s35, v87
	ds_read2_b32 v[128:129], v128 offset1:1
	v_fmac_f32_e32 v120, v127, v126
	ds_read2_b32 v[126:127], v130 offset1:1
	s_waitcnt lgkmcnt(1)
	v_ashrrev_i32_e32 v128, s3, v128
	v_lshlrev_b32_e32 v128, 2, v128
	s_waitcnt lgkmcnt(0)
	v_ashrrev_i32_e32 v126, s23, v126
	v_and_b32_e32 v131, 0x3030303, v126
	v_bfe_u32 v126, v126, 24, 2
	v_and_b32_e32 v128, 0x4040404, v128
	v_sub_u16_e32 v133, v131, v128
	v_sub_u16_sdwa v134, v131, v128 dst_sel:BYTE_1 dst_unused:UNUSED_PAD src0_sel:BYTE_1 src1_sel:BYTE_1
	v_sub_u16_sdwa v126, v126, v128 dst_sel:BYTE_1 dst_unused:UNUSED_PAD src0_sel:DWORD src1_sel:BYTE_3
	v_sub_u16_sdwa v128, v131, v128 dst_sel:DWORD dst_unused:UNUSED_PAD src0_sel:WORD_1 src1_sel:WORD_1
	v_or_b32_sdwa v133, v133, v134 dst_sel:DWORD dst_unused:UNUSED_PAD src0_sel:BYTE_0 src1_sel:DWORD
	v_or_b32_sdwa v126, v128, v126 dst_sel:WORD_1 dst_unused:UNUSED_PAD src0_sel:BYTE_0 src1_sel:DWORD
	v_ashrrev_i32_e32 v128, s3, v129
	v_or_b32_sdwa v131, v133, v126 dst_sel:DWORD dst_unused:UNUSED_PAD src0_sel:WORD_0 src1_sel:DWORD
	v_ashrrev_i32_e32 v126, s23, v127
	v_lshlrev_b32_e32 v128, 2, v128
	v_and_b32_e32 v127, 0x3030303, v126
	v_bfe_u32 v126, v126, 24, 2
	v_and_b32_e32 v128, 0x4040404, v128
	v_sub_u16_e32 v129, v127, v128
	v_sub_u16_sdwa v133, v127, v128 dst_sel:BYTE_1 dst_unused:UNUSED_PAD src0_sel:BYTE_1 src1_sel:BYTE_1
	v_sub_u16_sdwa v126, v126, v128 dst_sel:BYTE_1 dst_unused:UNUSED_PAD src0_sel:DWORD src1_sel:BYTE_3
	v_sub_u16_sdwa v127, v127, v128 dst_sel:DWORD dst_unused:UNUSED_PAD src0_sel:WORD_1 src1_sel:WORD_1
	v_or_b32_sdwa v129, v129, v133 dst_sel:DWORD dst_unused:UNUSED_PAD src0_sel:BYTE_0 src1_sel:DWORD
	v_or_b32_sdwa v126, v127, v126 dst_sel:WORD_1 dst_unused:UNUSED_PAD src0_sel:BYTE_0 src1_sel:DWORD
	v_add_u32_e32 v128, 0x4208, v132
	v_or_b32_sdwa v133, v129, v126 dst_sel:DWORD dst_unused:UNUSED_PAD src0_sel:WORD_0 src1_sel:DWORD
	ds_read2_b32 v[126:127], v130 offset0:2 offset1:3
	ds_read2_b32 v[128:129], v128 offset1:1
	s_waitcnt lgkmcnt(1)
	v_ashrrev_i32_e32 v126, s23, v126
	s_waitcnt lgkmcnt(0)
	v_ashrrev_i32_e32 v128, s3, v128
	v_lshlrev_b32_e32 v128, 2, v128
	v_and_b32_e32 v134, 0x3030303, v126
	v_bfe_u32 v126, v126, 24, 2
	v_and_b32_e32 v128, 0x4040404, v128
	v_sub_u16_e32 v135, v134, v128
	v_sub_u16_sdwa v136, v134, v128 dst_sel:BYTE_1 dst_unused:UNUSED_PAD src0_sel:BYTE_1 src1_sel:BYTE_1
	v_sub_u16_sdwa v126, v126, v128 dst_sel:BYTE_1 dst_unused:UNUSED_PAD src0_sel:DWORD src1_sel:BYTE_3
	v_sub_u16_sdwa v128, v134, v128 dst_sel:DWORD dst_unused:UNUSED_PAD src0_sel:WORD_1 src1_sel:WORD_1
	v_or_b32_sdwa v135, v135, v136 dst_sel:DWORD dst_unused:UNUSED_PAD src0_sel:BYTE_0 src1_sel:DWORD
	v_or_b32_sdwa v126, v128, v126 dst_sel:WORD_1 dst_unused:UNUSED_PAD src0_sel:BYTE_0 src1_sel:DWORD
	v_ashrrev_i32_e32 v128, s3, v129
	v_or_b32_sdwa v134, v135, v126 dst_sel:DWORD dst_unused:UNUSED_PAD src0_sel:WORD_0 src1_sel:DWORD
	v_ashrrev_i32_e32 v126, s23, v127
	v_lshlrev_b32_e32 v128, 2, v128
	v_and_b32_e32 v127, 0x3030303, v126
	v_bfe_u32 v126, v126, 24, 2
	v_and_b32_e32 v128, 0x4040404, v128
	v_sub_u16_e32 v129, v127, v128
	v_sub_u16_sdwa v135, v127, v128 dst_sel:BYTE_1 dst_unused:UNUSED_PAD src0_sel:BYTE_1 src1_sel:BYTE_1
	v_sub_u16_sdwa v126, v126, v128 dst_sel:BYTE_1 dst_unused:UNUSED_PAD src0_sel:DWORD src1_sel:BYTE_3
	v_sub_u16_sdwa v127, v127, v128 dst_sel:DWORD dst_unused:UNUSED_PAD src0_sel:WORD_1 src1_sel:WORD_1
	v_or_b32_sdwa v129, v129, v135 dst_sel:DWORD dst_unused:UNUSED_PAD src0_sel:BYTE_0 src1_sel:DWORD
	v_or_b32_sdwa v126, v127, v126 dst_sel:WORD_1 dst_unused:UNUSED_PAD src0_sel:BYTE_0 src1_sel:DWORD
	v_add_u32_e32 v128, 0x4210, v132
	v_or_b32_sdwa v135, v129, v126 dst_sel:DWORD dst_unused:UNUSED_PAD src0_sel:WORD_0 src1_sel:DWORD
	ds_read2_b32 v[126:127], v130 offset0:4 offset1:5
	ds_read2_b32 v[128:129], v128 offset1:1
	s_waitcnt lgkmcnt(1)
	v_ashrrev_i32_e32 v126, s23, v126
	s_waitcnt lgkmcnt(0)
	v_ashrrev_i32_e32 v128, s3, v128
	v_lshlrev_b32_e32 v128, 2, v128
	;; [unrolled: 31-line block ×3, first 2 shown]
	v_and_b32_e32 v130, 0x3030303, v126
	v_bfe_u32 v126, v126, 24, 2
	v_and_b32_e32 v128, 0x4040404, v128
	v_ashrrev_i32_e32 v129, s3, v129
	v_sub_u16_e32 v132, v130, v128
	v_sub_u16_sdwa v138, v130, v128 dst_sel:BYTE_1 dst_unused:UNUSED_PAD src0_sel:BYTE_1 src1_sel:BYTE_1
	v_sub_u16_sdwa v126, v126, v128 dst_sel:BYTE_1 dst_unused:UNUSED_PAD src0_sel:DWORD src1_sel:BYTE_3
	v_sub_u16_sdwa v128, v130, v128 dst_sel:DWORD dst_unused:UNUSED_PAD src0_sel:WORD_1 src1_sel:WORD_1
	v_ashrrev_i32_e32 v127, s23, v127
	v_lshlrev_b32_e32 v129, 2, v129
	v_or_b32_sdwa v132, v132, v138 dst_sel:DWORD dst_unused:UNUSED_PAD src0_sel:BYTE_0 src1_sel:DWORD
	v_or_b32_sdwa v126, v128, v126 dst_sel:WORD_1 dst_unused:UNUSED_PAD src0_sel:BYTE_0 src1_sel:DWORD
	v_and_b32_e32 v128, 0x3030303, v127
	v_bfe_u32 v127, v127, 24, 2
	v_and_b32_e32 v129, 0x4040404, v129
	v_or_b32_sdwa v126, v132, v126 dst_sel:DWORD dst_unused:UNUSED_PAD src0_sel:WORD_0 src1_sel:DWORD
	v_sub_u16_e32 v130, v128, v129
	v_sub_u16_sdwa v132, v128, v129 dst_sel:BYTE_1 dst_unused:UNUSED_PAD src0_sel:BYTE_1 src1_sel:BYTE_1
	v_sub_u16_sdwa v127, v127, v129 dst_sel:BYTE_1 dst_unused:UNUSED_PAD src0_sel:DWORD src1_sel:BYTE_3
	v_sub_u16_sdwa v128, v128, v129 dst_sel:DWORD dst_unused:UNUSED_PAD src0_sel:WORD_1 src1_sel:WORD_1
	v_or_b32_sdwa v130, v130, v132 dst_sel:DWORD dst_unused:UNUSED_PAD src0_sel:BYTE_0 src1_sel:DWORD
	v_or_b32_sdwa v127, v128, v127 dst_sel:WORD_1 dst_unused:UNUSED_PAD src0_sel:BYTE_0 src1_sel:DWORD
	v_add_u32_e32 v128, s34, v102
	v_or_b32_sdwa v127, v130, v127 dst_sel:DWORD dst_unused:UNUSED_PAD src0_sel:WORD_0 src1_sel:DWORD
	v_add_u32_e32 v129, s36, v88
	v_mov_b32_e32 v130, 0
	ds_read_b32 v129, v129
	v_dot4c_i32_i8_e32 v130, v131, v6
	ds_read_u16 v6, v128 offset:28402
	v_dot4c_i32_i8_e32 v130, v133, v7
	v_dot4c_i32_i8_e32 v130, v134, v8
	v_mov_b32_e32 v8, 0
	v_dot4c_i32_i8_e32 v8, v136, v2
	v_dot4c_i32_i8_e32 v8, v137, v3
	;; [unrolled: 1-line block ×3, first 2 shown]
	s_waitcnt lgkmcnt(0)
	v_lshrrev_b16_e32 v7, 8, v6
	v_bfe_i32 v6, v6, 0, 8
	v_dot4c_i32_i8_e32 v8, v126, v4
	v_mul_lo_u32 v6, v130, v6
	v_dot4c_i32_i8_e32 v8, v127, v5
	v_bfe_i32 v2, v7, 0, 8
	s_add_i32 s3, s3, 1
	s_cmp_lt_u32 s22, 30
	v_mad_u64_u32 v[2:3], s[34:35], v8, v2, v[6:7]
	v_cvt_f32_i32_e32 v2, v2
	v_mul_f32_e32 v3, v125, v129
	s_mov_b32 s34, s22
	v_fmac_f32_e32 v121, v3, v2
	s_cbranch_scc1 .LBB209_36
; %bb.37:                               ;   in Loop: Header=BB209_5 Depth=1
	s_barrier
	s_branch .LBB209_4
.LBB209_38:
	v_mov_b32_e32 v2, 0
	v_mov_b32_e32 v4, 0
	;; [unrolled: 1-line block ×3, first 2 shown]
	s_mul_i32 s0, s7, s4
	s_waitcnt vmcnt(0)
	v_cmp_gt_i32_e32 vcc, s0, v1
	s_and_saveexec_b64 s[0:1], vcc
	s_cbranch_execnz .LBB209_41
.LBB209_39:
	s_endpgm
.LBB209_40:
	v_cvt_f16_f32_e32 v6, v118
	v_cvt_f16_f32_e32 v4, v119
	;; [unrolled: 1-line block ×4, first 2 shown]
	s_mul_i32 s0, s7, s4
	v_cmp_gt_i32_e32 vcc, s0, v1
	s_and_saveexec_b64 s[0:1], vcc
	s_cbranch_execz .LBB209_39
.LBB209_41:
	v_and_b32_e32 v0, 0x3ff, v0
	v_add_u32_e32 v5, s24, v0
	v_mul_lo_u32 v0, v1, s6
	v_cmp_gt_u32_e32 vcc, s6, v5
	s_and_saveexec_b64 s[0:1], vcc
	s_cbranch_execz .LBB209_43
; %bb.42:
	v_add_u32_e32 v8, v0, v5
	v_mov_b32_e32 v9, 0
	v_lshl_add_u64 v[8:9], v[8:9], 1, s[12:13]
	global_store_short v[8:9], v6, off
.LBB209_43:
	s_or_b64 exec, exec, s[0:1]
	v_add_u32_e32 v1, 32, v5
	v_cmp_gt_u32_e32 vcc, s6, v1
	s_and_saveexec_b64 s[0:1], vcc
	s_cbranch_execz .LBB209_45
; %bb.44:
	v_add_u32_e32 v6, v0, v1
	v_mov_b32_e32 v7, 0
	v_lshl_add_u64 v[6:7], v[6:7], 1, s[12:13]
	global_store_short v[6:7], v4, off
.LBB209_45:
	s_or_b64 exec, exec, s[0:1]
	v_add_u32_e32 v1, 64, v5
	;; [unrolled: 11-line block ×3, first 2 shown]
	v_cmp_gt_u32_e32 vcc, s6, v1
	s_and_b64 exec, exec, vcc
	s_cbranch_execz .LBB209_39
; %bb.48:
	v_add_u32_e32 v0, v0, v1
	v_mov_b32_e32 v1, 0
	v_lshl_add_u64 v[0:1], v[0:1], 1, s[12:13]
	global_store_short v[0:1], v3, off
	s_endpgm
	.section	.rodata,"a",@progbits
	.p2align	6, 0x0
	.amdhsa_kernel _ZL8moe_q3_KIN3c104HalfELb0EEvPKvS3_PT_PKiS7_S7_iiiiiii
		.amdhsa_group_segment_fixed_size 31776
		.amdhsa_private_segment_fixed_size 0
		.amdhsa_kernarg_size 76
		.amdhsa_user_sgpr_count 2
		.amdhsa_user_sgpr_dispatch_ptr 0
		.amdhsa_user_sgpr_queue_ptr 0
		.amdhsa_user_sgpr_kernarg_segment_ptr 1
		.amdhsa_user_sgpr_dispatch_id 0
		.amdhsa_user_sgpr_kernarg_preload_length 0
		.amdhsa_user_sgpr_kernarg_preload_offset 0
		.amdhsa_user_sgpr_private_segment_size 0
		.amdhsa_uses_dynamic_stack 0
		.amdhsa_enable_private_segment 0
		.amdhsa_system_sgpr_workgroup_id_x 1
		.amdhsa_system_sgpr_workgroup_id_y 1
		.amdhsa_system_sgpr_workgroup_id_z 0
		.amdhsa_system_sgpr_workgroup_info 0
		.amdhsa_system_vgpr_workitem_id 1
		.amdhsa_next_free_vgpr 153
		.amdhsa_next_free_sgpr 42
		.amdhsa_accum_offset 156
		.amdhsa_reserve_vcc 1
		.amdhsa_float_round_mode_32 0
		.amdhsa_float_round_mode_16_64 0
		.amdhsa_float_denorm_mode_32 3
		.amdhsa_float_denorm_mode_16_64 3
		.amdhsa_dx10_clamp 1
		.amdhsa_ieee_mode 1
		.amdhsa_fp16_overflow 0
		.amdhsa_tg_split 0
		.amdhsa_exception_fp_ieee_invalid_op 0
		.amdhsa_exception_fp_denorm_src 0
		.amdhsa_exception_fp_ieee_div_zero 0
		.amdhsa_exception_fp_ieee_overflow 0
		.amdhsa_exception_fp_ieee_underflow 0
		.amdhsa_exception_fp_ieee_inexact 0
		.amdhsa_exception_int_div_zero 0
	.end_amdhsa_kernel
	.section	.text._ZL8moe_q3_KIN3c104HalfELb0EEvPKvS3_PT_PKiS7_S7_iiiiiii,"axG",@progbits,_ZL8moe_q3_KIN3c104HalfELb0EEvPKvS3_PT_PKiS7_S7_iiiiiii,comdat
.Lfunc_end209:
	.size	_ZL8moe_q3_KIN3c104HalfELb0EEvPKvS3_PT_PKiS7_S7_iiiiiii, .Lfunc_end209-_ZL8moe_q3_KIN3c104HalfELb0EEvPKvS3_PT_PKiS7_S7_iiiiiii
                                        ; -- End function
	.section	.AMDGPU.csdata,"",@progbits
; Kernel info:
; codeLenInByte = 20052
; NumSgprs: 48
; NumVgprs: 153
; NumAgprs: 0
; TotalNumVgprs: 153
; ScratchSize: 0
; MemoryBound: 0
; FloatMode: 240
; IeeeMode: 1
; LDSByteSize: 31776 bytes/workgroup (compile time only)
; SGPRBlocks: 5
; VGPRBlocks: 19
; NumSGPRsForWavesPerEU: 48
; NumVGPRsForWavesPerEU: 153
; AccumOffset: 156
; Occupancy: 2
; WaveLimiterHint : 1
; COMPUTE_PGM_RSRC2:SCRATCH_EN: 0
; COMPUTE_PGM_RSRC2:USER_SGPR: 2
; COMPUTE_PGM_RSRC2:TRAP_HANDLER: 0
; COMPUTE_PGM_RSRC2:TGID_X_EN: 1
; COMPUTE_PGM_RSRC2:TGID_Y_EN: 1
; COMPUTE_PGM_RSRC2:TGID_Z_EN: 0
; COMPUTE_PGM_RSRC2:TIDIG_COMP_CNT: 1
; COMPUTE_PGM_RSRC3_GFX90A:ACCUM_OFFSET: 38
; COMPUTE_PGM_RSRC3_GFX90A:TG_SPLIT: 0
	.section	.text._ZL8moe_q3_KIN3c104HalfELb1EEvPKvS3_PT_PKiS7_S7_iiiiiii,"axG",@progbits,_ZL8moe_q3_KIN3c104HalfELb1EEvPKvS3_PT_PKiS7_S7_iiiiiii,comdat
	.globl	_ZL8moe_q3_KIN3c104HalfELb1EEvPKvS3_PT_PKiS7_S7_iiiiiii ; -- Begin function _ZL8moe_q3_KIN3c104HalfELb1EEvPKvS3_PT_PKiS7_S7_iiiiiii
	.p2align	8
	.type	_ZL8moe_q3_KIN3c104HalfELb1EEvPKvS3_PT_PKiS7_S7_iiiiiii,@function
_ZL8moe_q3_KIN3c104HalfELb1EEvPKvS3_PT_PKiS7_S7_iiiiiii: ; @_ZL8moe_q3_KIN3c104HalfELb1EEvPKvS3_PT_PKiS7_S7_iiiiiii
; %bb.0:
	s_load_dwordx4 s[4:7], s[0:1], 0x18
	s_mov_b32 s8, s3
	s_mov_b32 s9, 0
	s_lshl_b64 s[10:11], s[8:9], 2
	s_waitcnt lgkmcnt(0)
	s_add_u32 s6, s6, s10
	s_addc_u32 s7, s7, s11
	s_load_dword s3, s[6:7], 0x0
	s_waitcnt lgkmcnt(0)
	s_cmpk_gt_u32 s3, 0xff
	s_cbranch_scc1 .LBB210_39
; %bb.1:
	s_load_dwordx2 s[6:7], s[0:1], 0x28
	s_waitcnt lgkmcnt(0)
	s_load_dword s7, s[6:7], 0x0
	s_lshl_b32 s6, s8, 3
	s_waitcnt lgkmcnt(0)
	s_cmp_gt_u32 s6, s7
	s_cbranch_scc1 .LBB210_39
; %bb.2:
	v_bfe_u32 v4, v0, 10, 10
	v_mov_b32_e32 v6, s4
	v_mov_b32_e32 v7, s5
	v_add_u32_e32 v2, s6, v4
	v_mov_b32_e32 v3, 0
	v_lshl_add_u64 v[6:7], v[2:3], 2, v[6:7]
	global_load_dword v1, v[6:7], off
	s_load_dwordx8 s[4:11], s[0:1], 0x30
	s_load_dwordx2 s[16:17], s[0:1], 0x10
	s_waitcnt lgkmcnt(0)
	s_lshl_b32 s11, s2, 7
	s_mov_b32 s26, 0
	s_cmpk_lt_i32 s5, 0x100
	s_cbranch_scc1 .LBB210_38
; %bb.3:
	s_load_dwordx4 s[12:15], s[0:1], 0x0
	s_ashr_i32 s0, s5, 31
	s_lshr_b32 s0, s0, 24
	s_add_i32 s0, s5, s0
	s_ashr_i32 s27, s0, 8
	s_ashr_i32 s0, s8, 31
	s_lshr_b32 s0, s0, 27
	s_add_i32 s0, s8, s0
	s_mul_i32 s3, s3, s4
	s_ashr_i32 s8, s0, 5
	s_ashr_i32 s0, s3, 31
	s_waitcnt lgkmcnt(0)
	s_add_u32 s1, s12, s3
	s_mul_i32 s2, s27, s11
	s_addc_u32 s0, s13, s0
	s_mul_hi_i32 s3, s2, 0x6e
	s_mulk_i32 s2, 0x6e
	s_add_u32 s28, s1, s2
	s_addc_u32 s29, s0, s3
	s_not_b32 s1, s11
	s_add_i32 s1, s1, s6
	v_and_b32_e32 v11, 0x3ff, v0
	v_and_b32_e32 v3, 15, v11
	v_min_i32_e32 v5, s1, v4
	v_lshlrev_b32_e32 v2, 2, v11
	s_movk_i32 s0, 0x84
	v_mul_lo_u32 v14, v5, s27
	v_mad_u64_u32 v[16:17], s[2:3], v5, s0, v[2:3]
	v_add_u32_e32 v5, 8, v4
	v_min_i32_e32 v5, s1, v5
	v_mul_lo_u32 v18, v5, s27
	v_mad_u64_u32 v[20:21], s[2:3], v5, s0, v[2:3]
	v_add_u32_e32 v5, 16, v4
	v_min_i32_e32 v5, s1, v5
	;; [unrolled: 4-line block ×15, first 2 shown]
	v_mul_lo_u32 v74, v5, s27
	v_mad_u64_u32 v[76:77], s[2:3], v5, s0, v[2:3]
	v_lshlrev_b32_e32 v5, 4, v4
	v_lshrrev_b32_e32 v6, 1, v11
	v_add_u32_e32 v7, v6, v5
	v_and_b32_e32 v7, 0x7f, v7
	v_min_i32_e32 v7, s1, v7
	v_ashrrev_i32_e32 v8, 31, v7
	v_lshrrev_b32_e32 v8, 28, v8
	v_add_u32_e32 v8, v7, v8
	v_and_b32_e32 v78, 1, v11
	v_ashrrev_i32_e32 v8, 4, v8
	v_lshrrev_b32_e32 v10, 4, v11
	v_lshlrev_b32_e32 v8, 2, v8
	v_lshlrev_b32_e32 v9, 2, v78
	s_movk_i32 s2, 0x7380
	v_add3_u32 v8, v8, v9, s2
	v_lshl_add_u32 v9, v4, 1, v10
	v_min_i32_e32 v15, s1, v9
	v_lshrrev_b32_e32 v17, 31, v15
	v_mul_lo_u32 v86, v15, s27
	v_add_lshl_u32 v17, v15, v17, 1
	v_lshlrev_b32_e32 v91, 6, v15
	v_add_u32_e32 v15, 16, v9
	v_lshlrev_b32_e32 v12, 2, v3
	v_and_b32_e32 v17, -4, v17
	s_movk_i32 s3, 0x4200
	v_min_i32_e32 v15, s1, v15
	v_add3_u32 v89, v17, v12, s3
	v_lshrrev_b32_e32 v17, 31, v15
	v_mul_lo_u32 v88, v15, s27
	v_add_lshl_u32 v17, v15, v17, 1
	v_lshlrev_b32_e32 v95, 6, v15
	v_add_u32_e32 v15, 32, v9
	v_and_b32_e32 v17, -4, v17
	v_min_i32_e32 v15, s1, v15
	v_add3_u32 v93, v17, v12, s3
	v_lshrrev_b32_e32 v17, 31, v15
	v_mul_lo_u32 v90, v15, s27
	v_add_lshl_u32 v17, v15, v17, 1
	v_lshlrev_b32_e32 v99, 6, v15
	v_add_u32_e32 v15, 48, v9
	v_and_b32_e32 v17, -4, v17
	;; [unrolled: 8-line block ×5, first 2 shown]
	v_min_i32_e32 v15, s1, v15
	v_add_u32_e32 v9, 0x70, v9
	v_add3_u32 v111, v17, v12, s3
	v_lshrrev_b32_e32 v17, 31, v15
	v_min_i32_e32 v9, s1, v9
	v_mul_lo_u32 v98, v15, s27
	v_add_lshl_u32 v17, v15, v17, 1
	v_lshlrev_b32_e32 v119, 6, v15
	v_lshrrev_b32_e32 v15, 31, v9
	v_cmp_lt_u32_e32 vcc, 7, v3
	v_and_b32_e32 v3, 7, v11
	v_add_lshl_u32 v15, v9, v15, 1
	v_cndmask_b32_e64 v82, 0, 1, vcc
	v_lshlrev_b32_e32 v84, 2, v3
	v_and_b32_e32 v17, -4, v17
	v_and_b32_e32 v15, -4, v15
	v_cmp_lt_u32_e32 vcc, 3, v3
	v_and_b32_e32 v3, 3, v11
	v_add3_u32 v118, v17, v12, s3
	v_add3_u32 v120, v15, v12, s3
	v_lshlrev_b32_e32 v23, 2, v4
	v_lshrrev_b32_e32 v15, 3, v11
	v_cndmask_b32_e64 v102, 0, 1, vcc
	v_add_u16_e32 v17, -2, v3
	v_cmp_gt_u32_e32 vcc, 2, v3
	v_add_u32_e32 v21, v15, v23
	v_mov_b32_e32 v25, 2
	v_cndmask_b32_e32 v19, v17, v3, vcc
	v_cmp_lt_u32_e32 vcc, 1, v3
	v_lshlrev_b32_sdwa v104, v25, v19 dst_sel:DWORD dst_unused:UNUSED_PAD src0_sel:DWORD src1_sel:BYTE_0
	v_lshlrev_b32_e32 v19, 1, v3
	v_min_i32_e32 v3, s1, v21
	v_ashrrev_i32_e32 v25, 31, v3
	v_lshrrev_b32_e32 v25, 30, v25
	v_mul_lo_u32 v106, v3, s27
	v_add_u32_e32 v25, v3, v25
	v_lshlrev_b32_e32 v122, 5, v3
	v_add_u32_e32 v3, 32, v21
	v_and_b32_e32 v25, -4, v25
	s_movk_i32 s3, 0x6300
	v_min_i32_e32 v3, s1, v3
	v_add3_u32 v121, v25, v84, s3
	v_ashrrev_i32_e32 v25, 31, v3
	v_lshrrev_b32_e32 v25, 30, v25
	v_mul_lo_u32 v108, v3, s27
	v_add_u32_e32 v25, v3, v25
	v_lshlrev_b32_e32 v124, 5, v3
	v_add_u32_e32 v3, 64, v21
	v_and_b32_e32 v25, -4, v25
	v_min_i32_e32 v3, s1, v3
	v_add3_u32 v123, v25, v84, s3
	v_ashrrev_i32_e32 v25, 31, v3
	v_lshrrev_b32_e32 v25, 30, v25
	v_mul_lo_u32 v110, v3, s27
	v_add_u32_e32 v25, v3, v25
	v_lshlrev_b32_e32 v126, 5, v3
	v_add_u32_e32 v3, 0x60, v21
	v_min_i32_e32 v3, s1, v3
	v_ashrrev_i32_e32 v21, 31, v3
	v_lshrrev_b32_e32 v21, 30, v21
	v_mov_b32_e32 v13, 0
	v_add_u32_e32 v21, v3, v21
	v_mul_lo_u32 v112, v3, s27
	v_and_b32_e32 v21, -4, v21
	v_lshlrev_b32_e32 v128, 5, v3
	v_and_b32_e32 v2, 28, v2
	v_mov_b32_e32 v3, v13
	v_add3_u32 v127, v21, v84, s3
	v_and_b32_e32 v21, 31, v11
	v_lshl_add_u64 v[114:115], s[14:15], 0, v[2:3]
	v_lshlrev_b32_e32 v2, 7, v4
	v_lshl_or_b32 v3, v21, 2, v2
	v_add_u32_e32 v21, 0x77a0, v3
	v_or_b32_e32 v3, v23, v11
	v_mov_b32_e32 v4, 0x7ba0
	v_lshl_add_u32 v23, v3, 2, v4
	v_add_u32_e32 v3, 32, v11
	v_lshrrev_b32_e32 v4, 1, v3
	v_lshl_add_u32 v33, v3, 4, v4
	v_mov_b32_e32 v4, 0x1080
	v_lshl_add_u32 v27, v11, 4, v6
	v_lshlrev_b32_e32 v6, 2, v10
	v_lshlrev_b32_e32 v31, 3, v11
	v_mad_u32_u24 v35, v11, s0, v4
	v_lshrrev_b32_e32 v4, 2, v3
	v_add3_u32 v31, v6, v31, s2
	v_and_b32_e32 v4, 0x7c, v4
	v_lshlrev_b32_e32 v6, 3, v3
	v_and_b32_e32 v25, -4, v25
	v_add_u32_e32 v59, 64, v11
	v_add3_u32 v37, v6, v4, s2
	v_mov_b32_e32 v4, 0x2100
	v_add3_u32 v125, v25, v84, s3
	v_mad_u32_u24 v41, v11, s0, v4
	v_lshrrev_b32_e32 v4, 2, v59
	s_abs_i32 s3, s10
	v_and_b32_e32 v4, 0x7c, v4
	v_lshlrev_b32_e32 v6, 3, v59
	v_cvt_f32_u32_e32 v55, s3
	v_add_u32_e32 v57, 0x60, v11
	v_add3_u32 v43, v6, v4, s2
	v_mov_b32_e32 v4, 0x3180
	v_mad_u32_u24 v47, v11, s0, v4
	v_lshrrev_b32_e32 v4, 2, v57
	v_and_b32_e32 v4, 0x7c, v4
	v_lshlrev_b32_e32 v6, 3, v57
	v_add3_u32 v49, v6, v4, s2
	v_rcp_iflag_f32_e32 v4, v55
	s_sub_i32 s0, 0, s3
	s_waitcnt vmcnt(0)
	v_sub_u32_e32 v61, 0, v1
	v_max_i32_e32 v61, v1, v61
	v_mul_f32_e32 v4, 0x4f7ffffe, v4
	v_cvt_u32_f32_e32 v4, v4
	v_xor_b32_e32 v6, s10, v1
	s_add_u32 s12, s14, 0x90
	v_ashrrev_i32_e32 v6, 31, v6
	v_mul_lo_u32 v63, s0, v4
	v_mul_hi_u32 v63, v4, v63
	v_add_u32_e32 v4, v4, v63
	v_mul_hi_u32 v4, v61, v4
	v_mul_lo_u32 v63, v4, s3
	v_sub_u32_e32 v61, v61, v63
	v_add_u32_e32 v63, 1, v4
	v_cmp_le_u32_e64 s[0:1], s3, v61
	s_addc_u32 s13, s15, 0
	s_add_u32 s18, s14, 0x120
	v_cndmask_b32_e64 v4, v4, v63, s[0:1]
	v_subrev_u32_e32 v63, s3, v61
	v_cndmask_b32_e64 v61, v61, v63, s[0:1]
	v_add_u32_e32 v63, 1, v4
	v_cmp_le_u32_e64 s[0:1], s3, v61
	v_lshrrev_b32_e32 v39, 1, v59
	v_lshrrev_b32_e32 v45, 1, v57
	v_cndmask_b32_e64 v4, v4, v63, s[0:1]
	v_xor_b32_e32 v4, v4, v6
	v_sub_u32_e32 v4, v4, v6
	s_addc_u32 s19, s15, 0
	v_mul_lo_u32 v80, v7, s27
	v_lshlrev_b32_e32 v7, 3, v7
	v_mul_lo_u32 v100, v9, s27
	v_lshlrev_b32_e32 v9, 6, v9
	v_cndmask_b32_e64 v17, 0, 1, vcc
	v_lshlrev_b32_e32 v25, 5, v11
	v_lshl_add_u32 v39, v59, 4, v39
	v_lshl_add_u32 v45, v57, 4, v45
	v_lshrrev_b32_e32 v53, 3, v59
	v_lshrrev_b32_e32 v55, 3, v57
	v_mul_lo_u32 v116, v4, s8
	s_add_u32 s20, s14, 0x1b0
	v_and_b32_e32 v57, 0x1fc, v57
	v_and_b32_e32 v59, 0x1fc, v59
	;; [unrolled: 1-line block ×4, first 2 shown]
	s_movk_i32 s4, 0x6e
	v_mov_b32_e32 v85, v13
	v_lshlrev_b32_e32 v17, 2, v17
	v_mov_b32_e32 v105, v13
	v_cmp_gt_u32_e32 vcc, 4, v11
	v_mul_u32_u24_e32 v29, 0x84, v11
	v_lshrrev_b32_e32 v51, 3, v3
	v_cmp_gt_i32_e64 s[0:1], s7, v4
	v_ashrrev_i32_e32 v117, 31, v116
	s_addc_u32 s21, s15, 0
	v_add_u32_e32 v65, 0x77a0, v2
	v_add_u32_e32 v67, 0x7ba0, v5
	v_add_u32_e32 v69, 0x6f08, v57
	v_add_u32_e32 v71, 0x6b08, v59
	v_add_u32_e32 v73, 0x6708, v61
	v_add_u32_e32 v75, 0x6308, v63
	v_add_u32_e32 v77, v25, v57
	v_add_u32_e32 v79, v25, v59
	v_add_u32_e32 v81, v25, v61
	v_add_u32_e32 v83, v25, v63
	v_add_u32_e32 v87, v8, v7
	v_add_u32_e32 v89, v89, v91
	v_add_u32_e32 v91, v93, v95
	v_add_u32_e32 v93, v97, v99
	v_add_u32_e32 v95, v101, v103
	v_add_u32_e32 v97, v107, v109
	v_add_u32_e32 v99, v111, v113
	v_add_u32_e32 v101, v118, v119
	v_add_u32_e32 v103, v120, v9
	s_mov_b64 s[22:23], 0x60
	s_mov_b32 s6, 0x30303030
	s_movk_i32 s30, 0x3f00
	s_movk_i32 s31, 0xe000
	v_add_u32_e32 v107, v121, v122
	v_add_u32_e32 v109, v123, v124
	;; [unrolled: 1-line block ×4, first 2 shown]
	v_mov_b32_e32 v122, 8
	v_mov_b32_e32 v118, v13
	;; [unrolled: 1-line block ×5, first 2 shown]
	s_branch .LBB210_5
.LBB210_4:                              ;   in Loop: Header=BB210_5 Depth=1
	s_add_i32 s26, s26, 2
	s_cmp_ge_i32 s26, s27
	s_cbranch_scc1 .LBB210_40
.LBB210_5:                              ; =>This Loop Header: Depth=1
                                        ;     Child Loop BB210_12 Depth 2
                                        ;     Child Loop BB210_20 Depth 2
	;; [unrolled: 1-line block ×4, first 2 shown]
	s_mul_i32 s2, s26, 0x6e
	s_mul_hi_u32 s3, s26, 0x6e
	s_add_u32 s2, s28, s2
	s_addc_u32 s3, s29, s3
	v_mov_b64_e32 v[2:3], s[2:3]
	v_mad_u64_u32 v[4:5], s[2:3], v10, s4, v[2:3]
	v_lshl_add_u64 v[4:5], v[4:5], 0, v[12:13]
	v_lshl_add_u64 v[4:5], v[4:5], 0, 32
	v_mad_i64_i32 v[6:7], s[2:3], v14, s4, v[4:5]
	v_mad_i64_i32 v[8:9], s[2:3], v18, s4, v[4:5]
	;; [unrolled: 1-line block ×8, first 2 shown]
	global_load_dword v123, v[6:7], off
	global_load_dword v136, v[8:9], off
	;; [unrolled: 1-line block ×8, first 2 shown]
	v_mad_i64_i32 v[6:7], s[2:3], v46, s4, v[4:5]
	v_mad_i64_i32 v[8:9], s[2:3], v50, s4, v[4:5]
	v_mad_i64_i32 v[124:125], s[2:3], v54, s4, v[4:5]
	v_mad_i64_i32 v[126:127], s[2:3], v58, s4, v[4:5]
	v_mad_i64_i32 v[128:129], s[2:3], v62, s4, v[4:5]
	v_mad_i64_i32 v[130:131], s[2:3], v66, s4, v[4:5]
	v_mad_i64_i32 v[132:133], s[2:3], v70, s4, v[4:5]
	v_mad_i64_i32 v[4:5], s[2:3], v74, s4, v[4:5]
	global_load_dword v143, v[6:7], off
	global_load_dword v144, v[8:9], off
	;; [unrolled: 1-line block ×8, first 2 shown]
	v_mad_u64_u32 v[6:7], s[2:3], v82, s4, v[2:3]
	v_mad_i64_i32 v[4:5], s[2:3], v80, s4, v[2:3]
	v_lshl_add_u64 v[6:7], v[6:7], 0, v[84:85]
	v_mad_u64_u32 v[4:5], s[2:3], v78, s4, v[4:5]
	v_mad_i64_i32 v[124:125], s[2:3], v88, s4, v[6:7]
	v_mad_i64_i32 v[126:127], s[2:3], v90, s4, v[6:7]
	v_mad_i64_i32 v[128:129], s[2:3], v92, s4, v[6:7]
	v_mad_u64_u32 v[2:3], s[2:3], v102, s4, v[2:3]
	v_mad_i64_i32 v[8:9], s[2:3], v86, s4, v[6:7]
	v_mad_i64_i32 v[130:131], s[2:3], v94, s4, v[6:7]
	;; [unrolled: 1-line block ×4, first 2 shown]
	global_load_ushort v151, v[4:5], off offset:108
	global_load_dword v152, v[8:9], off
	s_nop 0
	global_load_dword v124, v[124:125], off
	s_nop 0
	;; [unrolled: 2-line block ×3, first 2 shown]
	global_load_dword v126, v[128:129], off
	global_load_dword v127, v[130:131], off
	s_nop 0
	global_load_dword v128, v[132:133], off
	global_load_dword v129, v[134:135], off
	v_mad_i64_i32 v[4:5], s[2:3], v100, s4, v[6:7]
	v_lshl_add_u64 v[2:3], v[2:3], 0, s[22:23]
	global_load_dword v130, v[4:5], off
	v_mad_i64_i32 v[4:5], s[2:3], v106, s4, v[2:3]
	v_lshl_add_u64 v[6:7], v[4:5], 0, v[104:105]
	global_load_dword v131, v[6:7], off
	v_mad_i64_i32 v[6:7], s[2:3], v108, s4, v[2:3]
	v_mad_i64_i32 v[8:9], s[2:3], v110, s4, v[2:3]
	;; [unrolled: 1-line block ×3, first 2 shown]
	global_load_dword v132, v[2:3], off offset:8
	global_load_dword v133, v[8:9], off offset:8
	;; [unrolled: 1-line block ×4, first 2 shown]
	v_lshl_add_u64 v[4:5], v[6:7], 0, v[104:105]
	global_load_dword v6, v[4:5], off
	v_lshl_add_u64 v[4:5], v[8:9], 0, v[104:105]
	global_load_dword v4, v[4:5], off
	s_waitcnt vmcnt(31)
	ds_write_b32 v16, v123
	s_waitcnt vmcnt(30)
	ds_write_b32 v20, v136
	;; [unrolled: 2-line block ×6, first 2 shown]
	v_lshl_add_u64 v[2:3], v[2:3], 0, v[104:105]
	global_load_dword v2, v[2:3], off
	s_waitcnt vmcnt(26)
	ds_write_b32 v40, v141
	s_waitcnt vmcnt(25)
	ds_write_b32 v44, v142
	;; [unrolled: 2-line block ×7, first 2 shown]
	s_lshl_b32 s34, s26, 8
	s_cmp_lt_i32 s34, s5
	s_waitcnt vmcnt(16)
	v_cvt_f32_f16_e32 v3, v151
	ds_write_b32 v68, v148
	ds_write_b32 v72, v149
	;; [unrolled: 1-line block ×4, first 2 shown]
	s_waitcnt vmcnt(15)
	v_not_b32_e32 v3, v152
	ds_write_b32 v89, v3
	s_waitcnt vmcnt(14)
	v_not_b32_e32 v3, v124
	ds_write_b32 v91, v3
	;; [unrolled: 3-line block ×8, first 2 shown]
	s_waitcnt vmcnt(7)
	v_ashrrev_i32_e32 v3, v17, v131
	v_and_b32_e32 v3, 0xf0f0f0f, v3
	s_waitcnt vmcnt(3)
	v_ashrrev_i32_e32 v5, v19, v135
	v_lshlrev_b32_e32 v5, 4, v5
	v_and_or_b32 v3, v5, s6, v3
	v_lshlrev_b16_e32 v7, 8, v3
	v_and_b32_e32 v5, 0x3f00, v3
	v_add_u16_e32 v7, 0xe000, v7
	v_or_b32_sdwa v5, v5, v7 dst_sel:DWORD dst_unused:UNUSED_PAD src0_sel:DWORD src1_sel:BYTE_1
	v_and_b32_sdwa v7, v3, s30 dst_sel:DWORD dst_unused:UNUSED_PAD src0_sel:WORD_1 src1_sel:DWORD
	v_lshlrev_b16_sdwa v3, v122, v3 dst_sel:DWORD dst_unused:UNUSED_PAD src0_sel:DWORD src1_sel:WORD_1
	v_add_u16_e32 v3, 0xe000, v3
	v_or_b32_sdwa v3, v7, v3 dst_sel:DWORD dst_unused:UNUSED_PAD src0_sel:DWORD src1_sel:BYTE_1
	v_add_u16_e32 v5, 0xe000, v5
	v_add_u16_sdwa v3, v3, s31 dst_sel:WORD_1 dst_unused:UNUSED_PAD src0_sel:DWORD src1_sel:DWORD
	s_waitcnt vmcnt(0)
	v_ashrrev_i32_e32 v2, v17, v2
	v_or_b32_e32 v3, v5, v3
	ds_write_b32 v107, v3
	v_ashrrev_i32_e32 v3, v17, v6
	v_ashrrev_i32_e32 v5, v19, v134
	v_and_b32_e32 v3, 0xf0f0f0f, v3
	v_lshlrev_b32_e32 v5, 4, v5
	v_and_or_b32 v3, v5, s6, v3
	v_lshlrev_b16_e32 v6, 8, v3
	v_and_b32_e32 v5, 0x3f00, v3
	v_add_u16_e32 v6, 0xe000, v6
	v_or_b32_sdwa v5, v5, v6 dst_sel:DWORD dst_unused:UNUSED_PAD src0_sel:DWORD src1_sel:BYTE_1
	v_and_b32_sdwa v6, v3, s30 dst_sel:DWORD dst_unused:UNUSED_PAD src0_sel:WORD_1 src1_sel:DWORD
	v_lshlrev_b16_sdwa v3, v122, v3 dst_sel:DWORD dst_unused:UNUSED_PAD src0_sel:DWORD src1_sel:WORD_1
	v_add_u16_e32 v3, 0xe000, v3
	v_or_b32_sdwa v3, v6, v3 dst_sel:DWORD dst_unused:UNUSED_PAD src0_sel:DWORD src1_sel:BYTE_1
	v_add_u16_e32 v5, 0xe000, v5
	v_add_u16_sdwa v3, v3, s31 dst_sel:WORD_1 dst_unused:UNUSED_PAD src0_sel:DWORD src1_sel:DWORD
	v_and_b32_e32 v2, 0xf0f0f0f, v2
	v_or_b32_e32 v3, v5, v3
	ds_write_b32 v109, v3
	v_ashrrev_i32_e32 v3, v17, v4
	v_ashrrev_i32_e32 v4, v19, v133
	v_and_b32_e32 v3, 0xf0f0f0f, v3
	v_lshlrev_b32_e32 v4, 4, v4
	v_and_or_b32 v3, v4, s6, v3
	v_lshlrev_b16_e32 v5, 8, v3
	v_and_b32_e32 v4, 0x3f00, v3
	v_add_u16_e32 v5, 0xe000, v5
	v_or_b32_sdwa v4, v4, v5 dst_sel:DWORD dst_unused:UNUSED_PAD src0_sel:DWORD src1_sel:BYTE_1
	v_and_b32_sdwa v5, v3, s30 dst_sel:DWORD dst_unused:UNUSED_PAD src0_sel:WORD_1 src1_sel:DWORD
	v_lshlrev_b16_sdwa v3, v122, v3 dst_sel:DWORD dst_unused:UNUSED_PAD src0_sel:DWORD src1_sel:WORD_1
	v_add_u16_e32 v3, 0xe000, v3
	v_or_b32_sdwa v3, v5, v3 dst_sel:DWORD dst_unused:UNUSED_PAD src0_sel:DWORD src1_sel:BYTE_1
	v_add_u16_e32 v4, 0xe000, v4
	v_add_u16_sdwa v3, v3, s31 dst_sel:WORD_1 dst_unused:UNUSED_PAD src0_sel:DWORD src1_sel:DWORD
	s_nop 0
	v_or_b32_e32 v3, v4, v3
	ds_write_b32 v111, v3
	v_ashrrev_i32_e32 v3, v19, v132
	v_lshlrev_b32_e32 v3, 4, v3
	v_and_or_b32 v2, v3, s6, v2
	v_lshlrev_b16_e32 v4, 8, v2
	v_and_b32_e32 v3, 0x3f00, v2
	v_add_u16_e32 v4, 0xe000, v4
	v_or_b32_sdwa v3, v3, v4 dst_sel:DWORD dst_unused:UNUSED_PAD src0_sel:DWORD src1_sel:BYTE_1
	v_and_b32_sdwa v4, v2, s30 dst_sel:DWORD dst_unused:UNUSED_PAD src0_sel:WORD_1 src1_sel:DWORD
	v_lshlrev_b16_sdwa v2, v122, v2 dst_sel:DWORD dst_unused:UNUSED_PAD src0_sel:DWORD src1_sel:WORD_1
	v_add_u16_e32 v2, 0xe000, v2
	v_or_b32_sdwa v2, v4, v2 dst_sel:DWORD dst_unused:UNUSED_PAD src0_sel:DWORD src1_sel:BYTE_1
	v_add_u16_e32 v3, 0xe000, v3
	v_add_u16_sdwa v2, v2, s31 dst_sel:WORD_1 dst_unused:UNUSED_PAD src0_sel:DWORD src1_sel:DWORD
	s_nop 0
	v_or_b32_e32 v2, v3, v2
	ds_write_b32 v113, v2
	s_cbranch_scc0 .LBB210_4
; %bb.6:                                ;   in Loop: Header=BB210_5 Depth=1
	s_lshl_b32 s33, s26, 3
	v_add_u32_e32 v2, s33, v15
	v_cmp_gt_i32_e64 s[2:3], s8, v2
	s_and_b64 s[24:25], s[0:1], s[2:3]
	s_and_saveexec_b64 s[2:3], s[24:25]
	s_cbranch_execz .LBB210_8
; %bb.7:                                ;   in Loop: Header=BB210_5 Depth=1
	v_add_u32_e32 v2, v116, v2
	v_mad_i64_i32 v[2:3], s[24:25], v2, 36, v[114:115]
	global_load_dword v2, v[2:3], off offset:4
	s_waitcnt vmcnt(0)
	ds_write_b32 v21, v2
.LBB210_8:                              ;   in Loop: Header=BB210_5 Depth=1
	s_or_b64 exec, exec, s[2:3]
	s_and_saveexec_b64 s[24:25], vcc
	s_cbranch_execz .LBB210_11
; %bb.9:                                ;   in Loop: Header=BB210_5 Depth=1
	v_or_b32_e32 v2, s33, v11
	v_cmp_gt_i32_e64 s[2:3], s8, v2
	s_and_b64 s[2:3], s[0:1], s[2:3]
	s_and_b64 exec, exec, s[2:3]
	s_cbranch_execz .LBB210_11
; %bb.10:                               ;   in Loop: Header=BB210_5 Depth=1
	v_add_u32_e32 v2, v116, v2
	v_mad_i64_i32 v[2:3], s[2:3], v2, 36, s[14:15]
	global_load_dword v2, v[2:3], off
	s_waitcnt vmcnt(0)
	v_cvt_f32_f16_e32 v2, v2
	ds_write_b32 v23, v2
.LBB210_11:                             ;   in Loop: Header=BB210_5 Depth=1
	s_or_b64 exec, exec, s[24:25]
	s_mov_b32 s24, -2
	s_mov_b32 s2, 0
	v_mov_b32_e32 v123, v67
	v_mov_b32_e32 v124, v65
	s_mov_b32 s3, 0
	s_waitcnt lgkmcnt(0)
	s_barrier
.LBB210_12:                             ;   Parent Loop BB210_5 Depth=1
                                        ; =>  This Inner Loop Header: Depth=2
	s_and_b32 s25, s3, -16
	v_add_u32_e32 v126, s25, v25
	s_add_i32 s25, s24, 2
	s_lshr_b32 s37, s25, 4
	s_and_b32 s36, s25, 0x3ffffff8
	s_lshl_b32 s35, s37, 3
	s_lshl_b32 s36, s36, 2
	v_add_lshl_u32 v133, v27, s35, 2
	v_add_u32_e32 v127, s36, v29
	v_add_u32_e32 v130, 0x4200, v133
	ds_read_b32 v125, v123
	ds_read_b128 v[6:9], v124
	ds_read_b128 v[2:5], v124 offset:16
	ds_read2_b32 v[128:129], v127 offset1:1
	ds_read2_b32 v[130:131], v130 offset1:1
	s_lshl_b32 s37, s37, 2
	s_add_i32 s3, s3, 2
	v_add_u32_e32 v124, 32, v124
	s_waitcnt lgkmcnt(1)
	v_ashrrev_i32_e32 v128, s25, v128
	s_waitcnt lgkmcnt(0)
	v_ashrrev_i32_e32 v130, s2, v130
	v_lshlrev_b32_e32 v130, 2, v130
	v_and_b32_e32 v132, 0x3030303, v128
	v_bfe_u32 v128, v128, 24, 2
	v_and_b32_e32 v130, 0x4040404, v130
	v_sub_u16_e32 v134, v132, v130
	v_sub_u16_sdwa v135, v132, v130 dst_sel:BYTE_1 dst_unused:UNUSED_PAD src0_sel:BYTE_1 src1_sel:BYTE_1
	v_sub_u16_sdwa v128, v128, v130 dst_sel:BYTE_1 dst_unused:UNUSED_PAD src0_sel:DWORD src1_sel:BYTE_3
	v_sub_u16_sdwa v130, v132, v130 dst_sel:DWORD dst_unused:UNUSED_PAD src0_sel:WORD_1 src1_sel:WORD_1
	v_or_b32_sdwa v134, v134, v135 dst_sel:DWORD dst_unused:UNUSED_PAD src0_sel:BYTE_0 src1_sel:DWORD
	v_or_b32_sdwa v128, v130, v128 dst_sel:WORD_1 dst_unused:UNUSED_PAD src0_sel:BYTE_0 src1_sel:DWORD
	v_ashrrev_i32_e32 v130, s2, v131
	v_or_b32_sdwa v132, v134, v128 dst_sel:DWORD dst_unused:UNUSED_PAD src0_sel:WORD_0 src1_sel:DWORD
	v_ashrrev_i32_e32 v128, s25, v129
	v_lshlrev_b32_e32 v130, 2, v130
	v_and_b32_e32 v129, 0x3030303, v128
	v_bfe_u32 v128, v128, 24, 2
	v_and_b32_e32 v130, 0x4040404, v130
	v_sub_u16_e32 v131, v129, v130
	v_sub_u16_sdwa v134, v129, v130 dst_sel:BYTE_1 dst_unused:UNUSED_PAD src0_sel:BYTE_1 src1_sel:BYTE_1
	v_sub_u16_sdwa v128, v128, v130 dst_sel:BYTE_1 dst_unused:UNUSED_PAD src0_sel:DWORD src1_sel:BYTE_3
	v_sub_u16_sdwa v129, v129, v130 dst_sel:DWORD dst_unused:UNUSED_PAD src0_sel:WORD_1 src1_sel:WORD_1
	v_or_b32_sdwa v131, v131, v134 dst_sel:DWORD dst_unused:UNUSED_PAD src0_sel:BYTE_0 src1_sel:DWORD
	v_or_b32_sdwa v128, v129, v128 dst_sel:WORD_1 dst_unused:UNUSED_PAD src0_sel:BYTE_0 src1_sel:DWORD
	v_add_u32_e32 v130, 0x4208, v133
	v_or_b32_sdwa v134, v131, v128 dst_sel:DWORD dst_unused:UNUSED_PAD src0_sel:WORD_0 src1_sel:DWORD
	ds_read2_b32 v[128:129], v127 offset0:2 offset1:3
	ds_read2_b32 v[130:131], v130 offset1:1
	v_add_u32_e32 v123, 4, v123
	s_waitcnt lgkmcnt(1)
	v_ashrrev_i32_e32 v128, s25, v128
	s_waitcnt lgkmcnt(0)
	v_ashrrev_i32_e32 v130, s2, v130
	v_lshlrev_b32_e32 v130, 2, v130
	v_and_b32_e32 v135, 0x3030303, v128
	v_bfe_u32 v128, v128, 24, 2
	v_and_b32_e32 v130, 0x4040404, v130
	v_sub_u16_e32 v136, v135, v130
	v_sub_u16_sdwa v137, v135, v130 dst_sel:BYTE_1 dst_unused:UNUSED_PAD src0_sel:BYTE_1 src1_sel:BYTE_1
	v_sub_u16_sdwa v128, v128, v130 dst_sel:BYTE_1 dst_unused:UNUSED_PAD src0_sel:DWORD src1_sel:BYTE_3
	v_sub_u16_sdwa v130, v135, v130 dst_sel:DWORD dst_unused:UNUSED_PAD src0_sel:WORD_1 src1_sel:WORD_1
	v_or_b32_sdwa v136, v136, v137 dst_sel:DWORD dst_unused:UNUSED_PAD src0_sel:BYTE_0 src1_sel:DWORD
	v_or_b32_sdwa v128, v130, v128 dst_sel:WORD_1 dst_unused:UNUSED_PAD src0_sel:BYTE_0 src1_sel:DWORD
	v_ashrrev_i32_e32 v130, s2, v131
	v_or_b32_sdwa v135, v136, v128 dst_sel:DWORD dst_unused:UNUSED_PAD src0_sel:WORD_0 src1_sel:DWORD
	v_ashrrev_i32_e32 v128, s25, v129
	v_lshlrev_b32_e32 v130, 2, v130
	v_and_b32_e32 v129, 0x3030303, v128
	v_bfe_u32 v128, v128, 24, 2
	v_and_b32_e32 v130, 0x4040404, v130
	v_sub_u16_e32 v131, v129, v130
	v_sub_u16_sdwa v136, v129, v130 dst_sel:BYTE_1 dst_unused:UNUSED_PAD src0_sel:BYTE_1 src1_sel:BYTE_1
	v_sub_u16_sdwa v128, v128, v130 dst_sel:BYTE_1 dst_unused:UNUSED_PAD src0_sel:DWORD src1_sel:BYTE_3
	v_sub_u16_sdwa v129, v129, v130 dst_sel:DWORD dst_unused:UNUSED_PAD src0_sel:WORD_1 src1_sel:WORD_1
	v_or_b32_sdwa v131, v131, v136 dst_sel:DWORD dst_unused:UNUSED_PAD src0_sel:BYTE_0 src1_sel:DWORD
	v_or_b32_sdwa v128, v129, v128 dst_sel:WORD_1 dst_unused:UNUSED_PAD src0_sel:BYTE_0 src1_sel:DWORD
	v_add_u32_e32 v130, 0x4210, v133
	v_or_b32_sdwa v136, v131, v128 dst_sel:DWORD dst_unused:UNUSED_PAD src0_sel:WORD_0 src1_sel:DWORD
	ds_read2_b32 v[128:129], v127 offset0:4 offset1:5
	ds_read2_b32 v[130:131], v130 offset1:1
	s_waitcnt lgkmcnt(1)
	v_ashrrev_i32_e32 v128, s25, v128
	s_waitcnt lgkmcnt(0)
	v_ashrrev_i32_e32 v130, s2, v130
	v_lshlrev_b32_e32 v130, 2, v130
	v_and_b32_e32 v137, 0x3030303, v128
	v_bfe_u32 v128, v128, 24, 2
	v_and_b32_e32 v130, 0x4040404, v130
	v_sub_u16_e32 v138, v137, v130
	v_sub_u16_sdwa v139, v137, v130 dst_sel:BYTE_1 dst_unused:UNUSED_PAD src0_sel:BYTE_1 src1_sel:BYTE_1
	v_sub_u16_sdwa v128, v128, v130 dst_sel:BYTE_1 dst_unused:UNUSED_PAD src0_sel:DWORD src1_sel:BYTE_3
	v_sub_u16_sdwa v130, v137, v130 dst_sel:DWORD dst_unused:UNUSED_PAD src0_sel:WORD_1 src1_sel:WORD_1
	v_or_b32_sdwa v138, v138, v139 dst_sel:DWORD dst_unused:UNUSED_PAD src0_sel:BYTE_0 src1_sel:DWORD
	v_or_b32_sdwa v128, v130, v128 dst_sel:WORD_1 dst_unused:UNUSED_PAD src0_sel:BYTE_0 src1_sel:DWORD
	v_ashrrev_i32_e32 v130, s2, v131
	v_or_b32_sdwa v137, v138, v128 dst_sel:DWORD dst_unused:UNUSED_PAD src0_sel:WORD_0 src1_sel:DWORD
	v_ashrrev_i32_e32 v128, s25, v129
	v_lshlrev_b32_e32 v130, 2, v130
	v_and_b32_e32 v129, 0x3030303, v128
	v_bfe_u32 v128, v128, 24, 2
	v_and_b32_e32 v130, 0x4040404, v130
	v_sub_u16_e32 v131, v129, v130
	v_sub_u16_sdwa v138, v129, v130 dst_sel:BYTE_1 dst_unused:UNUSED_PAD src0_sel:BYTE_1 src1_sel:BYTE_1
	v_sub_u16_sdwa v128, v128, v130 dst_sel:BYTE_1 dst_unused:UNUSED_PAD src0_sel:DWORD src1_sel:BYTE_3
	v_sub_u16_sdwa v129, v129, v130 dst_sel:DWORD dst_unused:UNUSED_PAD src0_sel:WORD_1 src1_sel:WORD_1
	v_or_b32_sdwa v131, v131, v138 dst_sel:DWORD dst_unused:UNUSED_PAD src0_sel:BYTE_0 src1_sel:DWORD
	v_or_b32_sdwa v128, v129, v128 dst_sel:WORD_1 dst_unused:UNUSED_PAD src0_sel:BYTE_0 src1_sel:DWORD
	v_add_u32_e32 v130, 0x4218, v133
	v_or_b32_sdwa v138, v131, v128 dst_sel:DWORD dst_unused:UNUSED_PAD src0_sel:WORD_0 src1_sel:DWORD
	ds_read2_b32 v[128:129], v127 offset0:6 offset1:7
	ds_read2_b32 v[130:131], v130 offset1:1
	s_waitcnt lgkmcnt(1)
	v_ashrrev_i32_e32 v127, s25, v128
	s_waitcnt lgkmcnt(0)
	v_ashrrev_i32_e32 v130, s2, v130
	v_lshlrev_b32_e32 v130, 2, v130
	v_and_b32_e32 v128, 0x3030303, v127
	v_bfe_u32 v127, v127, 24, 2
	v_and_b32_e32 v130, 0x4040404, v130
	v_sub_u16_e32 v133, v128, v130
	v_sub_u16_sdwa v139, v128, v130 dst_sel:BYTE_1 dst_unused:UNUSED_PAD src0_sel:BYTE_1 src1_sel:BYTE_1
	v_sub_u16_sdwa v127, v127, v130 dst_sel:BYTE_1 dst_unused:UNUSED_PAD src0_sel:DWORD src1_sel:BYTE_3
	v_sub_u16_sdwa v128, v128, v130 dst_sel:DWORD dst_unused:UNUSED_PAD src0_sel:WORD_1 src1_sel:WORD_1
	v_ashrrev_i32_e32 v130, s2, v131
	v_or_b32_sdwa v127, v128, v127 dst_sel:WORD_1 dst_unused:UNUSED_PAD src0_sel:BYTE_0 src1_sel:DWORD
	v_ashrrev_i32_e32 v128, s25, v129
	v_lshlrev_b32_e32 v130, 2, v130
	v_or_b32_sdwa v133, v133, v139 dst_sel:DWORD dst_unused:UNUSED_PAD src0_sel:BYTE_0 src1_sel:DWORD
	v_and_b32_e32 v129, 0x3030303, v128
	v_bfe_u32 v128, v128, 24, 2
	v_and_b32_e32 v130, 0x4040404, v130
	v_or_b32_sdwa v127, v133, v127 dst_sel:DWORD dst_unused:UNUSED_PAD src0_sel:WORD_0 src1_sel:DWORD
	v_sub_u16_e32 v131, v129, v130
	v_sub_u16_sdwa v133, v129, v130 dst_sel:BYTE_1 dst_unused:UNUSED_PAD src0_sel:BYTE_1 src1_sel:BYTE_1
	v_sub_u16_sdwa v128, v128, v130 dst_sel:BYTE_1 dst_unused:UNUSED_PAD src0_sel:DWORD src1_sel:BYTE_3
	v_sub_u16_sdwa v129, v129, v130 dst_sel:DWORD dst_unused:UNUSED_PAD src0_sel:WORD_1 src1_sel:WORD_1
	v_or_b32_sdwa v131, v131, v133 dst_sel:DWORD dst_unused:UNUSED_PAD src0_sel:BYTE_0 src1_sel:DWORD
	v_or_b32_sdwa v128, v129, v128 dst_sel:WORD_1 dst_unused:UNUSED_PAD src0_sel:BYTE_0 src1_sel:DWORD
	v_add_u32_e32 v130, s37, v31
	v_or_b32_sdwa v129, v131, v128 dst_sel:DWORD dst_unused:UNUSED_PAD src0_sel:WORD_0 src1_sel:DWORD
	v_add3_u32 v128, v63, s24, v126
	ds_read_b32 v130, v130
	ds_read_u16 v128, v128 offset:25346
	v_mov_b32_e32 v131, 0
	v_dot4c_i32_i8_e32 v131, v132, v6
	v_dot4c_i32_i8_e32 v131, v134, v7
	;; [unrolled: 1-line block ×4, first 2 shown]
	s_waitcnt lgkmcnt(0)
	v_lshrrev_b16_e32 v132, 8, v128
	v_bfe_i32 v128, v128, 0, 8
	v_add_lshl_u32 v133, v33, s35, 2
	v_mul_lo_u32 v128, v131, v128
	v_mov_b32_e32 v131, 0
	v_dot4c_i32_i8_e32 v131, v137, v2
	v_dot4c_i32_i8_e32 v131, v138, v3
	;; [unrolled: 1-line block ×4, first 2 shown]
	v_bfe_i32 v127, v132, 0, 8
	s_nop 1
	v_mad_u64_u32 v[128:129], s[38:39], v131, v127, v[128:129]
	v_cvt_f32_i32_e32 v128, v128
	v_mul_f32_e32 v127, v125, v130
	v_add_u32_e32 v130, 0x4200, v133
	ds_read2_b32 v[130:131], v130 offset1:1
	v_fmac_f32_e32 v118, v127, v128
	v_add_u32_e32 v127, s36, v35
	ds_read2_b32 v[128:129], v127 offset1:1
	s_waitcnt lgkmcnt(1)
	v_ashrrev_i32_e32 v130, s2, v130
	v_lshlrev_b32_e32 v130, 2, v130
	v_and_b32_e32 v130, 0x4040404, v130
	s_waitcnt lgkmcnt(0)
	v_ashrrev_i32_e32 v128, s25, v128
	v_and_b32_e32 v132, 0x3030303, v128
	v_bfe_u32 v128, v128, 24, 2
	v_sub_u16_e32 v134, v132, v130
	v_sub_u16_sdwa v135, v132, v130 dst_sel:BYTE_1 dst_unused:UNUSED_PAD src0_sel:BYTE_1 src1_sel:BYTE_1
	v_sub_u16_sdwa v128, v128, v130 dst_sel:BYTE_1 dst_unused:UNUSED_PAD src0_sel:DWORD src1_sel:BYTE_3
	v_sub_u16_sdwa v130, v132, v130 dst_sel:DWORD dst_unused:UNUSED_PAD src0_sel:WORD_1 src1_sel:WORD_1
	v_or_b32_sdwa v134, v134, v135 dst_sel:DWORD dst_unused:UNUSED_PAD src0_sel:BYTE_0 src1_sel:DWORD
	v_or_b32_sdwa v128, v130, v128 dst_sel:WORD_1 dst_unused:UNUSED_PAD src0_sel:BYTE_0 src1_sel:DWORD
	v_ashrrev_i32_e32 v130, s2, v131
	v_or_b32_sdwa v132, v134, v128 dst_sel:DWORD dst_unused:UNUSED_PAD src0_sel:WORD_0 src1_sel:DWORD
	v_ashrrev_i32_e32 v128, s25, v129
	v_lshlrev_b32_e32 v130, 2, v130
	v_and_b32_e32 v129, 0x3030303, v128
	v_bfe_u32 v128, v128, 24, 2
	v_and_b32_e32 v130, 0x4040404, v130
	v_sub_u16_e32 v131, v129, v130
	v_sub_u16_sdwa v134, v129, v130 dst_sel:BYTE_1 dst_unused:UNUSED_PAD src0_sel:BYTE_1 src1_sel:BYTE_1
	v_sub_u16_sdwa v128, v128, v130 dst_sel:BYTE_1 dst_unused:UNUSED_PAD src0_sel:DWORD src1_sel:BYTE_3
	v_sub_u16_sdwa v129, v129, v130 dst_sel:DWORD dst_unused:UNUSED_PAD src0_sel:WORD_1 src1_sel:WORD_1
	v_or_b32_sdwa v131, v131, v134 dst_sel:DWORD dst_unused:UNUSED_PAD src0_sel:BYTE_0 src1_sel:DWORD
	v_or_b32_sdwa v128, v129, v128 dst_sel:WORD_1 dst_unused:UNUSED_PAD src0_sel:BYTE_0 src1_sel:DWORD
	v_add_u32_e32 v130, 0x4208, v133
	v_or_b32_sdwa v134, v131, v128 dst_sel:DWORD dst_unused:UNUSED_PAD src0_sel:WORD_0 src1_sel:DWORD
	ds_read2_b32 v[128:129], v127 offset0:2 offset1:3
	ds_read2_b32 v[130:131], v130 offset1:1
	s_waitcnt lgkmcnt(1)
	v_ashrrev_i32_e32 v128, s25, v128
	s_waitcnt lgkmcnt(0)
	v_ashrrev_i32_e32 v130, s2, v130
	v_lshlrev_b32_e32 v130, 2, v130
	v_and_b32_e32 v135, 0x3030303, v128
	v_bfe_u32 v128, v128, 24, 2
	v_and_b32_e32 v130, 0x4040404, v130
	v_sub_u16_e32 v136, v135, v130
	v_sub_u16_sdwa v137, v135, v130 dst_sel:BYTE_1 dst_unused:UNUSED_PAD src0_sel:BYTE_1 src1_sel:BYTE_1
	v_sub_u16_sdwa v128, v128, v130 dst_sel:BYTE_1 dst_unused:UNUSED_PAD src0_sel:DWORD src1_sel:BYTE_3
	v_sub_u16_sdwa v130, v135, v130 dst_sel:DWORD dst_unused:UNUSED_PAD src0_sel:WORD_1 src1_sel:WORD_1
	v_or_b32_sdwa v136, v136, v137 dst_sel:DWORD dst_unused:UNUSED_PAD src0_sel:BYTE_0 src1_sel:DWORD
	v_or_b32_sdwa v128, v130, v128 dst_sel:WORD_1 dst_unused:UNUSED_PAD src0_sel:BYTE_0 src1_sel:DWORD
	v_ashrrev_i32_e32 v130, s2, v131
	v_or_b32_sdwa v135, v136, v128 dst_sel:DWORD dst_unused:UNUSED_PAD src0_sel:WORD_0 src1_sel:DWORD
	v_ashrrev_i32_e32 v128, s25, v129
	v_lshlrev_b32_e32 v130, 2, v130
	v_and_b32_e32 v129, 0x3030303, v128
	v_bfe_u32 v128, v128, 24, 2
	v_and_b32_e32 v130, 0x4040404, v130
	v_sub_u16_e32 v131, v129, v130
	v_sub_u16_sdwa v136, v129, v130 dst_sel:BYTE_1 dst_unused:UNUSED_PAD src0_sel:BYTE_1 src1_sel:BYTE_1
	v_sub_u16_sdwa v128, v128, v130 dst_sel:BYTE_1 dst_unused:UNUSED_PAD src0_sel:DWORD src1_sel:BYTE_3
	v_sub_u16_sdwa v129, v129, v130 dst_sel:DWORD dst_unused:UNUSED_PAD src0_sel:WORD_1 src1_sel:WORD_1
	v_or_b32_sdwa v131, v131, v136 dst_sel:DWORD dst_unused:UNUSED_PAD src0_sel:BYTE_0 src1_sel:DWORD
	v_or_b32_sdwa v128, v129, v128 dst_sel:WORD_1 dst_unused:UNUSED_PAD src0_sel:BYTE_0 src1_sel:DWORD
	v_add_u32_e32 v130, 0x4210, v133
	v_or_b32_sdwa v136, v131, v128 dst_sel:DWORD dst_unused:UNUSED_PAD src0_sel:WORD_0 src1_sel:DWORD
	ds_read2_b32 v[128:129], v127 offset0:4 offset1:5
	ds_read2_b32 v[130:131], v130 offset1:1
	s_waitcnt lgkmcnt(1)
	v_ashrrev_i32_e32 v128, s25, v128
	s_waitcnt lgkmcnt(0)
	v_ashrrev_i32_e32 v130, s2, v130
	v_lshlrev_b32_e32 v130, 2, v130
	v_and_b32_e32 v137, 0x3030303, v128
	v_bfe_u32 v128, v128, 24, 2
	v_and_b32_e32 v130, 0x4040404, v130
	;; [unrolled: 31-line block ×3, first 2 shown]
	v_sub_u16_e32 v133, v128, v130
	v_sub_u16_sdwa v139, v128, v130 dst_sel:BYTE_1 dst_unused:UNUSED_PAD src0_sel:BYTE_1 src1_sel:BYTE_1
	v_sub_u16_sdwa v127, v127, v130 dst_sel:BYTE_1 dst_unused:UNUSED_PAD src0_sel:DWORD src1_sel:BYTE_3
	v_sub_u16_sdwa v128, v128, v130 dst_sel:DWORD dst_unused:UNUSED_PAD src0_sel:WORD_1 src1_sel:WORD_1
	v_ashrrev_i32_e32 v130, s2, v131
	v_or_b32_sdwa v127, v128, v127 dst_sel:WORD_1 dst_unused:UNUSED_PAD src0_sel:BYTE_0 src1_sel:DWORD
	v_ashrrev_i32_e32 v128, s25, v129
	v_lshlrev_b32_e32 v130, 2, v130
	v_or_b32_sdwa v133, v133, v139 dst_sel:DWORD dst_unused:UNUSED_PAD src0_sel:BYTE_0 src1_sel:DWORD
	v_and_b32_e32 v129, 0x3030303, v128
	v_bfe_u32 v128, v128, 24, 2
	v_and_b32_e32 v130, 0x4040404, v130
	v_or_b32_sdwa v127, v133, v127 dst_sel:DWORD dst_unused:UNUSED_PAD src0_sel:WORD_0 src1_sel:DWORD
	v_sub_u16_e32 v131, v129, v130
	v_sub_u16_sdwa v133, v129, v130 dst_sel:BYTE_1 dst_unused:UNUSED_PAD src0_sel:BYTE_1 src1_sel:BYTE_1
	v_sub_u16_sdwa v128, v128, v130 dst_sel:BYTE_1 dst_unused:UNUSED_PAD src0_sel:DWORD src1_sel:BYTE_3
	v_sub_u16_sdwa v129, v129, v130 dst_sel:DWORD dst_unused:UNUSED_PAD src0_sel:WORD_1 src1_sel:WORD_1
	v_or_b32_sdwa v131, v131, v133 dst_sel:DWORD dst_unused:UNUSED_PAD src0_sel:BYTE_0 src1_sel:DWORD
	v_or_b32_sdwa v128, v129, v128 dst_sel:WORD_1 dst_unused:UNUSED_PAD src0_sel:BYTE_0 src1_sel:DWORD
	v_add_u32_e32 v130, s37, v37
	v_or_b32_sdwa v129, v131, v128 dst_sel:DWORD dst_unused:UNUSED_PAD src0_sel:WORD_0 src1_sel:DWORD
	v_add3_u32 v128, v61, s24, v126
	ds_read_b32 v130, v130
	ds_read_u16 v128, v128 offset:26370
	v_mov_b32_e32 v131, 0
	v_dot4c_i32_i8_e32 v131, v132, v6
	v_dot4c_i32_i8_e32 v131, v134, v7
	;; [unrolled: 1-line block ×4, first 2 shown]
	s_waitcnt lgkmcnt(0)
	v_lshrrev_b16_e32 v132, 8, v128
	v_bfe_i32 v128, v128, 0, 8
	v_add_lshl_u32 v133, v39, s35, 2
	v_mul_lo_u32 v128, v131, v128
	v_mov_b32_e32 v131, 0
	v_dot4c_i32_i8_e32 v131, v137, v2
	v_dot4c_i32_i8_e32 v131, v138, v3
	;; [unrolled: 1-line block ×4, first 2 shown]
	v_bfe_i32 v127, v132, 0, 8
	s_nop 1
	v_mad_u64_u32 v[128:129], s[38:39], v131, v127, v[128:129]
	v_cvt_f32_i32_e32 v128, v128
	v_mul_f32_e32 v127, v125, v130
	v_add_u32_e32 v130, 0x4200, v133
	ds_read2_b32 v[130:131], v130 offset1:1
	v_fmac_f32_e32 v119, v127, v128
	v_add_u32_e32 v127, s36, v41
	ds_read2_b32 v[128:129], v127 offset1:1
	s_waitcnt lgkmcnt(1)
	v_ashrrev_i32_e32 v130, s2, v130
	v_lshlrev_b32_e32 v130, 2, v130
	v_and_b32_e32 v130, 0x4040404, v130
	s_waitcnt lgkmcnt(0)
	v_ashrrev_i32_e32 v128, s25, v128
	v_and_b32_e32 v132, 0x3030303, v128
	v_bfe_u32 v128, v128, 24, 2
	v_sub_u16_e32 v134, v132, v130
	v_sub_u16_sdwa v135, v132, v130 dst_sel:BYTE_1 dst_unused:UNUSED_PAD src0_sel:BYTE_1 src1_sel:BYTE_1
	v_sub_u16_sdwa v128, v128, v130 dst_sel:BYTE_1 dst_unused:UNUSED_PAD src0_sel:DWORD src1_sel:BYTE_3
	v_sub_u16_sdwa v130, v132, v130 dst_sel:DWORD dst_unused:UNUSED_PAD src0_sel:WORD_1 src1_sel:WORD_1
	v_or_b32_sdwa v134, v134, v135 dst_sel:DWORD dst_unused:UNUSED_PAD src0_sel:BYTE_0 src1_sel:DWORD
	v_or_b32_sdwa v128, v130, v128 dst_sel:WORD_1 dst_unused:UNUSED_PAD src0_sel:BYTE_0 src1_sel:DWORD
	v_ashrrev_i32_e32 v130, s2, v131
	v_or_b32_sdwa v132, v134, v128 dst_sel:DWORD dst_unused:UNUSED_PAD src0_sel:WORD_0 src1_sel:DWORD
	v_ashrrev_i32_e32 v128, s25, v129
	v_lshlrev_b32_e32 v130, 2, v130
	v_and_b32_e32 v129, 0x3030303, v128
	v_bfe_u32 v128, v128, 24, 2
	v_and_b32_e32 v130, 0x4040404, v130
	v_sub_u16_e32 v131, v129, v130
	v_sub_u16_sdwa v134, v129, v130 dst_sel:BYTE_1 dst_unused:UNUSED_PAD src0_sel:BYTE_1 src1_sel:BYTE_1
	v_sub_u16_sdwa v128, v128, v130 dst_sel:BYTE_1 dst_unused:UNUSED_PAD src0_sel:DWORD src1_sel:BYTE_3
	v_sub_u16_sdwa v129, v129, v130 dst_sel:DWORD dst_unused:UNUSED_PAD src0_sel:WORD_1 src1_sel:WORD_1
	v_or_b32_sdwa v131, v131, v134 dst_sel:DWORD dst_unused:UNUSED_PAD src0_sel:BYTE_0 src1_sel:DWORD
	v_or_b32_sdwa v128, v129, v128 dst_sel:WORD_1 dst_unused:UNUSED_PAD src0_sel:BYTE_0 src1_sel:DWORD
	v_add_u32_e32 v130, 0x4208, v133
	v_or_b32_sdwa v134, v131, v128 dst_sel:DWORD dst_unused:UNUSED_PAD src0_sel:WORD_0 src1_sel:DWORD
	ds_read2_b32 v[128:129], v127 offset0:2 offset1:3
	ds_read2_b32 v[130:131], v130 offset1:1
	s_waitcnt lgkmcnt(1)
	v_ashrrev_i32_e32 v128, s25, v128
	s_waitcnt lgkmcnt(0)
	v_ashrrev_i32_e32 v130, s2, v130
	v_lshlrev_b32_e32 v130, 2, v130
	v_and_b32_e32 v135, 0x3030303, v128
	v_bfe_u32 v128, v128, 24, 2
	v_and_b32_e32 v130, 0x4040404, v130
	v_sub_u16_e32 v136, v135, v130
	v_sub_u16_sdwa v137, v135, v130 dst_sel:BYTE_1 dst_unused:UNUSED_PAD src0_sel:BYTE_1 src1_sel:BYTE_1
	v_sub_u16_sdwa v128, v128, v130 dst_sel:BYTE_1 dst_unused:UNUSED_PAD src0_sel:DWORD src1_sel:BYTE_3
	v_sub_u16_sdwa v130, v135, v130 dst_sel:DWORD dst_unused:UNUSED_PAD src0_sel:WORD_1 src1_sel:WORD_1
	v_or_b32_sdwa v136, v136, v137 dst_sel:DWORD dst_unused:UNUSED_PAD src0_sel:BYTE_0 src1_sel:DWORD
	v_or_b32_sdwa v128, v130, v128 dst_sel:WORD_1 dst_unused:UNUSED_PAD src0_sel:BYTE_0 src1_sel:DWORD
	v_ashrrev_i32_e32 v130, s2, v131
	v_or_b32_sdwa v135, v136, v128 dst_sel:DWORD dst_unused:UNUSED_PAD src0_sel:WORD_0 src1_sel:DWORD
	v_ashrrev_i32_e32 v128, s25, v129
	v_lshlrev_b32_e32 v130, 2, v130
	v_and_b32_e32 v129, 0x3030303, v128
	v_bfe_u32 v128, v128, 24, 2
	v_and_b32_e32 v130, 0x4040404, v130
	v_sub_u16_e32 v131, v129, v130
	v_sub_u16_sdwa v136, v129, v130 dst_sel:BYTE_1 dst_unused:UNUSED_PAD src0_sel:BYTE_1 src1_sel:BYTE_1
	v_sub_u16_sdwa v128, v128, v130 dst_sel:BYTE_1 dst_unused:UNUSED_PAD src0_sel:DWORD src1_sel:BYTE_3
	v_sub_u16_sdwa v129, v129, v130 dst_sel:DWORD dst_unused:UNUSED_PAD src0_sel:WORD_1 src1_sel:WORD_1
	v_or_b32_sdwa v131, v131, v136 dst_sel:DWORD dst_unused:UNUSED_PAD src0_sel:BYTE_0 src1_sel:DWORD
	v_or_b32_sdwa v128, v129, v128 dst_sel:WORD_1 dst_unused:UNUSED_PAD src0_sel:BYTE_0 src1_sel:DWORD
	v_add_u32_e32 v130, 0x4210, v133
	v_or_b32_sdwa v136, v131, v128 dst_sel:DWORD dst_unused:UNUSED_PAD src0_sel:WORD_0 src1_sel:DWORD
	ds_read2_b32 v[128:129], v127 offset0:4 offset1:5
	ds_read2_b32 v[130:131], v130 offset1:1
	s_waitcnt lgkmcnt(1)
	v_ashrrev_i32_e32 v128, s25, v128
	s_waitcnt lgkmcnt(0)
	v_ashrrev_i32_e32 v130, s2, v130
	v_lshlrev_b32_e32 v130, 2, v130
	v_and_b32_e32 v137, 0x3030303, v128
	v_bfe_u32 v128, v128, 24, 2
	v_and_b32_e32 v130, 0x4040404, v130
	;; [unrolled: 31-line block ×3, first 2 shown]
	v_sub_u16_e32 v133, v128, v130
	v_sub_u16_sdwa v139, v128, v130 dst_sel:BYTE_1 dst_unused:UNUSED_PAD src0_sel:BYTE_1 src1_sel:BYTE_1
	v_sub_u16_sdwa v127, v127, v130 dst_sel:BYTE_1 dst_unused:UNUSED_PAD src0_sel:DWORD src1_sel:BYTE_3
	v_sub_u16_sdwa v128, v128, v130 dst_sel:DWORD dst_unused:UNUSED_PAD src0_sel:WORD_1 src1_sel:WORD_1
	v_ashrrev_i32_e32 v130, s2, v131
	v_or_b32_sdwa v127, v128, v127 dst_sel:WORD_1 dst_unused:UNUSED_PAD src0_sel:BYTE_0 src1_sel:DWORD
	v_ashrrev_i32_e32 v128, s25, v129
	v_lshlrev_b32_e32 v130, 2, v130
	v_or_b32_sdwa v133, v133, v139 dst_sel:DWORD dst_unused:UNUSED_PAD src0_sel:BYTE_0 src1_sel:DWORD
	v_and_b32_e32 v129, 0x3030303, v128
	v_bfe_u32 v128, v128, 24, 2
	v_and_b32_e32 v130, 0x4040404, v130
	v_or_b32_sdwa v127, v133, v127 dst_sel:DWORD dst_unused:UNUSED_PAD src0_sel:WORD_0 src1_sel:DWORD
	v_sub_u16_e32 v131, v129, v130
	v_sub_u16_sdwa v133, v129, v130 dst_sel:BYTE_1 dst_unused:UNUSED_PAD src0_sel:BYTE_1 src1_sel:BYTE_1
	v_sub_u16_sdwa v128, v128, v130 dst_sel:BYTE_1 dst_unused:UNUSED_PAD src0_sel:DWORD src1_sel:BYTE_3
	v_sub_u16_sdwa v129, v129, v130 dst_sel:DWORD dst_unused:UNUSED_PAD src0_sel:WORD_1 src1_sel:WORD_1
	v_or_b32_sdwa v131, v131, v133 dst_sel:DWORD dst_unused:UNUSED_PAD src0_sel:BYTE_0 src1_sel:DWORD
	v_or_b32_sdwa v128, v129, v128 dst_sel:WORD_1 dst_unused:UNUSED_PAD src0_sel:BYTE_0 src1_sel:DWORD
	v_add_u32_e32 v130, s37, v43
	v_or_b32_sdwa v129, v131, v128 dst_sel:DWORD dst_unused:UNUSED_PAD src0_sel:WORD_0 src1_sel:DWORD
	v_add3_u32 v128, v59, s24, v126
	ds_read_b32 v130, v130
	ds_read_u16 v128, v128 offset:27394
	v_mov_b32_e32 v131, 0
	v_dot4c_i32_i8_e32 v131, v132, v6
	v_dot4c_i32_i8_e32 v131, v134, v7
	;; [unrolled: 1-line block ×4, first 2 shown]
	s_waitcnt lgkmcnt(0)
	v_lshrrev_b16_e32 v132, 8, v128
	v_bfe_i32 v128, v128, 0, 8
	v_add_lshl_u32 v133, v45, s35, 2
	v_mul_lo_u32 v128, v131, v128
	v_mov_b32_e32 v131, 0
	v_dot4c_i32_i8_e32 v131, v137, v2
	v_dot4c_i32_i8_e32 v131, v138, v3
	;; [unrolled: 1-line block ×4, first 2 shown]
	v_bfe_i32 v127, v132, 0, 8
	v_add3_u32 v126, v57, s24, v126
	s_mov_b32 s24, s25
	v_mad_u64_u32 v[128:129], s[38:39], v131, v127, v[128:129]
	v_cvt_f32_i32_e32 v128, v128
	v_mul_f32_e32 v127, v125, v130
	v_add_u32_e32 v130, 0x4200, v133
	ds_read2_b32 v[130:131], v130 offset1:1
	v_fmac_f32_e32 v120, v127, v128
	v_add_u32_e32 v127, s36, v47
	ds_read2_b32 v[128:129], v127 offset1:1
	s_waitcnt lgkmcnt(1)
	v_ashrrev_i32_e32 v130, s2, v130
	v_lshlrev_b32_e32 v130, 2, v130
	v_and_b32_e32 v130, 0x4040404, v130
	s_waitcnt lgkmcnt(0)
	v_ashrrev_i32_e32 v128, s25, v128
	v_and_b32_e32 v132, 0x3030303, v128
	v_bfe_u32 v128, v128, 24, 2
	v_sub_u16_e32 v134, v132, v130
	v_sub_u16_sdwa v135, v132, v130 dst_sel:BYTE_1 dst_unused:UNUSED_PAD src0_sel:BYTE_1 src1_sel:BYTE_1
	v_sub_u16_sdwa v128, v128, v130 dst_sel:BYTE_1 dst_unused:UNUSED_PAD src0_sel:DWORD src1_sel:BYTE_3
	v_sub_u16_sdwa v130, v132, v130 dst_sel:DWORD dst_unused:UNUSED_PAD src0_sel:WORD_1 src1_sel:WORD_1
	v_or_b32_sdwa v134, v134, v135 dst_sel:DWORD dst_unused:UNUSED_PAD src0_sel:BYTE_0 src1_sel:DWORD
	v_or_b32_sdwa v128, v130, v128 dst_sel:WORD_1 dst_unused:UNUSED_PAD src0_sel:BYTE_0 src1_sel:DWORD
	v_ashrrev_i32_e32 v130, s2, v131
	v_or_b32_sdwa v132, v134, v128 dst_sel:DWORD dst_unused:UNUSED_PAD src0_sel:WORD_0 src1_sel:DWORD
	v_ashrrev_i32_e32 v128, s25, v129
	v_lshlrev_b32_e32 v130, 2, v130
	v_and_b32_e32 v129, 0x3030303, v128
	v_bfe_u32 v128, v128, 24, 2
	v_and_b32_e32 v130, 0x4040404, v130
	v_sub_u16_e32 v131, v129, v130
	v_sub_u16_sdwa v134, v129, v130 dst_sel:BYTE_1 dst_unused:UNUSED_PAD src0_sel:BYTE_1 src1_sel:BYTE_1
	v_sub_u16_sdwa v128, v128, v130 dst_sel:BYTE_1 dst_unused:UNUSED_PAD src0_sel:DWORD src1_sel:BYTE_3
	v_sub_u16_sdwa v129, v129, v130 dst_sel:DWORD dst_unused:UNUSED_PAD src0_sel:WORD_1 src1_sel:WORD_1
	v_or_b32_sdwa v131, v131, v134 dst_sel:DWORD dst_unused:UNUSED_PAD src0_sel:BYTE_0 src1_sel:DWORD
	v_or_b32_sdwa v128, v129, v128 dst_sel:WORD_1 dst_unused:UNUSED_PAD src0_sel:BYTE_0 src1_sel:DWORD
	v_add_u32_e32 v130, 0x4208, v133
	v_or_b32_sdwa v134, v131, v128 dst_sel:DWORD dst_unused:UNUSED_PAD src0_sel:WORD_0 src1_sel:DWORD
	ds_read2_b32 v[128:129], v127 offset0:2 offset1:3
	ds_read2_b32 v[130:131], v130 offset1:1
	s_waitcnt lgkmcnt(1)
	v_ashrrev_i32_e32 v128, s25, v128
	s_waitcnt lgkmcnt(0)
	v_ashrrev_i32_e32 v130, s2, v130
	v_lshlrev_b32_e32 v130, 2, v130
	v_and_b32_e32 v135, 0x3030303, v128
	v_bfe_u32 v128, v128, 24, 2
	v_and_b32_e32 v130, 0x4040404, v130
	v_sub_u16_e32 v136, v135, v130
	v_sub_u16_sdwa v137, v135, v130 dst_sel:BYTE_1 dst_unused:UNUSED_PAD src0_sel:BYTE_1 src1_sel:BYTE_1
	v_sub_u16_sdwa v128, v128, v130 dst_sel:BYTE_1 dst_unused:UNUSED_PAD src0_sel:DWORD src1_sel:BYTE_3
	v_sub_u16_sdwa v130, v135, v130 dst_sel:DWORD dst_unused:UNUSED_PAD src0_sel:WORD_1 src1_sel:WORD_1
	v_or_b32_sdwa v136, v136, v137 dst_sel:DWORD dst_unused:UNUSED_PAD src0_sel:BYTE_0 src1_sel:DWORD
	v_or_b32_sdwa v128, v130, v128 dst_sel:WORD_1 dst_unused:UNUSED_PAD src0_sel:BYTE_0 src1_sel:DWORD
	v_ashrrev_i32_e32 v130, s2, v131
	v_or_b32_sdwa v135, v136, v128 dst_sel:DWORD dst_unused:UNUSED_PAD src0_sel:WORD_0 src1_sel:DWORD
	v_ashrrev_i32_e32 v128, s25, v129
	v_lshlrev_b32_e32 v130, 2, v130
	v_and_b32_e32 v129, 0x3030303, v128
	v_bfe_u32 v128, v128, 24, 2
	v_and_b32_e32 v130, 0x4040404, v130
	v_sub_u16_e32 v131, v129, v130
	v_sub_u16_sdwa v136, v129, v130 dst_sel:BYTE_1 dst_unused:UNUSED_PAD src0_sel:BYTE_1 src1_sel:BYTE_1
	v_sub_u16_sdwa v128, v128, v130 dst_sel:BYTE_1 dst_unused:UNUSED_PAD src0_sel:DWORD src1_sel:BYTE_3
	v_sub_u16_sdwa v129, v129, v130 dst_sel:DWORD dst_unused:UNUSED_PAD src0_sel:WORD_1 src1_sel:WORD_1
	v_or_b32_sdwa v131, v131, v136 dst_sel:DWORD dst_unused:UNUSED_PAD src0_sel:BYTE_0 src1_sel:DWORD
	v_or_b32_sdwa v128, v129, v128 dst_sel:WORD_1 dst_unused:UNUSED_PAD src0_sel:BYTE_0 src1_sel:DWORD
	v_add_u32_e32 v130, 0x4210, v133
	v_or_b32_sdwa v136, v131, v128 dst_sel:DWORD dst_unused:UNUSED_PAD src0_sel:WORD_0 src1_sel:DWORD
	ds_read2_b32 v[128:129], v127 offset0:4 offset1:5
	ds_read2_b32 v[130:131], v130 offset1:1
	s_waitcnt lgkmcnt(1)
	v_ashrrev_i32_e32 v128, s25, v128
	s_waitcnt lgkmcnt(0)
	v_ashrrev_i32_e32 v130, s2, v130
	v_lshlrev_b32_e32 v130, 2, v130
	v_and_b32_e32 v137, 0x3030303, v128
	v_bfe_u32 v128, v128, 24, 2
	v_and_b32_e32 v130, 0x4040404, v130
	;; [unrolled: 31-line block ×3, first 2 shown]
	v_sub_u16_e32 v133, v128, v130
	v_sub_u16_sdwa v139, v128, v130 dst_sel:BYTE_1 dst_unused:UNUSED_PAD src0_sel:BYTE_1 src1_sel:BYTE_1
	v_sub_u16_sdwa v127, v127, v130 dst_sel:BYTE_1 dst_unused:UNUSED_PAD src0_sel:DWORD src1_sel:BYTE_3
	v_sub_u16_sdwa v128, v128, v130 dst_sel:DWORD dst_unused:UNUSED_PAD src0_sel:WORD_1 src1_sel:WORD_1
	v_ashrrev_i32_e32 v130, s2, v131
	v_or_b32_sdwa v127, v128, v127 dst_sel:WORD_1 dst_unused:UNUSED_PAD src0_sel:BYTE_0 src1_sel:DWORD
	v_ashrrev_i32_e32 v128, s25, v129
	v_lshlrev_b32_e32 v130, 2, v130
	v_or_b32_sdwa v133, v133, v139 dst_sel:DWORD dst_unused:UNUSED_PAD src0_sel:BYTE_0 src1_sel:DWORD
	v_and_b32_e32 v129, 0x3030303, v128
	v_bfe_u32 v128, v128, 24, 2
	v_and_b32_e32 v130, 0x4040404, v130
	v_or_b32_sdwa v127, v133, v127 dst_sel:DWORD dst_unused:UNUSED_PAD src0_sel:WORD_0 src1_sel:DWORD
	v_sub_u16_e32 v131, v129, v130
	v_sub_u16_sdwa v133, v129, v130 dst_sel:BYTE_1 dst_unused:UNUSED_PAD src0_sel:BYTE_1 src1_sel:BYTE_1
	v_sub_u16_sdwa v128, v128, v130 dst_sel:BYTE_1 dst_unused:UNUSED_PAD src0_sel:DWORD src1_sel:BYTE_3
	v_sub_u16_sdwa v129, v129, v130 dst_sel:DWORD dst_unused:UNUSED_PAD src0_sel:WORD_1 src1_sel:WORD_1
	v_or_b32_sdwa v128, v129, v128 dst_sel:WORD_1 dst_unused:UNUSED_PAD src0_sel:BYTE_0 src1_sel:DWORD
	v_add_u32_e32 v129, s37, v49
	v_mov_b32_e32 v130, 0
	ds_read_b32 v129, v129
	v_dot4c_i32_i8_e32 v130, v132, v6
	ds_read_u16 v6, v126 offset:28418
	v_dot4c_i32_i8_e32 v130, v134, v7
	v_dot4c_i32_i8_e32 v130, v135, v8
	v_mov_b32_e32 v8, 0
	v_dot4c_i32_i8_e32 v8, v137, v2
	v_or_b32_sdwa v131, v131, v133 dst_sel:DWORD dst_unused:UNUSED_PAD src0_sel:BYTE_0 src1_sel:DWORD
	v_dot4c_i32_i8_e32 v8, v138, v3
	v_or_b32_sdwa v128, v131, v128 dst_sel:DWORD dst_unused:UNUSED_PAD src0_sel:WORD_0 src1_sel:DWORD
	v_dot4c_i32_i8_e32 v130, v136, v9
	s_waitcnt lgkmcnt(0)
	v_lshrrev_b16_e32 v7, 8, v6
	v_bfe_i32 v6, v6, 0, 8
	v_dot4c_i32_i8_e32 v8, v127, v4
	v_mul_lo_u32 v6, v130, v6
	v_dot4c_i32_i8_e32 v8, v128, v5
	v_bfe_i32 v2, v7, 0, 8
	s_add_i32 s2, s2, 1
	s_cmp_lt_u32 s25, 6
	v_mad_u64_u32 v[2:3], s[36:37], v8, v2, v[6:7]
	v_cvt_f32_i32_e32 v2, v2
	v_mul_f32_e32 v3, v125, v129
	v_fmac_f32_e32 v121, v3, v2
	s_cbranch_scc1 .LBB210_12
; %bb.13:                               ;   in Loop: Header=BB210_5 Depth=1
	s_or_b32 s2, s34, 0x80
	s_cmp_ge_i32 s2, s5
	s_barrier
	s_cbranch_scc1 .LBB210_4
; %bb.14:                               ;   in Loop: Header=BB210_5 Depth=1
	v_add_u32_e32 v2, s33, v51
	v_cmp_gt_i32_e64 s[2:3], s8, v2
	s_and_b64 s[24:25], s[0:1], s[2:3]
	s_and_saveexec_b64 s[2:3], s[24:25]
	s_cbranch_execz .LBB210_16
; %bb.15:                               ;   in Loop: Header=BB210_5 Depth=1
	v_add_u32_e32 v2, v116, v2
	v_mad_i64_i32 v[2:3], s[24:25], v2, 36, v[114:115]
	global_load_dword v2, v[2:3], off offset:4
	s_waitcnt vmcnt(0)
	ds_write_b32 v21, v2
.LBB210_16:                             ;   in Loop: Header=BB210_5 Depth=1
	s_or_b64 exec, exec, s[2:3]
	s_and_saveexec_b64 s[24:25], vcc
	s_cbranch_execz .LBB210_19
; %bb.17:                               ;   in Loop: Header=BB210_5 Depth=1
	v_or_b32_e32 v2, s33, v11
	v_or_b32_e32 v3, 4, v2
	v_cmp_gt_i32_e64 s[2:3], s8, v3
	s_and_b64 s[2:3], s[0:1], s[2:3]
	s_and_b64 exec, exec, s[2:3]
	s_cbranch_execz .LBB210_19
; %bb.18:                               ;   in Loop: Header=BB210_5 Depth=1
	v_ashrrev_i32_e32 v3, 31, v2
	v_lshl_add_u64 v[2:3], v[116:117], 0, v[2:3]
	v_mad_u64_u32 v[4:5], s[2:3], v2, 36, s[12:13]
	v_mad_i32_i24 v5, v3, 36, v5
	global_load_dword v2, v[4:5], off
	s_waitcnt vmcnt(0)
	v_cvt_f32_f16_e32 v2, v2
	ds_write_b32 v23, v2
.LBB210_19:                             ;   in Loop: Header=BB210_5 Depth=1
	s_or_b64 exec, exec, s[24:25]
	s_mov_b32 s2, 8
	s_mov_b32 s3, 0
	;; [unrolled: 1-line block ×3, first 2 shown]
	v_mov_b32_e32 v123, v65
	v_mov_b32_e32 v124, v67
	s_waitcnt lgkmcnt(0)
	s_barrier
.LBB210_20:                             ;   Parent Loop BB210_5 Depth=1
                                        ; =>  This Inner Loop Header: Depth=2
	s_add_i32 s25, s3, 8
	s_lshr_b32 s38, s25, 4
	s_and_b32 s37, s25, 0x3ffffff8
	s_lshl_b32 s36, s38, 3
	s_lshl_b32 s37, s37, 2
	v_add_lshl_u32 v132, v27, s36, 2
	v_add_u32_e32 v130, s37, v29
	v_add_u32_e32 v128, 0x4200, v132
	ds_read_b32 v125, v124
	ds_read_b128 v[6:9], v123
	ds_read_b128 v[2:5], v123 offset:16
	ds_read2_b32 v[126:127], v130 offset1:1
	ds_read2_b32 v[128:129], v128 offset1:1
	s_and_b32 s35, s2, -16
	s_lshl_b32 s38, s38, 2
	s_add_i32 s2, s2, 2
	s_waitcnt lgkmcnt(1)
	v_ashrrev_i32_e32 v126, s3, v126
	s_waitcnt lgkmcnt(0)
	v_ashrrev_i32_e32 v128, s24, v128
	v_lshlrev_b32_e32 v128, 2, v128
	v_and_b32_e32 v131, 0x3030303, v126
	v_bfe_u32 v126, v126, 24, 2
	v_and_b32_e32 v128, 0x4040404, v128
	v_sub_u16_e32 v133, v131, v128
	v_sub_u16_sdwa v134, v131, v128 dst_sel:BYTE_1 dst_unused:UNUSED_PAD src0_sel:BYTE_1 src1_sel:BYTE_1
	v_sub_u16_sdwa v126, v126, v128 dst_sel:BYTE_1 dst_unused:UNUSED_PAD src0_sel:DWORD src1_sel:BYTE_3
	v_sub_u16_sdwa v128, v131, v128 dst_sel:DWORD dst_unused:UNUSED_PAD src0_sel:WORD_1 src1_sel:WORD_1
	v_or_b32_sdwa v133, v133, v134 dst_sel:DWORD dst_unused:UNUSED_PAD src0_sel:BYTE_0 src1_sel:DWORD
	v_or_b32_sdwa v126, v128, v126 dst_sel:WORD_1 dst_unused:UNUSED_PAD src0_sel:BYTE_0 src1_sel:DWORD
	v_ashrrev_i32_e32 v128, s24, v129
	v_or_b32_sdwa v131, v133, v126 dst_sel:DWORD dst_unused:UNUSED_PAD src0_sel:WORD_0 src1_sel:DWORD
	v_ashrrev_i32_e32 v126, s3, v127
	v_lshlrev_b32_e32 v128, 2, v128
	v_and_b32_e32 v127, 0x3030303, v126
	v_bfe_u32 v126, v126, 24, 2
	v_and_b32_e32 v128, 0x4040404, v128
	v_sub_u16_e32 v129, v127, v128
	v_sub_u16_sdwa v133, v127, v128 dst_sel:BYTE_1 dst_unused:UNUSED_PAD src0_sel:BYTE_1 src1_sel:BYTE_1
	v_sub_u16_sdwa v126, v126, v128 dst_sel:BYTE_1 dst_unused:UNUSED_PAD src0_sel:DWORD src1_sel:BYTE_3
	v_sub_u16_sdwa v127, v127, v128 dst_sel:DWORD dst_unused:UNUSED_PAD src0_sel:WORD_1 src1_sel:WORD_1
	v_or_b32_sdwa v129, v129, v133 dst_sel:DWORD dst_unused:UNUSED_PAD src0_sel:BYTE_0 src1_sel:DWORD
	v_or_b32_sdwa v126, v127, v126 dst_sel:WORD_1 dst_unused:UNUSED_PAD src0_sel:BYTE_0 src1_sel:DWORD
	v_add_u32_e32 v128, 0x4208, v132
	v_or_b32_sdwa v133, v129, v126 dst_sel:DWORD dst_unused:UNUSED_PAD src0_sel:WORD_0 src1_sel:DWORD
	ds_read2_b32 v[126:127], v130 offset0:2 offset1:3
	ds_read2_b32 v[128:129], v128 offset1:1
	v_add_u32_e32 v124, 4, v124
	v_add_u32_e32 v123, 32, v123
	s_waitcnt lgkmcnt(1)
	v_ashrrev_i32_e32 v126, s3, v126
	s_waitcnt lgkmcnt(0)
	v_ashrrev_i32_e32 v128, s24, v128
	v_lshlrev_b32_e32 v128, 2, v128
	v_and_b32_e32 v134, 0x3030303, v126
	v_bfe_u32 v126, v126, 24, 2
	v_and_b32_e32 v128, 0x4040404, v128
	v_sub_u16_e32 v135, v134, v128
	v_sub_u16_sdwa v136, v134, v128 dst_sel:BYTE_1 dst_unused:UNUSED_PAD src0_sel:BYTE_1 src1_sel:BYTE_1
	v_sub_u16_sdwa v126, v126, v128 dst_sel:BYTE_1 dst_unused:UNUSED_PAD src0_sel:DWORD src1_sel:BYTE_3
	v_sub_u16_sdwa v128, v134, v128 dst_sel:DWORD dst_unused:UNUSED_PAD src0_sel:WORD_1 src1_sel:WORD_1
	v_or_b32_sdwa v135, v135, v136 dst_sel:DWORD dst_unused:UNUSED_PAD src0_sel:BYTE_0 src1_sel:DWORD
	v_or_b32_sdwa v126, v128, v126 dst_sel:WORD_1 dst_unused:UNUSED_PAD src0_sel:BYTE_0 src1_sel:DWORD
	v_ashrrev_i32_e32 v128, s24, v129
	v_or_b32_sdwa v134, v135, v126 dst_sel:DWORD dst_unused:UNUSED_PAD src0_sel:WORD_0 src1_sel:DWORD
	v_ashrrev_i32_e32 v126, s3, v127
	v_lshlrev_b32_e32 v128, 2, v128
	v_and_b32_e32 v127, 0x3030303, v126
	v_bfe_u32 v126, v126, 24, 2
	v_and_b32_e32 v128, 0x4040404, v128
	v_sub_u16_e32 v129, v127, v128
	v_sub_u16_sdwa v135, v127, v128 dst_sel:BYTE_1 dst_unused:UNUSED_PAD src0_sel:BYTE_1 src1_sel:BYTE_1
	v_sub_u16_sdwa v126, v126, v128 dst_sel:BYTE_1 dst_unused:UNUSED_PAD src0_sel:DWORD src1_sel:BYTE_3
	v_sub_u16_sdwa v127, v127, v128 dst_sel:DWORD dst_unused:UNUSED_PAD src0_sel:WORD_1 src1_sel:WORD_1
	v_or_b32_sdwa v129, v129, v135 dst_sel:DWORD dst_unused:UNUSED_PAD src0_sel:BYTE_0 src1_sel:DWORD
	v_or_b32_sdwa v126, v127, v126 dst_sel:WORD_1 dst_unused:UNUSED_PAD src0_sel:BYTE_0 src1_sel:DWORD
	v_add_u32_e32 v128, 0x4210, v132
	v_or_b32_sdwa v135, v129, v126 dst_sel:DWORD dst_unused:UNUSED_PAD src0_sel:WORD_0 src1_sel:DWORD
	ds_read2_b32 v[126:127], v130 offset0:4 offset1:5
	ds_read2_b32 v[128:129], v128 offset1:1
	s_waitcnt lgkmcnt(1)
	v_ashrrev_i32_e32 v126, s3, v126
	s_waitcnt lgkmcnt(0)
	v_ashrrev_i32_e32 v128, s24, v128
	v_lshlrev_b32_e32 v128, 2, v128
	v_and_b32_e32 v136, 0x3030303, v126
	v_bfe_u32 v126, v126, 24, 2
	v_and_b32_e32 v128, 0x4040404, v128
	v_sub_u16_e32 v137, v136, v128
	v_sub_u16_sdwa v138, v136, v128 dst_sel:BYTE_1 dst_unused:UNUSED_PAD src0_sel:BYTE_1 src1_sel:BYTE_1
	v_sub_u16_sdwa v126, v126, v128 dst_sel:BYTE_1 dst_unused:UNUSED_PAD src0_sel:DWORD src1_sel:BYTE_3
	v_sub_u16_sdwa v128, v136, v128 dst_sel:DWORD dst_unused:UNUSED_PAD src0_sel:WORD_1 src1_sel:WORD_1
	v_or_b32_sdwa v137, v137, v138 dst_sel:DWORD dst_unused:UNUSED_PAD src0_sel:BYTE_0 src1_sel:DWORD
	v_or_b32_sdwa v126, v128, v126 dst_sel:WORD_1 dst_unused:UNUSED_PAD src0_sel:BYTE_0 src1_sel:DWORD
	v_ashrrev_i32_e32 v128, s24, v129
	v_or_b32_sdwa v136, v137, v126 dst_sel:DWORD dst_unused:UNUSED_PAD src0_sel:WORD_0 src1_sel:DWORD
	v_ashrrev_i32_e32 v126, s3, v127
	v_lshlrev_b32_e32 v128, 2, v128
	v_and_b32_e32 v127, 0x3030303, v126
	v_bfe_u32 v126, v126, 24, 2
	v_and_b32_e32 v128, 0x4040404, v128
	v_sub_u16_e32 v129, v127, v128
	v_sub_u16_sdwa v137, v127, v128 dst_sel:BYTE_1 dst_unused:UNUSED_PAD src0_sel:BYTE_1 src1_sel:BYTE_1
	v_sub_u16_sdwa v126, v126, v128 dst_sel:BYTE_1 dst_unused:UNUSED_PAD src0_sel:DWORD src1_sel:BYTE_3
	v_sub_u16_sdwa v127, v127, v128 dst_sel:DWORD dst_unused:UNUSED_PAD src0_sel:WORD_1 src1_sel:WORD_1
	v_or_b32_sdwa v129, v129, v137 dst_sel:DWORD dst_unused:UNUSED_PAD src0_sel:BYTE_0 src1_sel:DWORD
	v_or_b32_sdwa v126, v127, v126 dst_sel:WORD_1 dst_unused:UNUSED_PAD src0_sel:BYTE_0 src1_sel:DWORD
	v_add_u32_e32 v128, 0x4218, v132
	v_or_b32_sdwa v137, v129, v126 dst_sel:DWORD dst_unused:UNUSED_PAD src0_sel:WORD_0 src1_sel:DWORD
	ds_read2_b32 v[126:127], v130 offset0:6 offset1:7
	ds_read2_b32 v[128:129], v128 offset1:1
	s_waitcnt lgkmcnt(1)
	v_ashrrev_i32_e32 v126, s3, v126
	s_waitcnt lgkmcnt(0)
	v_ashrrev_i32_e32 v128, s24, v128
	v_lshlrev_b32_e32 v128, 2, v128
	v_and_b32_e32 v130, 0x3030303, v126
	v_bfe_u32 v126, v126, 24, 2
	v_and_b32_e32 v128, 0x4040404, v128
	v_sub_u16_e32 v132, v130, v128
	v_sub_u16_sdwa v138, v130, v128 dst_sel:BYTE_1 dst_unused:UNUSED_PAD src0_sel:BYTE_1 src1_sel:BYTE_1
	v_sub_u16_sdwa v126, v126, v128 dst_sel:BYTE_1 dst_unused:UNUSED_PAD src0_sel:DWORD src1_sel:BYTE_3
	v_sub_u16_sdwa v128, v130, v128 dst_sel:DWORD dst_unused:UNUSED_PAD src0_sel:WORD_1 src1_sel:WORD_1
	v_or_b32_sdwa v132, v132, v138 dst_sel:DWORD dst_unused:UNUSED_PAD src0_sel:BYTE_0 src1_sel:DWORD
	v_or_b32_sdwa v126, v128, v126 dst_sel:WORD_1 dst_unused:UNUSED_PAD src0_sel:BYTE_0 src1_sel:DWORD
	v_ashrrev_i32_e32 v128, s24, v129
	v_or_b32_sdwa v130, v132, v126 dst_sel:DWORD dst_unused:UNUSED_PAD src0_sel:WORD_0 src1_sel:DWORD
	v_ashrrev_i32_e32 v126, s3, v127
	v_lshlrev_b32_e32 v128, 2, v128
	v_and_b32_e32 v127, 0x3030303, v126
	v_bfe_u32 v126, v126, 24, 2
	v_and_b32_e32 v128, 0x4040404, v128
	v_sub_u16_e32 v129, v127, v128
	v_sub_u16_sdwa v132, v127, v128 dst_sel:BYTE_1 dst_unused:UNUSED_PAD src0_sel:BYTE_1 src1_sel:BYTE_1
	v_sub_u16_sdwa v126, v126, v128 dst_sel:BYTE_1 dst_unused:UNUSED_PAD src0_sel:DWORD src1_sel:BYTE_3
	v_sub_u16_sdwa v127, v127, v128 dst_sel:DWORD dst_unused:UNUSED_PAD src0_sel:WORD_1 src1_sel:WORD_1
	v_or_b32_sdwa v129, v129, v132 dst_sel:DWORD dst_unused:UNUSED_PAD src0_sel:BYTE_0 src1_sel:DWORD
	v_or_b32_sdwa v126, v127, v126 dst_sel:WORD_1 dst_unused:UNUSED_PAD src0_sel:BYTE_0 src1_sel:DWORD
	s_nop 0
	v_or_b32_sdwa v127, v129, v126 dst_sel:DWORD dst_unused:UNUSED_PAD src0_sel:WORD_0 src1_sel:DWORD
	v_add_u32_e32 v126, s3, v25
	v_add3_u32 v128, v75, s35, v126
	v_add_u32_e32 v129, s38, v31
	ds_read_b32 v132, v129
	ds_read_u16 v128, v128
	v_mov_b32_e32 v129, 0
	v_dot4c_i32_i8_e32 v129, v131, v6
	v_dot4c_i32_i8_e32 v129, v133, v7
	v_dot4c_i32_i8_e32 v129, v134, v8
	v_dot4c_i32_i8_e32 v129, v135, v9
	s_waitcnt lgkmcnt(0)
	v_lshrrev_b16_e32 v131, 8, v128
	v_bfe_i32 v128, v128, 0, 8
	v_add_lshl_u32 v133, v33, s36, 2
	v_mul_lo_u32 v128, v129, v128
	v_mov_b32_e32 v129, 0
	v_dot4c_i32_i8_e32 v129, v136, v2
	v_dot4c_i32_i8_e32 v129, v137, v3
	;; [unrolled: 1-line block ×4, first 2 shown]
	v_bfe_i32 v127, v131, 0, 8
	v_add_u32_e32 v130, 0x4200, v133
	ds_read2_b32 v[130:131], v130 offset1:1
	v_mad_u64_u32 v[128:129], s[40:41], v129, v127, v[128:129]
	v_cvt_f32_i32_e32 v128, v128
	v_mul_f32_e32 v127, v125, v132
	s_waitcnt lgkmcnt(0)
	v_ashrrev_i32_e32 v130, s24, v130
	v_lshlrev_b32_e32 v130, 2, v130
	v_fmac_f32_e32 v118, v127, v128
	v_add_u32_e32 v127, s37, v35
	ds_read2_b32 v[128:129], v127 offset1:1
	v_and_b32_e32 v130, 0x4040404, v130
	s_waitcnt lgkmcnt(0)
	v_ashrrev_i32_e32 v128, s3, v128
	v_and_b32_e32 v132, 0x3030303, v128
	v_bfe_u32 v128, v128, 24, 2
	v_sub_u16_e32 v134, v132, v130
	v_sub_u16_sdwa v135, v132, v130 dst_sel:BYTE_1 dst_unused:UNUSED_PAD src0_sel:BYTE_1 src1_sel:BYTE_1
	v_sub_u16_sdwa v128, v128, v130 dst_sel:BYTE_1 dst_unused:UNUSED_PAD src0_sel:DWORD src1_sel:BYTE_3
	v_sub_u16_sdwa v130, v132, v130 dst_sel:DWORD dst_unused:UNUSED_PAD src0_sel:WORD_1 src1_sel:WORD_1
	v_or_b32_sdwa v134, v134, v135 dst_sel:DWORD dst_unused:UNUSED_PAD src0_sel:BYTE_0 src1_sel:DWORD
	v_or_b32_sdwa v128, v130, v128 dst_sel:WORD_1 dst_unused:UNUSED_PAD src0_sel:BYTE_0 src1_sel:DWORD
	v_ashrrev_i32_e32 v130, s24, v131
	v_or_b32_sdwa v132, v134, v128 dst_sel:DWORD dst_unused:UNUSED_PAD src0_sel:WORD_0 src1_sel:DWORD
	v_ashrrev_i32_e32 v128, s3, v129
	v_lshlrev_b32_e32 v130, 2, v130
	v_and_b32_e32 v129, 0x3030303, v128
	v_bfe_u32 v128, v128, 24, 2
	v_and_b32_e32 v130, 0x4040404, v130
	v_sub_u16_e32 v131, v129, v130
	v_sub_u16_sdwa v134, v129, v130 dst_sel:BYTE_1 dst_unused:UNUSED_PAD src0_sel:BYTE_1 src1_sel:BYTE_1
	v_sub_u16_sdwa v128, v128, v130 dst_sel:BYTE_1 dst_unused:UNUSED_PAD src0_sel:DWORD src1_sel:BYTE_3
	v_sub_u16_sdwa v129, v129, v130 dst_sel:DWORD dst_unused:UNUSED_PAD src0_sel:WORD_1 src1_sel:WORD_1
	v_or_b32_sdwa v131, v131, v134 dst_sel:DWORD dst_unused:UNUSED_PAD src0_sel:BYTE_0 src1_sel:DWORD
	v_or_b32_sdwa v128, v129, v128 dst_sel:WORD_1 dst_unused:UNUSED_PAD src0_sel:BYTE_0 src1_sel:DWORD
	v_add_u32_e32 v130, 0x4208, v133
	v_or_b32_sdwa v134, v131, v128 dst_sel:DWORD dst_unused:UNUSED_PAD src0_sel:WORD_0 src1_sel:DWORD
	ds_read2_b32 v[128:129], v127 offset0:2 offset1:3
	ds_read2_b32 v[130:131], v130 offset1:1
	s_waitcnt lgkmcnt(1)
	v_ashrrev_i32_e32 v128, s3, v128
	s_waitcnt lgkmcnt(0)
	v_ashrrev_i32_e32 v130, s24, v130
	v_lshlrev_b32_e32 v130, 2, v130
	v_and_b32_e32 v135, 0x3030303, v128
	v_bfe_u32 v128, v128, 24, 2
	v_and_b32_e32 v130, 0x4040404, v130
	v_sub_u16_e32 v136, v135, v130
	v_sub_u16_sdwa v137, v135, v130 dst_sel:BYTE_1 dst_unused:UNUSED_PAD src0_sel:BYTE_1 src1_sel:BYTE_1
	v_sub_u16_sdwa v128, v128, v130 dst_sel:BYTE_1 dst_unused:UNUSED_PAD src0_sel:DWORD src1_sel:BYTE_3
	v_sub_u16_sdwa v130, v135, v130 dst_sel:DWORD dst_unused:UNUSED_PAD src0_sel:WORD_1 src1_sel:WORD_1
	v_or_b32_sdwa v136, v136, v137 dst_sel:DWORD dst_unused:UNUSED_PAD src0_sel:BYTE_0 src1_sel:DWORD
	v_or_b32_sdwa v128, v130, v128 dst_sel:WORD_1 dst_unused:UNUSED_PAD src0_sel:BYTE_0 src1_sel:DWORD
	v_ashrrev_i32_e32 v130, s24, v131
	v_or_b32_sdwa v135, v136, v128 dst_sel:DWORD dst_unused:UNUSED_PAD src0_sel:WORD_0 src1_sel:DWORD
	v_ashrrev_i32_e32 v128, s3, v129
	v_lshlrev_b32_e32 v130, 2, v130
	v_and_b32_e32 v129, 0x3030303, v128
	v_bfe_u32 v128, v128, 24, 2
	v_and_b32_e32 v130, 0x4040404, v130
	v_sub_u16_e32 v131, v129, v130
	v_sub_u16_sdwa v136, v129, v130 dst_sel:BYTE_1 dst_unused:UNUSED_PAD src0_sel:BYTE_1 src1_sel:BYTE_1
	v_sub_u16_sdwa v128, v128, v130 dst_sel:BYTE_1 dst_unused:UNUSED_PAD src0_sel:DWORD src1_sel:BYTE_3
	v_sub_u16_sdwa v129, v129, v130 dst_sel:DWORD dst_unused:UNUSED_PAD src0_sel:WORD_1 src1_sel:WORD_1
	v_or_b32_sdwa v131, v131, v136 dst_sel:DWORD dst_unused:UNUSED_PAD src0_sel:BYTE_0 src1_sel:DWORD
	v_or_b32_sdwa v128, v129, v128 dst_sel:WORD_1 dst_unused:UNUSED_PAD src0_sel:BYTE_0 src1_sel:DWORD
	v_add_u32_e32 v130, 0x4210, v133
	v_or_b32_sdwa v136, v131, v128 dst_sel:DWORD dst_unused:UNUSED_PAD src0_sel:WORD_0 src1_sel:DWORD
	ds_read2_b32 v[128:129], v127 offset0:4 offset1:5
	ds_read2_b32 v[130:131], v130 offset1:1
	s_waitcnt lgkmcnt(1)
	v_ashrrev_i32_e32 v128, s3, v128
	s_waitcnt lgkmcnt(0)
	v_ashrrev_i32_e32 v130, s24, v130
	v_lshlrev_b32_e32 v130, 2, v130
	v_and_b32_e32 v137, 0x3030303, v128
	v_bfe_u32 v128, v128, 24, 2
	v_and_b32_e32 v130, 0x4040404, v130
	;; [unrolled: 31-line block ×3, first 2 shown]
	v_sub_u16_e32 v133, v128, v130
	v_sub_u16_sdwa v139, v128, v130 dst_sel:BYTE_1 dst_unused:UNUSED_PAD src0_sel:BYTE_1 src1_sel:BYTE_1
	v_sub_u16_sdwa v127, v127, v130 dst_sel:BYTE_1 dst_unused:UNUSED_PAD src0_sel:DWORD src1_sel:BYTE_3
	v_sub_u16_sdwa v128, v128, v130 dst_sel:DWORD dst_unused:UNUSED_PAD src0_sel:WORD_1 src1_sel:WORD_1
	v_ashrrev_i32_e32 v130, s24, v131
	v_or_b32_sdwa v127, v128, v127 dst_sel:WORD_1 dst_unused:UNUSED_PAD src0_sel:BYTE_0 src1_sel:DWORD
	v_ashrrev_i32_e32 v128, s3, v129
	v_lshlrev_b32_e32 v130, 2, v130
	v_or_b32_sdwa v133, v133, v139 dst_sel:DWORD dst_unused:UNUSED_PAD src0_sel:BYTE_0 src1_sel:DWORD
	v_and_b32_e32 v129, 0x3030303, v128
	v_bfe_u32 v128, v128, 24, 2
	v_and_b32_e32 v130, 0x4040404, v130
	v_or_b32_sdwa v127, v133, v127 dst_sel:DWORD dst_unused:UNUSED_PAD src0_sel:WORD_0 src1_sel:DWORD
	v_sub_u16_e32 v131, v129, v130
	v_sub_u16_sdwa v133, v129, v130 dst_sel:BYTE_1 dst_unused:UNUSED_PAD src0_sel:BYTE_1 src1_sel:BYTE_1
	v_sub_u16_sdwa v128, v128, v130 dst_sel:BYTE_1 dst_unused:UNUSED_PAD src0_sel:DWORD src1_sel:BYTE_3
	v_sub_u16_sdwa v129, v129, v130 dst_sel:DWORD dst_unused:UNUSED_PAD src0_sel:WORD_1 src1_sel:WORD_1
	v_or_b32_sdwa v131, v131, v133 dst_sel:DWORD dst_unused:UNUSED_PAD src0_sel:BYTE_0 src1_sel:DWORD
	v_or_b32_sdwa v128, v129, v128 dst_sel:WORD_1 dst_unused:UNUSED_PAD src0_sel:BYTE_0 src1_sel:DWORD
	v_add_u32_e32 v130, s38, v37
	v_or_b32_sdwa v129, v131, v128 dst_sel:DWORD dst_unused:UNUSED_PAD src0_sel:WORD_0 src1_sel:DWORD
	v_add3_u32 v128, v73, s35, v126
	ds_read_b32 v130, v130
	ds_read_u16 v128, v128
	v_mov_b32_e32 v131, 0
	v_dot4c_i32_i8_e32 v131, v132, v6
	v_dot4c_i32_i8_e32 v131, v134, v7
	;; [unrolled: 1-line block ×4, first 2 shown]
	s_waitcnt lgkmcnt(0)
	v_lshrrev_b16_e32 v132, 8, v128
	v_bfe_i32 v128, v128, 0, 8
	v_add_lshl_u32 v133, v39, s36, 2
	v_mul_lo_u32 v128, v131, v128
	v_mov_b32_e32 v131, 0
	v_dot4c_i32_i8_e32 v131, v137, v2
	v_dot4c_i32_i8_e32 v131, v138, v3
	;; [unrolled: 1-line block ×4, first 2 shown]
	v_bfe_i32 v127, v132, 0, 8
                                        ; kill: def $vgpr129 killed $sgpr0 killed $exec
	s_nop 1
	v_mad_u64_u32 v[128:129], s[40:41], v131, v127, v[128:129]
	v_cvt_f32_i32_e32 v128, v128
	v_mul_f32_e32 v127, v125, v130
	v_add_u32_e32 v130, 0x4200, v133
	ds_read2_b32 v[130:131], v130 offset1:1
	v_fmac_f32_e32 v119, v127, v128
	v_add_u32_e32 v127, s37, v41
	ds_read2_b32 v[128:129], v127 offset1:1
	s_waitcnt lgkmcnt(1)
	v_ashrrev_i32_e32 v130, s24, v130
	v_lshlrev_b32_e32 v130, 2, v130
	v_and_b32_e32 v130, 0x4040404, v130
	s_waitcnt lgkmcnt(0)
	v_ashrrev_i32_e32 v128, s3, v128
	v_and_b32_e32 v132, 0x3030303, v128
	v_bfe_u32 v128, v128, 24, 2
	v_sub_u16_e32 v134, v132, v130
	v_sub_u16_sdwa v135, v132, v130 dst_sel:BYTE_1 dst_unused:UNUSED_PAD src0_sel:BYTE_1 src1_sel:BYTE_1
	v_sub_u16_sdwa v128, v128, v130 dst_sel:BYTE_1 dst_unused:UNUSED_PAD src0_sel:DWORD src1_sel:BYTE_3
	v_sub_u16_sdwa v130, v132, v130 dst_sel:DWORD dst_unused:UNUSED_PAD src0_sel:WORD_1 src1_sel:WORD_1
	v_or_b32_sdwa v134, v134, v135 dst_sel:DWORD dst_unused:UNUSED_PAD src0_sel:BYTE_0 src1_sel:DWORD
	v_or_b32_sdwa v128, v130, v128 dst_sel:WORD_1 dst_unused:UNUSED_PAD src0_sel:BYTE_0 src1_sel:DWORD
	v_ashrrev_i32_e32 v130, s24, v131
	v_or_b32_sdwa v132, v134, v128 dst_sel:DWORD dst_unused:UNUSED_PAD src0_sel:WORD_0 src1_sel:DWORD
	v_ashrrev_i32_e32 v128, s3, v129
	v_lshlrev_b32_e32 v130, 2, v130
	v_and_b32_e32 v129, 0x3030303, v128
	v_bfe_u32 v128, v128, 24, 2
	v_and_b32_e32 v130, 0x4040404, v130
	v_sub_u16_e32 v131, v129, v130
	v_sub_u16_sdwa v134, v129, v130 dst_sel:BYTE_1 dst_unused:UNUSED_PAD src0_sel:BYTE_1 src1_sel:BYTE_1
	v_sub_u16_sdwa v128, v128, v130 dst_sel:BYTE_1 dst_unused:UNUSED_PAD src0_sel:DWORD src1_sel:BYTE_3
	v_sub_u16_sdwa v129, v129, v130 dst_sel:DWORD dst_unused:UNUSED_PAD src0_sel:WORD_1 src1_sel:WORD_1
	v_or_b32_sdwa v131, v131, v134 dst_sel:DWORD dst_unused:UNUSED_PAD src0_sel:BYTE_0 src1_sel:DWORD
	v_or_b32_sdwa v128, v129, v128 dst_sel:WORD_1 dst_unused:UNUSED_PAD src0_sel:BYTE_0 src1_sel:DWORD
	v_add_u32_e32 v130, 0x4208, v133
	v_or_b32_sdwa v134, v131, v128 dst_sel:DWORD dst_unused:UNUSED_PAD src0_sel:WORD_0 src1_sel:DWORD
	ds_read2_b32 v[128:129], v127 offset0:2 offset1:3
	ds_read2_b32 v[130:131], v130 offset1:1
	s_waitcnt lgkmcnt(1)
	v_ashrrev_i32_e32 v128, s3, v128
	s_waitcnt lgkmcnt(0)
	v_ashrrev_i32_e32 v130, s24, v130
	v_lshlrev_b32_e32 v130, 2, v130
	v_and_b32_e32 v135, 0x3030303, v128
	v_bfe_u32 v128, v128, 24, 2
	v_and_b32_e32 v130, 0x4040404, v130
	v_sub_u16_e32 v136, v135, v130
	v_sub_u16_sdwa v137, v135, v130 dst_sel:BYTE_1 dst_unused:UNUSED_PAD src0_sel:BYTE_1 src1_sel:BYTE_1
	v_sub_u16_sdwa v128, v128, v130 dst_sel:BYTE_1 dst_unused:UNUSED_PAD src0_sel:DWORD src1_sel:BYTE_3
	v_sub_u16_sdwa v130, v135, v130 dst_sel:DWORD dst_unused:UNUSED_PAD src0_sel:WORD_1 src1_sel:WORD_1
	v_or_b32_sdwa v136, v136, v137 dst_sel:DWORD dst_unused:UNUSED_PAD src0_sel:BYTE_0 src1_sel:DWORD
	v_or_b32_sdwa v128, v130, v128 dst_sel:WORD_1 dst_unused:UNUSED_PAD src0_sel:BYTE_0 src1_sel:DWORD
	v_ashrrev_i32_e32 v130, s24, v131
	v_or_b32_sdwa v135, v136, v128 dst_sel:DWORD dst_unused:UNUSED_PAD src0_sel:WORD_0 src1_sel:DWORD
	v_ashrrev_i32_e32 v128, s3, v129
	v_lshlrev_b32_e32 v130, 2, v130
	v_and_b32_e32 v129, 0x3030303, v128
	v_bfe_u32 v128, v128, 24, 2
	v_and_b32_e32 v130, 0x4040404, v130
	v_sub_u16_e32 v131, v129, v130
	v_sub_u16_sdwa v136, v129, v130 dst_sel:BYTE_1 dst_unused:UNUSED_PAD src0_sel:BYTE_1 src1_sel:BYTE_1
	v_sub_u16_sdwa v128, v128, v130 dst_sel:BYTE_1 dst_unused:UNUSED_PAD src0_sel:DWORD src1_sel:BYTE_3
	v_sub_u16_sdwa v129, v129, v130 dst_sel:DWORD dst_unused:UNUSED_PAD src0_sel:WORD_1 src1_sel:WORD_1
	v_or_b32_sdwa v131, v131, v136 dst_sel:DWORD dst_unused:UNUSED_PAD src0_sel:BYTE_0 src1_sel:DWORD
	v_or_b32_sdwa v128, v129, v128 dst_sel:WORD_1 dst_unused:UNUSED_PAD src0_sel:BYTE_0 src1_sel:DWORD
	v_add_u32_e32 v130, 0x4210, v133
	v_or_b32_sdwa v136, v131, v128 dst_sel:DWORD dst_unused:UNUSED_PAD src0_sel:WORD_0 src1_sel:DWORD
	ds_read2_b32 v[128:129], v127 offset0:4 offset1:5
	ds_read2_b32 v[130:131], v130 offset1:1
	s_waitcnt lgkmcnt(1)
	v_ashrrev_i32_e32 v128, s3, v128
	s_waitcnt lgkmcnt(0)
	v_ashrrev_i32_e32 v130, s24, v130
	v_lshlrev_b32_e32 v130, 2, v130
	v_and_b32_e32 v137, 0x3030303, v128
	v_bfe_u32 v128, v128, 24, 2
	v_and_b32_e32 v130, 0x4040404, v130
	;; [unrolled: 31-line block ×3, first 2 shown]
	v_sub_u16_e32 v133, v128, v130
	v_sub_u16_sdwa v139, v128, v130 dst_sel:BYTE_1 dst_unused:UNUSED_PAD src0_sel:BYTE_1 src1_sel:BYTE_1
	v_sub_u16_sdwa v127, v127, v130 dst_sel:BYTE_1 dst_unused:UNUSED_PAD src0_sel:DWORD src1_sel:BYTE_3
	v_sub_u16_sdwa v128, v128, v130 dst_sel:DWORD dst_unused:UNUSED_PAD src0_sel:WORD_1 src1_sel:WORD_1
	v_ashrrev_i32_e32 v130, s24, v131
	v_or_b32_sdwa v127, v128, v127 dst_sel:WORD_1 dst_unused:UNUSED_PAD src0_sel:BYTE_0 src1_sel:DWORD
	v_ashrrev_i32_e32 v128, s3, v129
	v_lshlrev_b32_e32 v130, 2, v130
	v_or_b32_sdwa v133, v133, v139 dst_sel:DWORD dst_unused:UNUSED_PAD src0_sel:BYTE_0 src1_sel:DWORD
	v_and_b32_e32 v129, 0x3030303, v128
	v_bfe_u32 v128, v128, 24, 2
	v_and_b32_e32 v130, 0x4040404, v130
	v_or_b32_sdwa v127, v133, v127 dst_sel:DWORD dst_unused:UNUSED_PAD src0_sel:WORD_0 src1_sel:DWORD
	v_sub_u16_e32 v131, v129, v130
	v_sub_u16_sdwa v133, v129, v130 dst_sel:BYTE_1 dst_unused:UNUSED_PAD src0_sel:BYTE_1 src1_sel:BYTE_1
	v_sub_u16_sdwa v128, v128, v130 dst_sel:BYTE_1 dst_unused:UNUSED_PAD src0_sel:DWORD src1_sel:BYTE_3
	v_sub_u16_sdwa v129, v129, v130 dst_sel:DWORD dst_unused:UNUSED_PAD src0_sel:WORD_1 src1_sel:WORD_1
	v_or_b32_sdwa v131, v131, v133 dst_sel:DWORD dst_unused:UNUSED_PAD src0_sel:BYTE_0 src1_sel:DWORD
	v_or_b32_sdwa v128, v129, v128 dst_sel:WORD_1 dst_unused:UNUSED_PAD src0_sel:BYTE_0 src1_sel:DWORD
	v_add_u32_e32 v130, s38, v43
	v_or_b32_sdwa v129, v131, v128 dst_sel:DWORD dst_unused:UNUSED_PAD src0_sel:WORD_0 src1_sel:DWORD
	v_add3_u32 v128, v71, s35, v126
	ds_read_b32 v130, v130
	ds_read_u16 v128, v128
	v_mov_b32_e32 v131, 0
	v_dot4c_i32_i8_e32 v131, v132, v6
	v_dot4c_i32_i8_e32 v131, v134, v7
	;; [unrolled: 1-line block ×4, first 2 shown]
	s_waitcnt lgkmcnt(0)
	v_lshrrev_b16_e32 v132, 8, v128
	v_bfe_i32 v128, v128, 0, 8
	v_add_lshl_u32 v133, v45, s36, 2
	v_mul_lo_u32 v128, v131, v128
	v_mov_b32_e32 v131, 0
	v_dot4c_i32_i8_e32 v131, v137, v2
	v_dot4c_i32_i8_e32 v131, v138, v3
	v_dot4c_i32_i8_e32 v131, v127, v4
	v_dot4c_i32_i8_e32 v131, v129, v5
	v_bfe_i32 v127, v132, 0, 8
                                        ; kill: def $vgpr129 killed $sgpr0 killed $exec
	v_add3_u32 v126, v69, s35, v126
	s_nop 0
	v_mad_u64_u32 v[128:129], s[40:41], v131, v127, v[128:129]
	v_cvt_f32_i32_e32 v128, v128
	v_mul_f32_e32 v127, v125, v130
	v_add_u32_e32 v130, 0x4200, v133
	ds_read2_b32 v[130:131], v130 offset1:1
	v_fmac_f32_e32 v120, v127, v128
	v_add_u32_e32 v127, s37, v47
	ds_read2_b32 v[128:129], v127 offset1:1
	s_waitcnt lgkmcnt(1)
	v_ashrrev_i32_e32 v130, s24, v130
	v_lshlrev_b32_e32 v130, 2, v130
	v_and_b32_e32 v130, 0x4040404, v130
	s_waitcnt lgkmcnt(0)
	v_ashrrev_i32_e32 v128, s3, v128
	v_and_b32_e32 v132, 0x3030303, v128
	v_bfe_u32 v128, v128, 24, 2
	v_sub_u16_e32 v134, v132, v130
	v_sub_u16_sdwa v135, v132, v130 dst_sel:BYTE_1 dst_unused:UNUSED_PAD src0_sel:BYTE_1 src1_sel:BYTE_1
	v_sub_u16_sdwa v128, v128, v130 dst_sel:BYTE_1 dst_unused:UNUSED_PAD src0_sel:DWORD src1_sel:BYTE_3
	v_sub_u16_sdwa v130, v132, v130 dst_sel:DWORD dst_unused:UNUSED_PAD src0_sel:WORD_1 src1_sel:WORD_1
	v_or_b32_sdwa v134, v134, v135 dst_sel:DWORD dst_unused:UNUSED_PAD src0_sel:BYTE_0 src1_sel:DWORD
	v_or_b32_sdwa v128, v130, v128 dst_sel:WORD_1 dst_unused:UNUSED_PAD src0_sel:BYTE_0 src1_sel:DWORD
	v_ashrrev_i32_e32 v130, s24, v131
	v_or_b32_sdwa v132, v134, v128 dst_sel:DWORD dst_unused:UNUSED_PAD src0_sel:WORD_0 src1_sel:DWORD
	v_ashrrev_i32_e32 v128, s3, v129
	v_lshlrev_b32_e32 v130, 2, v130
	v_and_b32_e32 v129, 0x3030303, v128
	v_bfe_u32 v128, v128, 24, 2
	v_and_b32_e32 v130, 0x4040404, v130
	v_sub_u16_e32 v131, v129, v130
	v_sub_u16_sdwa v134, v129, v130 dst_sel:BYTE_1 dst_unused:UNUSED_PAD src0_sel:BYTE_1 src1_sel:BYTE_1
	v_sub_u16_sdwa v128, v128, v130 dst_sel:BYTE_1 dst_unused:UNUSED_PAD src0_sel:DWORD src1_sel:BYTE_3
	v_sub_u16_sdwa v129, v129, v130 dst_sel:DWORD dst_unused:UNUSED_PAD src0_sel:WORD_1 src1_sel:WORD_1
	v_or_b32_sdwa v131, v131, v134 dst_sel:DWORD dst_unused:UNUSED_PAD src0_sel:BYTE_0 src1_sel:DWORD
	v_or_b32_sdwa v128, v129, v128 dst_sel:WORD_1 dst_unused:UNUSED_PAD src0_sel:BYTE_0 src1_sel:DWORD
	v_add_u32_e32 v130, 0x4208, v133
	v_or_b32_sdwa v134, v131, v128 dst_sel:DWORD dst_unused:UNUSED_PAD src0_sel:WORD_0 src1_sel:DWORD
	ds_read2_b32 v[128:129], v127 offset0:2 offset1:3
	ds_read2_b32 v[130:131], v130 offset1:1
	s_waitcnt lgkmcnt(1)
	v_ashrrev_i32_e32 v128, s3, v128
	s_waitcnt lgkmcnt(0)
	v_ashrrev_i32_e32 v130, s24, v130
	v_lshlrev_b32_e32 v130, 2, v130
	v_and_b32_e32 v135, 0x3030303, v128
	v_bfe_u32 v128, v128, 24, 2
	v_and_b32_e32 v130, 0x4040404, v130
	v_sub_u16_e32 v136, v135, v130
	v_sub_u16_sdwa v137, v135, v130 dst_sel:BYTE_1 dst_unused:UNUSED_PAD src0_sel:BYTE_1 src1_sel:BYTE_1
	v_sub_u16_sdwa v128, v128, v130 dst_sel:BYTE_1 dst_unused:UNUSED_PAD src0_sel:DWORD src1_sel:BYTE_3
	v_sub_u16_sdwa v130, v135, v130 dst_sel:DWORD dst_unused:UNUSED_PAD src0_sel:WORD_1 src1_sel:WORD_1
	v_or_b32_sdwa v136, v136, v137 dst_sel:DWORD dst_unused:UNUSED_PAD src0_sel:BYTE_0 src1_sel:DWORD
	v_or_b32_sdwa v128, v130, v128 dst_sel:WORD_1 dst_unused:UNUSED_PAD src0_sel:BYTE_0 src1_sel:DWORD
	v_ashrrev_i32_e32 v130, s24, v131
	v_or_b32_sdwa v135, v136, v128 dst_sel:DWORD dst_unused:UNUSED_PAD src0_sel:WORD_0 src1_sel:DWORD
	v_ashrrev_i32_e32 v128, s3, v129
	v_lshlrev_b32_e32 v130, 2, v130
	v_and_b32_e32 v129, 0x3030303, v128
	v_bfe_u32 v128, v128, 24, 2
	v_and_b32_e32 v130, 0x4040404, v130
	v_sub_u16_e32 v131, v129, v130
	v_sub_u16_sdwa v136, v129, v130 dst_sel:BYTE_1 dst_unused:UNUSED_PAD src0_sel:BYTE_1 src1_sel:BYTE_1
	v_sub_u16_sdwa v128, v128, v130 dst_sel:BYTE_1 dst_unused:UNUSED_PAD src0_sel:DWORD src1_sel:BYTE_3
	v_sub_u16_sdwa v129, v129, v130 dst_sel:DWORD dst_unused:UNUSED_PAD src0_sel:WORD_1 src1_sel:WORD_1
	v_or_b32_sdwa v131, v131, v136 dst_sel:DWORD dst_unused:UNUSED_PAD src0_sel:BYTE_0 src1_sel:DWORD
	v_or_b32_sdwa v128, v129, v128 dst_sel:WORD_1 dst_unused:UNUSED_PAD src0_sel:BYTE_0 src1_sel:DWORD
	v_add_u32_e32 v130, 0x4210, v133
	v_or_b32_sdwa v136, v131, v128 dst_sel:DWORD dst_unused:UNUSED_PAD src0_sel:WORD_0 src1_sel:DWORD
	ds_read2_b32 v[128:129], v127 offset0:4 offset1:5
	ds_read2_b32 v[130:131], v130 offset1:1
	s_waitcnt lgkmcnt(1)
	v_ashrrev_i32_e32 v128, s3, v128
	s_waitcnt lgkmcnt(0)
	v_ashrrev_i32_e32 v130, s24, v130
	v_lshlrev_b32_e32 v130, 2, v130
	v_and_b32_e32 v137, 0x3030303, v128
	v_bfe_u32 v128, v128, 24, 2
	v_and_b32_e32 v130, 0x4040404, v130
	;; [unrolled: 31-line block ×3, first 2 shown]
	v_sub_u16_e32 v133, v128, v130
	v_sub_u16_sdwa v139, v128, v130 dst_sel:BYTE_1 dst_unused:UNUSED_PAD src0_sel:BYTE_1 src1_sel:BYTE_1
	v_sub_u16_sdwa v127, v127, v130 dst_sel:BYTE_1 dst_unused:UNUSED_PAD src0_sel:DWORD src1_sel:BYTE_3
	v_sub_u16_sdwa v128, v128, v130 dst_sel:DWORD dst_unused:UNUSED_PAD src0_sel:WORD_1 src1_sel:WORD_1
	v_ashrrev_i32_e32 v130, s24, v131
	v_or_b32_sdwa v127, v128, v127 dst_sel:WORD_1 dst_unused:UNUSED_PAD src0_sel:BYTE_0 src1_sel:DWORD
	v_ashrrev_i32_e32 v128, s3, v129
	v_lshlrev_b32_e32 v130, 2, v130
	v_or_b32_sdwa v133, v133, v139 dst_sel:DWORD dst_unused:UNUSED_PAD src0_sel:BYTE_0 src1_sel:DWORD
	v_and_b32_e32 v129, 0x3030303, v128
	v_bfe_u32 v128, v128, 24, 2
	v_and_b32_e32 v130, 0x4040404, v130
	v_or_b32_sdwa v127, v133, v127 dst_sel:DWORD dst_unused:UNUSED_PAD src0_sel:WORD_0 src1_sel:DWORD
	v_sub_u16_e32 v131, v129, v130
	v_sub_u16_sdwa v133, v129, v130 dst_sel:BYTE_1 dst_unused:UNUSED_PAD src0_sel:BYTE_1 src1_sel:BYTE_1
	v_sub_u16_sdwa v128, v128, v130 dst_sel:BYTE_1 dst_unused:UNUSED_PAD src0_sel:DWORD src1_sel:BYTE_3
	v_sub_u16_sdwa v129, v129, v130 dst_sel:DWORD dst_unused:UNUSED_PAD src0_sel:WORD_1 src1_sel:WORD_1
	v_or_b32_sdwa v128, v129, v128 dst_sel:WORD_1 dst_unused:UNUSED_PAD src0_sel:BYTE_0 src1_sel:DWORD
	v_add_u32_e32 v129, s38, v49
	v_mov_b32_e32 v130, 0
	ds_read_b32 v129, v129
	v_dot4c_i32_i8_e32 v130, v132, v6
	ds_read_u16 v6, v126
	v_dot4c_i32_i8_e32 v130, v134, v7
	v_dot4c_i32_i8_e32 v130, v135, v8
	v_mov_b32_e32 v8, 0
	v_dot4c_i32_i8_e32 v8, v137, v2
	v_or_b32_sdwa v131, v131, v133 dst_sel:DWORD dst_unused:UNUSED_PAD src0_sel:BYTE_0 src1_sel:DWORD
	v_dot4c_i32_i8_e32 v8, v138, v3
	v_or_b32_sdwa v128, v131, v128 dst_sel:DWORD dst_unused:UNUSED_PAD src0_sel:WORD_0 src1_sel:DWORD
	v_dot4c_i32_i8_e32 v130, v136, v9
	s_waitcnt lgkmcnt(0)
	v_lshrrev_b16_e32 v7, 8, v6
	v_bfe_i32 v6, v6, 0, 8
	v_dot4c_i32_i8_e32 v8, v127, v4
	v_mul_lo_u32 v6, v130, v6
	v_dot4c_i32_i8_e32 v8, v128, v5
	v_bfe_i32 v2, v7, 0, 8
	s_add_i32 s3, s3, 2
	s_add_i32 s24, s24, 1
	v_mad_u64_u32 v[2:3], s[36:37], v8, v2, v[6:7]
	v_cvt_f32_i32_e32 v2, v2
	v_mul_f32_e32 v3, v125, v129
	s_cmp_lt_u32 s25, 14
	v_fmac_f32_e32 v121, v3, v2
	s_cbranch_scc1 .LBB210_20
; %bb.21:                               ;   in Loop: Header=BB210_5 Depth=1
	s_or_b32 s2, s34, 0x100
	s_cmp_ge_i32 s2, s5
	s_barrier
	s_cbranch_scc1 .LBB210_4
; %bb.22:                               ;   in Loop: Header=BB210_5 Depth=1
	v_add_u32_e32 v2, s33, v53
	v_cmp_gt_i32_e64 s[2:3], s8, v2
	s_and_b64 s[24:25], s[0:1], s[2:3]
	s_and_saveexec_b64 s[2:3], s[24:25]
	s_cbranch_execz .LBB210_24
; %bb.23:                               ;   in Loop: Header=BB210_5 Depth=1
	v_add_u32_e32 v2, v116, v2
	v_mad_i64_i32 v[2:3], s[24:25], v2, 36, v[114:115]
	global_load_dword v2, v[2:3], off offset:4
	s_waitcnt vmcnt(0)
	ds_write_b32 v21, v2
.LBB210_24:                             ;   in Loop: Header=BB210_5 Depth=1
	s_or_b64 exec, exec, s[2:3]
	s_and_saveexec_b64 s[24:25], vcc
	s_cbranch_execz .LBB210_27
; %bb.25:                               ;   in Loop: Header=BB210_5 Depth=1
	v_or_b32_e32 v2, s33, v11
	v_or_b32_e32 v3, 8, v2
	v_cmp_gt_i32_e64 s[2:3], s8, v3
	s_and_b64 s[2:3], s[0:1], s[2:3]
	s_and_b64 exec, exec, s[2:3]
	s_cbranch_execz .LBB210_27
; %bb.26:                               ;   in Loop: Header=BB210_5 Depth=1
	v_ashrrev_i32_e32 v3, 31, v2
	v_lshl_add_u64 v[2:3], v[116:117], 0, v[2:3]
	v_mad_u64_u32 v[4:5], s[2:3], v2, 36, s[18:19]
	v_mad_i32_i24 v5, v3, 36, v5
	global_load_dword v2, v[4:5], off
	s_waitcnt vmcnt(0)
	v_cvt_f32_f16_e32 v2, v2
	ds_write_b32 v23, v2
.LBB210_27:                             ;   in Loop: Header=BB210_5 Depth=1
	s_or_b64 exec, exec, s[24:25]
	s_mov_b32 s2, 16
	s_mov_b32 s36, 14
	;; [unrolled: 1-line block ×3, first 2 shown]
	v_mov_b32_e32 v123, v65
	v_mov_b32_e32 v124, v67
	s_waitcnt lgkmcnt(0)
	s_barrier
.LBB210_28:                             ;   Parent Loop BB210_5 Depth=1
                                        ; =>  This Inner Loop Header: Depth=2
	s_add_i32 s24, s36, 2
	s_lshr_b32 s39, s24, 4
	s_and_b32 s37, s24, 0x3ffffff8
	s_lshl_b32 s35, s39, 3
	s_lshl_b32 s37, s37, 2
	v_add_lshl_u32 v132, v27, s35, 2
	v_add_u32_e32 v130, s37, v29
	v_add_u32_e32 v128, 0x4200, v132
	ds_read_b32 v125, v124
	ds_read_b128 v[6:9], v123
	ds_read_b128 v[2:5], v123 offset:16
	ds_read2_b32 v[126:127], v130 offset1:1
	ds_read2_b32 v[128:129], v128 offset1:1
	s_add_i32 s25, s36, -14
	s_and_b32 s38, s2, -16
	s_add_i32 s36, s36, s38
	s_waitcnt lgkmcnt(1)
	v_ashrrev_i32_e32 v126, s25, v126
	s_waitcnt lgkmcnt(0)
	v_ashrrev_i32_e32 v128, s3, v128
	v_lshlrev_b32_e32 v128, 2, v128
	v_and_b32_e32 v131, 0x3030303, v126
	v_bfe_u32 v126, v126, 24, 2
	v_and_b32_e32 v128, 0x4040404, v128
	v_sub_u16_e32 v133, v131, v128
	v_sub_u16_sdwa v134, v131, v128 dst_sel:BYTE_1 dst_unused:UNUSED_PAD src0_sel:BYTE_1 src1_sel:BYTE_1
	v_sub_u16_sdwa v126, v126, v128 dst_sel:BYTE_1 dst_unused:UNUSED_PAD src0_sel:DWORD src1_sel:BYTE_3
	v_sub_u16_sdwa v128, v131, v128 dst_sel:DWORD dst_unused:UNUSED_PAD src0_sel:WORD_1 src1_sel:WORD_1
	v_or_b32_sdwa v133, v133, v134 dst_sel:DWORD dst_unused:UNUSED_PAD src0_sel:BYTE_0 src1_sel:DWORD
	v_or_b32_sdwa v126, v128, v126 dst_sel:WORD_1 dst_unused:UNUSED_PAD src0_sel:BYTE_0 src1_sel:DWORD
	v_ashrrev_i32_e32 v128, s3, v129
	v_or_b32_sdwa v131, v133, v126 dst_sel:DWORD dst_unused:UNUSED_PAD src0_sel:WORD_0 src1_sel:DWORD
	v_ashrrev_i32_e32 v126, s25, v127
	v_lshlrev_b32_e32 v128, 2, v128
	v_and_b32_e32 v127, 0x3030303, v126
	v_bfe_u32 v126, v126, 24, 2
	v_and_b32_e32 v128, 0x4040404, v128
	v_sub_u16_e32 v129, v127, v128
	v_sub_u16_sdwa v133, v127, v128 dst_sel:BYTE_1 dst_unused:UNUSED_PAD src0_sel:BYTE_1 src1_sel:BYTE_1
	v_sub_u16_sdwa v126, v126, v128 dst_sel:BYTE_1 dst_unused:UNUSED_PAD src0_sel:DWORD src1_sel:BYTE_3
	v_sub_u16_sdwa v127, v127, v128 dst_sel:DWORD dst_unused:UNUSED_PAD src0_sel:WORD_1 src1_sel:WORD_1
	v_or_b32_sdwa v129, v129, v133 dst_sel:DWORD dst_unused:UNUSED_PAD src0_sel:BYTE_0 src1_sel:DWORD
	v_or_b32_sdwa v126, v127, v126 dst_sel:WORD_1 dst_unused:UNUSED_PAD src0_sel:BYTE_0 src1_sel:DWORD
	v_add_u32_e32 v128, 0x4208, v132
	v_or_b32_sdwa v133, v129, v126 dst_sel:DWORD dst_unused:UNUSED_PAD src0_sel:WORD_0 src1_sel:DWORD
	ds_read2_b32 v[126:127], v130 offset0:2 offset1:3
	ds_read2_b32 v[128:129], v128 offset1:1
	s_lshl_b32 s38, s39, 2
	s_add_i32 s2, s2, 2
	v_add_u32_e32 v124, 4, v124
	s_waitcnt lgkmcnt(1)
	v_ashrrev_i32_e32 v126, s25, v126
	s_waitcnt lgkmcnt(0)
	v_ashrrev_i32_e32 v128, s3, v128
	v_lshlrev_b32_e32 v128, 2, v128
	v_and_b32_e32 v134, 0x3030303, v126
	v_bfe_u32 v126, v126, 24, 2
	v_and_b32_e32 v128, 0x4040404, v128
	v_sub_u16_e32 v135, v134, v128
	v_sub_u16_sdwa v136, v134, v128 dst_sel:BYTE_1 dst_unused:UNUSED_PAD src0_sel:BYTE_1 src1_sel:BYTE_1
	v_sub_u16_sdwa v126, v126, v128 dst_sel:BYTE_1 dst_unused:UNUSED_PAD src0_sel:DWORD src1_sel:BYTE_3
	v_sub_u16_sdwa v128, v134, v128 dst_sel:DWORD dst_unused:UNUSED_PAD src0_sel:WORD_1 src1_sel:WORD_1
	v_or_b32_sdwa v135, v135, v136 dst_sel:DWORD dst_unused:UNUSED_PAD src0_sel:BYTE_0 src1_sel:DWORD
	v_or_b32_sdwa v126, v128, v126 dst_sel:WORD_1 dst_unused:UNUSED_PAD src0_sel:BYTE_0 src1_sel:DWORD
	v_ashrrev_i32_e32 v128, s3, v129
	v_or_b32_sdwa v134, v135, v126 dst_sel:DWORD dst_unused:UNUSED_PAD src0_sel:WORD_0 src1_sel:DWORD
	v_ashrrev_i32_e32 v126, s25, v127
	v_lshlrev_b32_e32 v128, 2, v128
	v_and_b32_e32 v127, 0x3030303, v126
	v_bfe_u32 v126, v126, 24, 2
	v_and_b32_e32 v128, 0x4040404, v128
	v_sub_u16_e32 v129, v127, v128
	v_sub_u16_sdwa v135, v127, v128 dst_sel:BYTE_1 dst_unused:UNUSED_PAD src0_sel:BYTE_1 src1_sel:BYTE_1
	v_sub_u16_sdwa v126, v126, v128 dst_sel:BYTE_1 dst_unused:UNUSED_PAD src0_sel:DWORD src1_sel:BYTE_3
	v_sub_u16_sdwa v127, v127, v128 dst_sel:DWORD dst_unused:UNUSED_PAD src0_sel:WORD_1 src1_sel:WORD_1
	v_or_b32_sdwa v129, v129, v135 dst_sel:DWORD dst_unused:UNUSED_PAD src0_sel:BYTE_0 src1_sel:DWORD
	v_or_b32_sdwa v126, v127, v126 dst_sel:WORD_1 dst_unused:UNUSED_PAD src0_sel:BYTE_0 src1_sel:DWORD
	v_add_u32_e32 v128, 0x4210, v132
	v_or_b32_sdwa v135, v129, v126 dst_sel:DWORD dst_unused:UNUSED_PAD src0_sel:WORD_0 src1_sel:DWORD
	ds_read2_b32 v[126:127], v130 offset0:4 offset1:5
	ds_read2_b32 v[128:129], v128 offset1:1
	v_add_u32_e32 v123, 32, v123
	s_waitcnt lgkmcnt(1)
	v_ashrrev_i32_e32 v126, s25, v126
	s_waitcnt lgkmcnt(0)
	v_ashrrev_i32_e32 v128, s3, v128
	v_lshlrev_b32_e32 v128, 2, v128
	v_and_b32_e32 v136, 0x3030303, v126
	v_bfe_u32 v126, v126, 24, 2
	v_and_b32_e32 v128, 0x4040404, v128
	v_sub_u16_e32 v137, v136, v128
	v_sub_u16_sdwa v138, v136, v128 dst_sel:BYTE_1 dst_unused:UNUSED_PAD src0_sel:BYTE_1 src1_sel:BYTE_1
	v_sub_u16_sdwa v126, v126, v128 dst_sel:BYTE_1 dst_unused:UNUSED_PAD src0_sel:DWORD src1_sel:BYTE_3
	v_sub_u16_sdwa v128, v136, v128 dst_sel:DWORD dst_unused:UNUSED_PAD src0_sel:WORD_1 src1_sel:WORD_1
	v_or_b32_sdwa v137, v137, v138 dst_sel:DWORD dst_unused:UNUSED_PAD src0_sel:BYTE_0 src1_sel:DWORD
	v_or_b32_sdwa v126, v128, v126 dst_sel:WORD_1 dst_unused:UNUSED_PAD src0_sel:BYTE_0 src1_sel:DWORD
	v_ashrrev_i32_e32 v128, s3, v129
	v_or_b32_sdwa v136, v137, v126 dst_sel:DWORD dst_unused:UNUSED_PAD src0_sel:WORD_0 src1_sel:DWORD
	v_ashrrev_i32_e32 v126, s25, v127
	v_lshlrev_b32_e32 v128, 2, v128
	v_and_b32_e32 v127, 0x3030303, v126
	v_bfe_u32 v126, v126, 24, 2
	v_and_b32_e32 v128, 0x4040404, v128
	v_sub_u16_e32 v129, v127, v128
	v_sub_u16_sdwa v137, v127, v128 dst_sel:BYTE_1 dst_unused:UNUSED_PAD src0_sel:BYTE_1 src1_sel:BYTE_1
	v_sub_u16_sdwa v126, v126, v128 dst_sel:BYTE_1 dst_unused:UNUSED_PAD src0_sel:DWORD src1_sel:BYTE_3
	v_sub_u16_sdwa v127, v127, v128 dst_sel:DWORD dst_unused:UNUSED_PAD src0_sel:WORD_1 src1_sel:WORD_1
	v_or_b32_sdwa v129, v129, v137 dst_sel:DWORD dst_unused:UNUSED_PAD src0_sel:BYTE_0 src1_sel:DWORD
	v_or_b32_sdwa v126, v127, v126 dst_sel:WORD_1 dst_unused:UNUSED_PAD src0_sel:BYTE_0 src1_sel:DWORD
	v_add_u32_e32 v128, 0x4218, v132
	v_or_b32_sdwa v137, v129, v126 dst_sel:DWORD dst_unused:UNUSED_PAD src0_sel:WORD_0 src1_sel:DWORD
	ds_read2_b32 v[126:127], v130 offset0:6 offset1:7
	ds_read2_b32 v[128:129], v128 offset1:1
	s_waitcnt lgkmcnt(1)
	v_ashrrev_i32_e32 v126, s25, v126
	s_waitcnt lgkmcnt(0)
	v_ashrrev_i32_e32 v128, s3, v128
	v_lshlrev_b32_e32 v128, 2, v128
	v_and_b32_e32 v130, 0x3030303, v126
	v_bfe_u32 v126, v126, 24, 2
	v_and_b32_e32 v128, 0x4040404, v128
	v_sub_u16_e32 v132, v130, v128
	v_sub_u16_sdwa v138, v130, v128 dst_sel:BYTE_1 dst_unused:UNUSED_PAD src0_sel:BYTE_1 src1_sel:BYTE_1
	v_sub_u16_sdwa v126, v126, v128 dst_sel:BYTE_1 dst_unused:UNUSED_PAD src0_sel:DWORD src1_sel:BYTE_3
	v_sub_u16_sdwa v128, v130, v128 dst_sel:DWORD dst_unused:UNUSED_PAD src0_sel:WORD_1 src1_sel:WORD_1
	v_or_b32_sdwa v132, v132, v138 dst_sel:DWORD dst_unused:UNUSED_PAD src0_sel:BYTE_0 src1_sel:DWORD
	v_or_b32_sdwa v126, v128, v126 dst_sel:WORD_1 dst_unused:UNUSED_PAD src0_sel:BYTE_0 src1_sel:DWORD
	v_ashrrev_i32_e32 v129, s3, v129
	v_or_b32_sdwa v128, v132, v126 dst_sel:DWORD dst_unused:UNUSED_PAD src0_sel:WORD_0 src1_sel:DWORD
	v_ashrrev_i32_e32 v126, s25, v127
	v_lshlrev_b32_e32 v129, 2, v129
	v_and_b32_e32 v127, 0x3030303, v126
	v_bfe_u32 v126, v126, 24, 2
	v_and_b32_e32 v129, 0x4040404, v129
	v_sub_u16_e32 v130, v127, v129
	v_sub_u16_sdwa v132, v127, v129 dst_sel:BYTE_1 dst_unused:UNUSED_PAD src0_sel:BYTE_1 src1_sel:BYTE_1
	v_sub_u16_sdwa v126, v126, v129 dst_sel:BYTE_1 dst_unused:UNUSED_PAD src0_sel:DWORD src1_sel:BYTE_3
	v_sub_u16_sdwa v127, v127, v129 dst_sel:DWORD dst_unused:UNUSED_PAD src0_sel:WORD_1 src1_sel:WORD_1
	v_or_b32_sdwa v130, v130, v132 dst_sel:DWORD dst_unused:UNUSED_PAD src0_sel:BYTE_0 src1_sel:DWORD
	v_or_b32_sdwa v126, v127, v126 dst_sel:WORD_1 dst_unused:UNUSED_PAD src0_sel:BYTE_0 src1_sel:DWORD
	v_add_u32_e32 v129, s38, v31
	v_or_b32_sdwa v127, v130, v126 dst_sel:DWORD dst_unused:UNUSED_PAD src0_sel:WORD_0 src1_sel:DWORD
	v_add_u32_e32 v126, s36, v83
	ds_read_b32 v129, v129
	ds_read_u16 v126, v126 offset:25330
	v_mov_b32_e32 v130, 0
	v_dot4c_i32_i8_e32 v130, v131, v6
	v_dot4c_i32_i8_e32 v130, v133, v7
	;; [unrolled: 1-line block ×4, first 2 shown]
	s_waitcnt lgkmcnt(0)
	v_lshrrev_b16_e32 v131, 8, v126
	v_bfe_i32 v126, v126, 0, 8
	v_add_lshl_u32 v132, v33, s35, 2
	v_mul_lo_u32 v126, v130, v126
	v_mov_b32_e32 v130, 0
	v_dot4c_i32_i8_e32 v130, v136, v2
	v_dot4c_i32_i8_e32 v130, v137, v3
	;; [unrolled: 1-line block ×4, first 2 shown]
	v_bfe_i32 v127, v131, 0, 8
	v_add_u32_e32 v128, 0x4200, v132
	s_nop 0
	v_mad_u64_u32 v[126:127], s[40:41], v130, v127, v[126:127]
	v_cvt_f32_i32_e32 v126, v126
	v_mul_f32_e32 v127, v125, v129
	v_add_u32_e32 v130, s37, v35
	ds_read2_b32 v[128:129], v128 offset1:1
	v_fmac_f32_e32 v118, v127, v126
	ds_read2_b32 v[126:127], v130 offset1:1
	s_waitcnt lgkmcnt(1)
	v_ashrrev_i32_e32 v128, s3, v128
	v_lshlrev_b32_e32 v128, 2, v128
	s_waitcnt lgkmcnt(0)
	v_ashrrev_i32_e32 v126, s25, v126
	v_and_b32_e32 v131, 0x3030303, v126
	v_bfe_u32 v126, v126, 24, 2
	v_and_b32_e32 v128, 0x4040404, v128
	v_sub_u16_e32 v133, v131, v128
	v_sub_u16_sdwa v134, v131, v128 dst_sel:BYTE_1 dst_unused:UNUSED_PAD src0_sel:BYTE_1 src1_sel:BYTE_1
	v_sub_u16_sdwa v126, v126, v128 dst_sel:BYTE_1 dst_unused:UNUSED_PAD src0_sel:DWORD src1_sel:BYTE_3
	v_sub_u16_sdwa v128, v131, v128 dst_sel:DWORD dst_unused:UNUSED_PAD src0_sel:WORD_1 src1_sel:WORD_1
	v_or_b32_sdwa v133, v133, v134 dst_sel:DWORD dst_unused:UNUSED_PAD src0_sel:BYTE_0 src1_sel:DWORD
	v_or_b32_sdwa v126, v128, v126 dst_sel:WORD_1 dst_unused:UNUSED_PAD src0_sel:BYTE_0 src1_sel:DWORD
	v_ashrrev_i32_e32 v128, s3, v129
	v_or_b32_sdwa v131, v133, v126 dst_sel:DWORD dst_unused:UNUSED_PAD src0_sel:WORD_0 src1_sel:DWORD
	v_ashrrev_i32_e32 v126, s25, v127
	v_lshlrev_b32_e32 v128, 2, v128
	v_and_b32_e32 v127, 0x3030303, v126
	v_bfe_u32 v126, v126, 24, 2
	v_and_b32_e32 v128, 0x4040404, v128
	v_sub_u16_e32 v129, v127, v128
	v_sub_u16_sdwa v133, v127, v128 dst_sel:BYTE_1 dst_unused:UNUSED_PAD src0_sel:BYTE_1 src1_sel:BYTE_1
	v_sub_u16_sdwa v126, v126, v128 dst_sel:BYTE_1 dst_unused:UNUSED_PAD src0_sel:DWORD src1_sel:BYTE_3
	v_sub_u16_sdwa v127, v127, v128 dst_sel:DWORD dst_unused:UNUSED_PAD src0_sel:WORD_1 src1_sel:WORD_1
	v_or_b32_sdwa v129, v129, v133 dst_sel:DWORD dst_unused:UNUSED_PAD src0_sel:BYTE_0 src1_sel:DWORD
	v_or_b32_sdwa v126, v127, v126 dst_sel:WORD_1 dst_unused:UNUSED_PAD src0_sel:BYTE_0 src1_sel:DWORD
	v_add_u32_e32 v128, 0x4208, v132
	v_or_b32_sdwa v133, v129, v126 dst_sel:DWORD dst_unused:UNUSED_PAD src0_sel:WORD_0 src1_sel:DWORD
	ds_read2_b32 v[126:127], v130 offset0:2 offset1:3
	ds_read2_b32 v[128:129], v128 offset1:1
	s_waitcnt lgkmcnt(1)
	v_ashrrev_i32_e32 v126, s25, v126
	s_waitcnt lgkmcnt(0)
	v_ashrrev_i32_e32 v128, s3, v128
	v_lshlrev_b32_e32 v128, 2, v128
	v_and_b32_e32 v134, 0x3030303, v126
	v_bfe_u32 v126, v126, 24, 2
	v_and_b32_e32 v128, 0x4040404, v128
	v_sub_u16_e32 v135, v134, v128
	v_sub_u16_sdwa v136, v134, v128 dst_sel:BYTE_1 dst_unused:UNUSED_PAD src0_sel:BYTE_1 src1_sel:BYTE_1
	v_sub_u16_sdwa v126, v126, v128 dst_sel:BYTE_1 dst_unused:UNUSED_PAD src0_sel:DWORD src1_sel:BYTE_3
	v_sub_u16_sdwa v128, v134, v128 dst_sel:DWORD dst_unused:UNUSED_PAD src0_sel:WORD_1 src1_sel:WORD_1
	v_or_b32_sdwa v135, v135, v136 dst_sel:DWORD dst_unused:UNUSED_PAD src0_sel:BYTE_0 src1_sel:DWORD
	v_or_b32_sdwa v126, v128, v126 dst_sel:WORD_1 dst_unused:UNUSED_PAD src0_sel:BYTE_0 src1_sel:DWORD
	v_ashrrev_i32_e32 v128, s3, v129
	v_or_b32_sdwa v134, v135, v126 dst_sel:DWORD dst_unused:UNUSED_PAD src0_sel:WORD_0 src1_sel:DWORD
	v_ashrrev_i32_e32 v126, s25, v127
	v_lshlrev_b32_e32 v128, 2, v128
	v_and_b32_e32 v127, 0x3030303, v126
	v_bfe_u32 v126, v126, 24, 2
	v_and_b32_e32 v128, 0x4040404, v128
	v_sub_u16_e32 v129, v127, v128
	v_sub_u16_sdwa v135, v127, v128 dst_sel:BYTE_1 dst_unused:UNUSED_PAD src0_sel:BYTE_1 src1_sel:BYTE_1
	v_sub_u16_sdwa v126, v126, v128 dst_sel:BYTE_1 dst_unused:UNUSED_PAD src0_sel:DWORD src1_sel:BYTE_3
	v_sub_u16_sdwa v127, v127, v128 dst_sel:DWORD dst_unused:UNUSED_PAD src0_sel:WORD_1 src1_sel:WORD_1
	v_or_b32_sdwa v129, v129, v135 dst_sel:DWORD dst_unused:UNUSED_PAD src0_sel:BYTE_0 src1_sel:DWORD
	v_or_b32_sdwa v126, v127, v126 dst_sel:WORD_1 dst_unused:UNUSED_PAD src0_sel:BYTE_0 src1_sel:DWORD
	v_add_u32_e32 v128, 0x4210, v132
	v_or_b32_sdwa v135, v129, v126 dst_sel:DWORD dst_unused:UNUSED_PAD src0_sel:WORD_0 src1_sel:DWORD
	ds_read2_b32 v[126:127], v130 offset0:4 offset1:5
	ds_read2_b32 v[128:129], v128 offset1:1
	s_waitcnt lgkmcnt(1)
	v_ashrrev_i32_e32 v126, s25, v126
	s_waitcnt lgkmcnt(0)
	v_ashrrev_i32_e32 v128, s3, v128
	v_lshlrev_b32_e32 v128, 2, v128
	;; [unrolled: 31-line block ×3, first 2 shown]
	v_and_b32_e32 v130, 0x3030303, v126
	v_bfe_u32 v126, v126, 24, 2
	v_and_b32_e32 v128, 0x4040404, v128
	v_sub_u16_e32 v132, v130, v128
	v_sub_u16_sdwa v138, v130, v128 dst_sel:BYTE_1 dst_unused:UNUSED_PAD src0_sel:BYTE_1 src1_sel:BYTE_1
	v_sub_u16_sdwa v126, v126, v128 dst_sel:BYTE_1 dst_unused:UNUSED_PAD src0_sel:DWORD src1_sel:BYTE_3
	v_sub_u16_sdwa v128, v130, v128 dst_sel:DWORD dst_unused:UNUSED_PAD src0_sel:WORD_1 src1_sel:WORD_1
	v_or_b32_sdwa v132, v132, v138 dst_sel:DWORD dst_unused:UNUSED_PAD src0_sel:BYTE_0 src1_sel:DWORD
	v_or_b32_sdwa v126, v128, v126 dst_sel:WORD_1 dst_unused:UNUSED_PAD src0_sel:BYTE_0 src1_sel:DWORD
	v_ashrrev_i32_e32 v129, s3, v129
	v_or_b32_sdwa v128, v132, v126 dst_sel:DWORD dst_unused:UNUSED_PAD src0_sel:WORD_0 src1_sel:DWORD
	v_ashrrev_i32_e32 v126, s25, v127
	v_lshlrev_b32_e32 v129, 2, v129
	v_and_b32_e32 v127, 0x3030303, v126
	v_bfe_u32 v126, v126, 24, 2
	v_and_b32_e32 v129, 0x4040404, v129
	v_sub_u16_e32 v130, v127, v129
	v_sub_u16_sdwa v132, v127, v129 dst_sel:BYTE_1 dst_unused:UNUSED_PAD src0_sel:BYTE_1 src1_sel:BYTE_1
	v_sub_u16_sdwa v126, v126, v129 dst_sel:BYTE_1 dst_unused:UNUSED_PAD src0_sel:DWORD src1_sel:BYTE_3
	v_sub_u16_sdwa v127, v127, v129 dst_sel:DWORD dst_unused:UNUSED_PAD src0_sel:WORD_1 src1_sel:WORD_1
	v_or_b32_sdwa v130, v130, v132 dst_sel:DWORD dst_unused:UNUSED_PAD src0_sel:BYTE_0 src1_sel:DWORD
	v_or_b32_sdwa v126, v127, v126 dst_sel:WORD_1 dst_unused:UNUSED_PAD src0_sel:BYTE_0 src1_sel:DWORD
	v_add_u32_e32 v129, s38, v37
	v_or_b32_sdwa v127, v130, v126 dst_sel:DWORD dst_unused:UNUSED_PAD src0_sel:WORD_0 src1_sel:DWORD
	v_add_u32_e32 v126, s36, v81
	ds_read_b32 v129, v129
	ds_read_u16 v126, v126 offset:26354
	v_mov_b32_e32 v130, 0
	v_dot4c_i32_i8_e32 v130, v131, v6
	v_dot4c_i32_i8_e32 v130, v133, v7
	;; [unrolled: 1-line block ×4, first 2 shown]
	s_waitcnt lgkmcnt(0)
	v_lshrrev_b16_e32 v131, 8, v126
	v_bfe_i32 v126, v126, 0, 8
	v_add_lshl_u32 v132, v39, s35, 2
	v_mul_lo_u32 v126, v130, v126
	v_mov_b32_e32 v130, 0
	v_dot4c_i32_i8_e32 v130, v136, v2
	v_dot4c_i32_i8_e32 v130, v137, v3
	;; [unrolled: 1-line block ×4, first 2 shown]
	v_bfe_i32 v127, v131, 0, 8
	v_add_u32_e32 v128, 0x4200, v132
	s_nop 0
	v_mad_u64_u32 v[126:127], s[40:41], v130, v127, v[126:127]
	v_cvt_f32_i32_e32 v126, v126
	v_mul_f32_e32 v127, v125, v129
	v_add_u32_e32 v130, s37, v41
	ds_read2_b32 v[128:129], v128 offset1:1
	v_fmac_f32_e32 v119, v127, v126
	ds_read2_b32 v[126:127], v130 offset1:1
	s_waitcnt lgkmcnt(1)
	v_ashrrev_i32_e32 v128, s3, v128
	v_lshlrev_b32_e32 v128, 2, v128
	s_waitcnt lgkmcnt(0)
	v_ashrrev_i32_e32 v126, s25, v126
	v_and_b32_e32 v131, 0x3030303, v126
	v_bfe_u32 v126, v126, 24, 2
	v_and_b32_e32 v128, 0x4040404, v128
	v_sub_u16_e32 v133, v131, v128
	v_sub_u16_sdwa v134, v131, v128 dst_sel:BYTE_1 dst_unused:UNUSED_PAD src0_sel:BYTE_1 src1_sel:BYTE_1
	v_sub_u16_sdwa v126, v126, v128 dst_sel:BYTE_1 dst_unused:UNUSED_PAD src0_sel:DWORD src1_sel:BYTE_3
	v_sub_u16_sdwa v128, v131, v128 dst_sel:DWORD dst_unused:UNUSED_PAD src0_sel:WORD_1 src1_sel:WORD_1
	v_or_b32_sdwa v133, v133, v134 dst_sel:DWORD dst_unused:UNUSED_PAD src0_sel:BYTE_0 src1_sel:DWORD
	v_or_b32_sdwa v126, v128, v126 dst_sel:WORD_1 dst_unused:UNUSED_PAD src0_sel:BYTE_0 src1_sel:DWORD
	v_ashrrev_i32_e32 v128, s3, v129
	v_or_b32_sdwa v131, v133, v126 dst_sel:DWORD dst_unused:UNUSED_PAD src0_sel:WORD_0 src1_sel:DWORD
	v_ashrrev_i32_e32 v126, s25, v127
	v_lshlrev_b32_e32 v128, 2, v128
	v_and_b32_e32 v127, 0x3030303, v126
	v_bfe_u32 v126, v126, 24, 2
	v_and_b32_e32 v128, 0x4040404, v128
	v_sub_u16_e32 v129, v127, v128
	v_sub_u16_sdwa v133, v127, v128 dst_sel:BYTE_1 dst_unused:UNUSED_PAD src0_sel:BYTE_1 src1_sel:BYTE_1
	v_sub_u16_sdwa v126, v126, v128 dst_sel:BYTE_1 dst_unused:UNUSED_PAD src0_sel:DWORD src1_sel:BYTE_3
	v_sub_u16_sdwa v127, v127, v128 dst_sel:DWORD dst_unused:UNUSED_PAD src0_sel:WORD_1 src1_sel:WORD_1
	v_or_b32_sdwa v129, v129, v133 dst_sel:DWORD dst_unused:UNUSED_PAD src0_sel:BYTE_0 src1_sel:DWORD
	v_or_b32_sdwa v126, v127, v126 dst_sel:WORD_1 dst_unused:UNUSED_PAD src0_sel:BYTE_0 src1_sel:DWORD
	v_add_u32_e32 v128, 0x4208, v132
	v_or_b32_sdwa v133, v129, v126 dst_sel:DWORD dst_unused:UNUSED_PAD src0_sel:WORD_0 src1_sel:DWORD
	ds_read2_b32 v[126:127], v130 offset0:2 offset1:3
	ds_read2_b32 v[128:129], v128 offset1:1
	s_waitcnt lgkmcnt(1)
	v_ashrrev_i32_e32 v126, s25, v126
	s_waitcnt lgkmcnt(0)
	v_ashrrev_i32_e32 v128, s3, v128
	v_lshlrev_b32_e32 v128, 2, v128
	v_and_b32_e32 v134, 0x3030303, v126
	v_bfe_u32 v126, v126, 24, 2
	v_and_b32_e32 v128, 0x4040404, v128
	v_sub_u16_e32 v135, v134, v128
	v_sub_u16_sdwa v136, v134, v128 dst_sel:BYTE_1 dst_unused:UNUSED_PAD src0_sel:BYTE_1 src1_sel:BYTE_1
	v_sub_u16_sdwa v126, v126, v128 dst_sel:BYTE_1 dst_unused:UNUSED_PAD src0_sel:DWORD src1_sel:BYTE_3
	v_sub_u16_sdwa v128, v134, v128 dst_sel:DWORD dst_unused:UNUSED_PAD src0_sel:WORD_1 src1_sel:WORD_1
	v_or_b32_sdwa v135, v135, v136 dst_sel:DWORD dst_unused:UNUSED_PAD src0_sel:BYTE_0 src1_sel:DWORD
	v_or_b32_sdwa v126, v128, v126 dst_sel:WORD_1 dst_unused:UNUSED_PAD src0_sel:BYTE_0 src1_sel:DWORD
	v_ashrrev_i32_e32 v128, s3, v129
	v_or_b32_sdwa v134, v135, v126 dst_sel:DWORD dst_unused:UNUSED_PAD src0_sel:WORD_0 src1_sel:DWORD
	v_ashrrev_i32_e32 v126, s25, v127
	v_lshlrev_b32_e32 v128, 2, v128
	v_and_b32_e32 v127, 0x3030303, v126
	v_bfe_u32 v126, v126, 24, 2
	v_and_b32_e32 v128, 0x4040404, v128
	v_sub_u16_e32 v129, v127, v128
	v_sub_u16_sdwa v135, v127, v128 dst_sel:BYTE_1 dst_unused:UNUSED_PAD src0_sel:BYTE_1 src1_sel:BYTE_1
	v_sub_u16_sdwa v126, v126, v128 dst_sel:BYTE_1 dst_unused:UNUSED_PAD src0_sel:DWORD src1_sel:BYTE_3
	v_sub_u16_sdwa v127, v127, v128 dst_sel:DWORD dst_unused:UNUSED_PAD src0_sel:WORD_1 src1_sel:WORD_1
	v_or_b32_sdwa v129, v129, v135 dst_sel:DWORD dst_unused:UNUSED_PAD src0_sel:BYTE_0 src1_sel:DWORD
	v_or_b32_sdwa v126, v127, v126 dst_sel:WORD_1 dst_unused:UNUSED_PAD src0_sel:BYTE_0 src1_sel:DWORD
	v_add_u32_e32 v128, 0x4210, v132
	v_or_b32_sdwa v135, v129, v126 dst_sel:DWORD dst_unused:UNUSED_PAD src0_sel:WORD_0 src1_sel:DWORD
	ds_read2_b32 v[126:127], v130 offset0:4 offset1:5
	ds_read2_b32 v[128:129], v128 offset1:1
	s_waitcnt lgkmcnt(1)
	v_ashrrev_i32_e32 v126, s25, v126
	s_waitcnt lgkmcnt(0)
	v_ashrrev_i32_e32 v128, s3, v128
	v_lshlrev_b32_e32 v128, 2, v128
	;; [unrolled: 31-line block ×3, first 2 shown]
	v_and_b32_e32 v130, 0x3030303, v126
	v_bfe_u32 v126, v126, 24, 2
	v_and_b32_e32 v128, 0x4040404, v128
	v_sub_u16_e32 v132, v130, v128
	v_sub_u16_sdwa v138, v130, v128 dst_sel:BYTE_1 dst_unused:UNUSED_PAD src0_sel:BYTE_1 src1_sel:BYTE_1
	v_sub_u16_sdwa v126, v126, v128 dst_sel:BYTE_1 dst_unused:UNUSED_PAD src0_sel:DWORD src1_sel:BYTE_3
	v_sub_u16_sdwa v128, v130, v128 dst_sel:DWORD dst_unused:UNUSED_PAD src0_sel:WORD_1 src1_sel:WORD_1
	v_or_b32_sdwa v132, v132, v138 dst_sel:DWORD dst_unused:UNUSED_PAD src0_sel:BYTE_0 src1_sel:DWORD
	v_or_b32_sdwa v126, v128, v126 dst_sel:WORD_1 dst_unused:UNUSED_PAD src0_sel:BYTE_0 src1_sel:DWORD
	v_ashrrev_i32_e32 v129, s3, v129
	v_or_b32_sdwa v128, v132, v126 dst_sel:DWORD dst_unused:UNUSED_PAD src0_sel:WORD_0 src1_sel:DWORD
	v_ashrrev_i32_e32 v126, s25, v127
	v_lshlrev_b32_e32 v129, 2, v129
	v_and_b32_e32 v127, 0x3030303, v126
	v_bfe_u32 v126, v126, 24, 2
	v_and_b32_e32 v129, 0x4040404, v129
	v_sub_u16_e32 v130, v127, v129
	v_sub_u16_sdwa v132, v127, v129 dst_sel:BYTE_1 dst_unused:UNUSED_PAD src0_sel:BYTE_1 src1_sel:BYTE_1
	v_sub_u16_sdwa v126, v126, v129 dst_sel:BYTE_1 dst_unused:UNUSED_PAD src0_sel:DWORD src1_sel:BYTE_3
	v_sub_u16_sdwa v127, v127, v129 dst_sel:DWORD dst_unused:UNUSED_PAD src0_sel:WORD_1 src1_sel:WORD_1
	v_or_b32_sdwa v130, v130, v132 dst_sel:DWORD dst_unused:UNUSED_PAD src0_sel:BYTE_0 src1_sel:DWORD
	v_or_b32_sdwa v126, v127, v126 dst_sel:WORD_1 dst_unused:UNUSED_PAD src0_sel:BYTE_0 src1_sel:DWORD
	v_add_u32_e32 v129, s38, v43
	v_or_b32_sdwa v127, v130, v126 dst_sel:DWORD dst_unused:UNUSED_PAD src0_sel:WORD_0 src1_sel:DWORD
	v_add_u32_e32 v126, s36, v79
	ds_read_b32 v129, v129
	ds_read_u16 v126, v126 offset:27378
	v_mov_b32_e32 v130, 0
	v_dot4c_i32_i8_e32 v130, v131, v6
	v_dot4c_i32_i8_e32 v130, v133, v7
	;; [unrolled: 1-line block ×4, first 2 shown]
	s_waitcnt lgkmcnt(0)
	v_lshrrev_b16_e32 v131, 8, v126
	v_bfe_i32 v126, v126, 0, 8
	v_add_lshl_u32 v132, v45, s35, 2
	v_mul_lo_u32 v126, v130, v126
	v_mov_b32_e32 v130, 0
	v_dot4c_i32_i8_e32 v130, v136, v2
	v_dot4c_i32_i8_e32 v130, v137, v3
	;; [unrolled: 1-line block ×4, first 2 shown]
	v_bfe_i32 v127, v131, 0, 8
	v_add_u32_e32 v128, 0x4200, v132
	s_nop 0
	v_mad_u64_u32 v[126:127], s[40:41], v130, v127, v[126:127]
	v_cvt_f32_i32_e32 v126, v126
	v_mul_f32_e32 v127, v125, v129
	v_add_u32_e32 v130, s37, v47
	ds_read2_b32 v[128:129], v128 offset1:1
	v_fmac_f32_e32 v120, v127, v126
	ds_read2_b32 v[126:127], v130 offset1:1
	s_waitcnt lgkmcnt(1)
	v_ashrrev_i32_e32 v128, s3, v128
	v_lshlrev_b32_e32 v128, 2, v128
	s_waitcnt lgkmcnt(0)
	v_ashrrev_i32_e32 v126, s25, v126
	v_and_b32_e32 v131, 0x3030303, v126
	v_bfe_u32 v126, v126, 24, 2
	v_and_b32_e32 v128, 0x4040404, v128
	v_sub_u16_e32 v133, v131, v128
	v_sub_u16_sdwa v134, v131, v128 dst_sel:BYTE_1 dst_unused:UNUSED_PAD src0_sel:BYTE_1 src1_sel:BYTE_1
	v_sub_u16_sdwa v126, v126, v128 dst_sel:BYTE_1 dst_unused:UNUSED_PAD src0_sel:DWORD src1_sel:BYTE_3
	v_sub_u16_sdwa v128, v131, v128 dst_sel:DWORD dst_unused:UNUSED_PAD src0_sel:WORD_1 src1_sel:WORD_1
	v_or_b32_sdwa v133, v133, v134 dst_sel:DWORD dst_unused:UNUSED_PAD src0_sel:BYTE_0 src1_sel:DWORD
	v_or_b32_sdwa v126, v128, v126 dst_sel:WORD_1 dst_unused:UNUSED_PAD src0_sel:BYTE_0 src1_sel:DWORD
	v_ashrrev_i32_e32 v128, s3, v129
	v_or_b32_sdwa v131, v133, v126 dst_sel:DWORD dst_unused:UNUSED_PAD src0_sel:WORD_0 src1_sel:DWORD
	v_ashrrev_i32_e32 v126, s25, v127
	v_lshlrev_b32_e32 v128, 2, v128
	v_and_b32_e32 v127, 0x3030303, v126
	v_bfe_u32 v126, v126, 24, 2
	v_and_b32_e32 v128, 0x4040404, v128
	v_sub_u16_e32 v129, v127, v128
	v_sub_u16_sdwa v133, v127, v128 dst_sel:BYTE_1 dst_unused:UNUSED_PAD src0_sel:BYTE_1 src1_sel:BYTE_1
	v_sub_u16_sdwa v126, v126, v128 dst_sel:BYTE_1 dst_unused:UNUSED_PAD src0_sel:DWORD src1_sel:BYTE_3
	v_sub_u16_sdwa v127, v127, v128 dst_sel:DWORD dst_unused:UNUSED_PAD src0_sel:WORD_1 src1_sel:WORD_1
	v_or_b32_sdwa v129, v129, v133 dst_sel:DWORD dst_unused:UNUSED_PAD src0_sel:BYTE_0 src1_sel:DWORD
	v_or_b32_sdwa v126, v127, v126 dst_sel:WORD_1 dst_unused:UNUSED_PAD src0_sel:BYTE_0 src1_sel:DWORD
	v_add_u32_e32 v128, 0x4208, v132
	v_or_b32_sdwa v133, v129, v126 dst_sel:DWORD dst_unused:UNUSED_PAD src0_sel:WORD_0 src1_sel:DWORD
	ds_read2_b32 v[126:127], v130 offset0:2 offset1:3
	ds_read2_b32 v[128:129], v128 offset1:1
	s_waitcnt lgkmcnt(1)
	v_ashrrev_i32_e32 v126, s25, v126
	s_waitcnt lgkmcnt(0)
	v_ashrrev_i32_e32 v128, s3, v128
	v_lshlrev_b32_e32 v128, 2, v128
	v_and_b32_e32 v134, 0x3030303, v126
	v_bfe_u32 v126, v126, 24, 2
	v_and_b32_e32 v128, 0x4040404, v128
	v_sub_u16_e32 v135, v134, v128
	v_sub_u16_sdwa v136, v134, v128 dst_sel:BYTE_1 dst_unused:UNUSED_PAD src0_sel:BYTE_1 src1_sel:BYTE_1
	v_sub_u16_sdwa v126, v126, v128 dst_sel:BYTE_1 dst_unused:UNUSED_PAD src0_sel:DWORD src1_sel:BYTE_3
	v_sub_u16_sdwa v128, v134, v128 dst_sel:DWORD dst_unused:UNUSED_PAD src0_sel:WORD_1 src1_sel:WORD_1
	v_or_b32_sdwa v135, v135, v136 dst_sel:DWORD dst_unused:UNUSED_PAD src0_sel:BYTE_0 src1_sel:DWORD
	v_or_b32_sdwa v126, v128, v126 dst_sel:WORD_1 dst_unused:UNUSED_PAD src0_sel:BYTE_0 src1_sel:DWORD
	v_ashrrev_i32_e32 v128, s3, v129
	v_or_b32_sdwa v134, v135, v126 dst_sel:DWORD dst_unused:UNUSED_PAD src0_sel:WORD_0 src1_sel:DWORD
	v_ashrrev_i32_e32 v126, s25, v127
	v_lshlrev_b32_e32 v128, 2, v128
	v_and_b32_e32 v127, 0x3030303, v126
	v_bfe_u32 v126, v126, 24, 2
	v_and_b32_e32 v128, 0x4040404, v128
	v_sub_u16_e32 v129, v127, v128
	v_sub_u16_sdwa v135, v127, v128 dst_sel:BYTE_1 dst_unused:UNUSED_PAD src0_sel:BYTE_1 src1_sel:BYTE_1
	v_sub_u16_sdwa v126, v126, v128 dst_sel:BYTE_1 dst_unused:UNUSED_PAD src0_sel:DWORD src1_sel:BYTE_3
	v_sub_u16_sdwa v127, v127, v128 dst_sel:DWORD dst_unused:UNUSED_PAD src0_sel:WORD_1 src1_sel:WORD_1
	v_or_b32_sdwa v129, v129, v135 dst_sel:DWORD dst_unused:UNUSED_PAD src0_sel:BYTE_0 src1_sel:DWORD
	v_or_b32_sdwa v126, v127, v126 dst_sel:WORD_1 dst_unused:UNUSED_PAD src0_sel:BYTE_0 src1_sel:DWORD
	v_add_u32_e32 v128, 0x4210, v132
	v_or_b32_sdwa v135, v129, v126 dst_sel:DWORD dst_unused:UNUSED_PAD src0_sel:WORD_0 src1_sel:DWORD
	ds_read2_b32 v[126:127], v130 offset0:4 offset1:5
	ds_read2_b32 v[128:129], v128 offset1:1
	s_waitcnt lgkmcnt(1)
	v_ashrrev_i32_e32 v126, s25, v126
	s_waitcnt lgkmcnt(0)
	v_ashrrev_i32_e32 v128, s3, v128
	v_lshlrev_b32_e32 v128, 2, v128
	;; [unrolled: 31-line block ×3, first 2 shown]
	v_and_b32_e32 v130, 0x3030303, v126
	v_bfe_u32 v126, v126, 24, 2
	v_and_b32_e32 v128, 0x4040404, v128
	v_ashrrev_i32_e32 v129, s3, v129
	v_sub_u16_e32 v132, v130, v128
	v_sub_u16_sdwa v138, v130, v128 dst_sel:BYTE_1 dst_unused:UNUSED_PAD src0_sel:BYTE_1 src1_sel:BYTE_1
	v_sub_u16_sdwa v126, v126, v128 dst_sel:BYTE_1 dst_unused:UNUSED_PAD src0_sel:DWORD src1_sel:BYTE_3
	v_sub_u16_sdwa v128, v130, v128 dst_sel:DWORD dst_unused:UNUSED_PAD src0_sel:WORD_1 src1_sel:WORD_1
	v_ashrrev_i32_e32 v127, s25, v127
	v_lshlrev_b32_e32 v129, 2, v129
	v_or_b32_sdwa v132, v132, v138 dst_sel:DWORD dst_unused:UNUSED_PAD src0_sel:BYTE_0 src1_sel:DWORD
	v_or_b32_sdwa v126, v128, v126 dst_sel:WORD_1 dst_unused:UNUSED_PAD src0_sel:BYTE_0 src1_sel:DWORD
	v_and_b32_e32 v128, 0x3030303, v127
	v_bfe_u32 v127, v127, 24, 2
	v_and_b32_e32 v129, 0x4040404, v129
	v_or_b32_sdwa v126, v132, v126 dst_sel:DWORD dst_unused:UNUSED_PAD src0_sel:WORD_0 src1_sel:DWORD
	v_sub_u16_e32 v130, v128, v129
	v_sub_u16_sdwa v132, v128, v129 dst_sel:BYTE_1 dst_unused:UNUSED_PAD src0_sel:BYTE_1 src1_sel:BYTE_1
	v_sub_u16_sdwa v127, v127, v129 dst_sel:BYTE_1 dst_unused:UNUSED_PAD src0_sel:DWORD src1_sel:BYTE_3
	v_sub_u16_sdwa v128, v128, v129 dst_sel:DWORD dst_unused:UNUSED_PAD src0_sel:WORD_1 src1_sel:WORD_1
	v_or_b32_sdwa v130, v130, v132 dst_sel:DWORD dst_unused:UNUSED_PAD src0_sel:BYTE_0 src1_sel:DWORD
	v_or_b32_sdwa v127, v128, v127 dst_sel:WORD_1 dst_unused:UNUSED_PAD src0_sel:BYTE_0 src1_sel:DWORD
	v_add_u32_e32 v128, s36, v77
	v_or_b32_sdwa v127, v130, v127 dst_sel:DWORD dst_unused:UNUSED_PAD src0_sel:WORD_0 src1_sel:DWORD
	v_add_u32_e32 v129, s38, v49
	v_mov_b32_e32 v130, 0
	ds_read_b32 v129, v129
	v_dot4c_i32_i8_e32 v130, v131, v6
	ds_read_u16 v6, v128 offset:28402
	v_dot4c_i32_i8_e32 v130, v133, v7
	v_dot4c_i32_i8_e32 v130, v134, v8
	v_mov_b32_e32 v8, 0
	v_dot4c_i32_i8_e32 v8, v136, v2
	v_dot4c_i32_i8_e32 v8, v137, v3
	v_dot4c_i32_i8_e32 v130, v135, v9
	s_waitcnt lgkmcnt(0)
	v_lshrrev_b16_e32 v7, 8, v6
	v_bfe_i32 v6, v6, 0, 8
	v_dot4c_i32_i8_e32 v8, v126, v4
	v_mul_lo_u32 v6, v130, v6
	v_dot4c_i32_i8_e32 v8, v127, v5
	v_bfe_i32 v2, v7, 0, 8
	s_add_i32 s3, s3, 1
	s_cmp_lt_u32 s24, 22
	v_mad_u64_u32 v[2:3], s[36:37], v8, v2, v[6:7]
	v_cvt_f32_i32_e32 v2, v2
	v_mul_f32_e32 v3, v125, v129
	s_mov_b32 s36, s24
	v_fmac_f32_e32 v121, v3, v2
	s_cbranch_scc1 .LBB210_28
; %bb.29:                               ;   in Loop: Header=BB210_5 Depth=1
	s_or_b32 s2, s34, 0x180
	s_cmp_ge_i32 s2, s5
	s_barrier
	s_cbranch_scc1 .LBB210_4
; %bb.30:                               ;   in Loop: Header=BB210_5 Depth=1
	v_add_u32_e32 v2, s33, v55
	v_cmp_gt_i32_e64 s[2:3], s8, v2
	s_and_b64 s[24:25], s[0:1], s[2:3]
	s_and_saveexec_b64 s[2:3], s[24:25]
	s_cbranch_execz .LBB210_32
; %bb.31:                               ;   in Loop: Header=BB210_5 Depth=1
	v_add_u32_e32 v2, v116, v2
	v_mad_i64_i32 v[2:3], s[24:25], v2, 36, v[114:115]
	global_load_dword v2, v[2:3], off offset:4
	s_waitcnt vmcnt(0)
	ds_write_b32 v21, v2
.LBB210_32:                             ;   in Loop: Header=BB210_5 Depth=1
	s_or_b64 exec, exec, s[2:3]
	s_and_saveexec_b64 s[24:25], vcc
	s_cbranch_execz .LBB210_35
; %bb.33:                               ;   in Loop: Header=BB210_5 Depth=1
	v_or_b32_e32 v2, s33, v11
	v_or_b32_e32 v3, 12, v2
	v_cmp_gt_i32_e64 s[2:3], s8, v3
	s_and_b64 s[2:3], s[0:1], s[2:3]
	s_and_b64 exec, exec, s[2:3]
	s_cbranch_execz .LBB210_35
; %bb.34:                               ;   in Loop: Header=BB210_5 Depth=1
	v_ashrrev_i32_e32 v3, 31, v2
	v_lshl_add_u64 v[2:3], v[116:117], 0, v[2:3]
	v_mad_u64_u32 v[4:5], s[2:3], v2, 36, s[20:21]
	v_mad_i32_i24 v5, v3, 36, v5
	global_load_dword v2, v[4:5], off
	s_waitcnt vmcnt(0)
	v_cvt_f32_f16_e32 v2, v2
	ds_write_b32 v23, v2
.LBB210_35:                             ;   in Loop: Header=BB210_5 Depth=1
	s_or_b64 exec, exec, s[24:25]
	s_mov_b32 s2, 24
	s_mov_b32 s34, 22
	;; [unrolled: 1-line block ×3, first 2 shown]
	v_mov_b32_e32 v123, v65
	v_mov_b32_e32 v124, v67
	s_waitcnt lgkmcnt(0)
	s_barrier
.LBB210_36:                             ;   Parent Loop BB210_5 Depth=1
                                        ; =>  This Inner Loop Header: Depth=2
	s_add_i32 s24, s34, 2
	s_lshr_b32 s37, s24, 4
	s_and_b32 s35, s24, 0x3ffffff8
	s_lshl_b32 s33, s37, 3
	s_lshl_b32 s35, s35, 2
	v_add_lshl_u32 v132, v27, s33, 2
	v_add_u32_e32 v130, s35, v29
	v_add_u32_e32 v128, 0x4200, v132
	ds_read_b32 v125, v124
	ds_read_b128 v[6:9], v123
	ds_read_b128 v[2:5], v123 offset:16
	ds_read2_b32 v[126:127], v130 offset1:1
	ds_read2_b32 v[128:129], v128 offset1:1
	s_sub_i32 s25, s34, 22
	s_and_b32 s36, s2, -16
	s_add_i32 s34, s34, s36
	s_waitcnt lgkmcnt(1)
	v_ashrrev_i32_e32 v126, s25, v126
	s_waitcnt lgkmcnt(0)
	v_ashrrev_i32_e32 v128, s3, v128
	v_lshlrev_b32_e32 v128, 2, v128
	v_and_b32_e32 v131, 0x3030303, v126
	v_bfe_u32 v126, v126, 24, 2
	v_and_b32_e32 v128, 0x4040404, v128
	v_sub_u16_e32 v133, v131, v128
	v_sub_u16_sdwa v134, v131, v128 dst_sel:BYTE_1 dst_unused:UNUSED_PAD src0_sel:BYTE_1 src1_sel:BYTE_1
	v_sub_u16_sdwa v126, v126, v128 dst_sel:BYTE_1 dst_unused:UNUSED_PAD src0_sel:DWORD src1_sel:BYTE_3
	v_sub_u16_sdwa v128, v131, v128 dst_sel:DWORD dst_unused:UNUSED_PAD src0_sel:WORD_1 src1_sel:WORD_1
	v_or_b32_sdwa v133, v133, v134 dst_sel:DWORD dst_unused:UNUSED_PAD src0_sel:BYTE_0 src1_sel:DWORD
	v_or_b32_sdwa v126, v128, v126 dst_sel:WORD_1 dst_unused:UNUSED_PAD src0_sel:BYTE_0 src1_sel:DWORD
	v_ashrrev_i32_e32 v128, s3, v129
	v_or_b32_sdwa v131, v133, v126 dst_sel:DWORD dst_unused:UNUSED_PAD src0_sel:WORD_0 src1_sel:DWORD
	v_ashrrev_i32_e32 v126, s25, v127
	v_lshlrev_b32_e32 v128, 2, v128
	v_and_b32_e32 v127, 0x3030303, v126
	v_bfe_u32 v126, v126, 24, 2
	v_and_b32_e32 v128, 0x4040404, v128
	v_sub_u16_e32 v129, v127, v128
	v_sub_u16_sdwa v133, v127, v128 dst_sel:BYTE_1 dst_unused:UNUSED_PAD src0_sel:BYTE_1 src1_sel:BYTE_1
	v_sub_u16_sdwa v126, v126, v128 dst_sel:BYTE_1 dst_unused:UNUSED_PAD src0_sel:DWORD src1_sel:BYTE_3
	v_sub_u16_sdwa v127, v127, v128 dst_sel:DWORD dst_unused:UNUSED_PAD src0_sel:WORD_1 src1_sel:WORD_1
	v_or_b32_sdwa v129, v129, v133 dst_sel:DWORD dst_unused:UNUSED_PAD src0_sel:BYTE_0 src1_sel:DWORD
	v_or_b32_sdwa v126, v127, v126 dst_sel:WORD_1 dst_unused:UNUSED_PAD src0_sel:BYTE_0 src1_sel:DWORD
	v_add_u32_e32 v128, 0x4208, v132
	v_or_b32_sdwa v133, v129, v126 dst_sel:DWORD dst_unused:UNUSED_PAD src0_sel:WORD_0 src1_sel:DWORD
	ds_read2_b32 v[126:127], v130 offset0:2 offset1:3
	ds_read2_b32 v[128:129], v128 offset1:1
	s_lshl_b32 s36, s37, 2
	s_add_i32 s2, s2, 2
	v_add_u32_e32 v124, 4, v124
	s_waitcnt lgkmcnt(1)
	v_ashrrev_i32_e32 v126, s25, v126
	s_waitcnt lgkmcnt(0)
	v_ashrrev_i32_e32 v128, s3, v128
	v_lshlrev_b32_e32 v128, 2, v128
	v_and_b32_e32 v134, 0x3030303, v126
	v_bfe_u32 v126, v126, 24, 2
	v_and_b32_e32 v128, 0x4040404, v128
	v_sub_u16_e32 v135, v134, v128
	v_sub_u16_sdwa v136, v134, v128 dst_sel:BYTE_1 dst_unused:UNUSED_PAD src0_sel:BYTE_1 src1_sel:BYTE_1
	v_sub_u16_sdwa v126, v126, v128 dst_sel:BYTE_1 dst_unused:UNUSED_PAD src0_sel:DWORD src1_sel:BYTE_3
	v_sub_u16_sdwa v128, v134, v128 dst_sel:DWORD dst_unused:UNUSED_PAD src0_sel:WORD_1 src1_sel:WORD_1
	v_or_b32_sdwa v135, v135, v136 dst_sel:DWORD dst_unused:UNUSED_PAD src0_sel:BYTE_0 src1_sel:DWORD
	v_or_b32_sdwa v126, v128, v126 dst_sel:WORD_1 dst_unused:UNUSED_PAD src0_sel:BYTE_0 src1_sel:DWORD
	v_ashrrev_i32_e32 v128, s3, v129
	v_or_b32_sdwa v134, v135, v126 dst_sel:DWORD dst_unused:UNUSED_PAD src0_sel:WORD_0 src1_sel:DWORD
	v_ashrrev_i32_e32 v126, s25, v127
	v_lshlrev_b32_e32 v128, 2, v128
	v_and_b32_e32 v127, 0x3030303, v126
	v_bfe_u32 v126, v126, 24, 2
	v_and_b32_e32 v128, 0x4040404, v128
	v_sub_u16_e32 v129, v127, v128
	v_sub_u16_sdwa v135, v127, v128 dst_sel:BYTE_1 dst_unused:UNUSED_PAD src0_sel:BYTE_1 src1_sel:BYTE_1
	v_sub_u16_sdwa v126, v126, v128 dst_sel:BYTE_1 dst_unused:UNUSED_PAD src0_sel:DWORD src1_sel:BYTE_3
	v_sub_u16_sdwa v127, v127, v128 dst_sel:DWORD dst_unused:UNUSED_PAD src0_sel:WORD_1 src1_sel:WORD_1
	v_or_b32_sdwa v129, v129, v135 dst_sel:DWORD dst_unused:UNUSED_PAD src0_sel:BYTE_0 src1_sel:DWORD
	v_or_b32_sdwa v126, v127, v126 dst_sel:WORD_1 dst_unused:UNUSED_PAD src0_sel:BYTE_0 src1_sel:DWORD
	v_add_u32_e32 v128, 0x4210, v132
	v_or_b32_sdwa v135, v129, v126 dst_sel:DWORD dst_unused:UNUSED_PAD src0_sel:WORD_0 src1_sel:DWORD
	ds_read2_b32 v[126:127], v130 offset0:4 offset1:5
	ds_read2_b32 v[128:129], v128 offset1:1
	v_add_u32_e32 v123, 32, v123
	s_waitcnt lgkmcnt(1)
	v_ashrrev_i32_e32 v126, s25, v126
	s_waitcnt lgkmcnt(0)
	v_ashrrev_i32_e32 v128, s3, v128
	v_lshlrev_b32_e32 v128, 2, v128
	v_and_b32_e32 v136, 0x3030303, v126
	v_bfe_u32 v126, v126, 24, 2
	v_and_b32_e32 v128, 0x4040404, v128
	v_sub_u16_e32 v137, v136, v128
	v_sub_u16_sdwa v138, v136, v128 dst_sel:BYTE_1 dst_unused:UNUSED_PAD src0_sel:BYTE_1 src1_sel:BYTE_1
	v_sub_u16_sdwa v126, v126, v128 dst_sel:BYTE_1 dst_unused:UNUSED_PAD src0_sel:DWORD src1_sel:BYTE_3
	v_sub_u16_sdwa v128, v136, v128 dst_sel:DWORD dst_unused:UNUSED_PAD src0_sel:WORD_1 src1_sel:WORD_1
	v_or_b32_sdwa v137, v137, v138 dst_sel:DWORD dst_unused:UNUSED_PAD src0_sel:BYTE_0 src1_sel:DWORD
	v_or_b32_sdwa v126, v128, v126 dst_sel:WORD_1 dst_unused:UNUSED_PAD src0_sel:BYTE_0 src1_sel:DWORD
	v_ashrrev_i32_e32 v128, s3, v129
	v_or_b32_sdwa v136, v137, v126 dst_sel:DWORD dst_unused:UNUSED_PAD src0_sel:WORD_0 src1_sel:DWORD
	v_ashrrev_i32_e32 v126, s25, v127
	v_lshlrev_b32_e32 v128, 2, v128
	v_and_b32_e32 v127, 0x3030303, v126
	v_bfe_u32 v126, v126, 24, 2
	v_and_b32_e32 v128, 0x4040404, v128
	v_sub_u16_e32 v129, v127, v128
	v_sub_u16_sdwa v137, v127, v128 dst_sel:BYTE_1 dst_unused:UNUSED_PAD src0_sel:BYTE_1 src1_sel:BYTE_1
	v_sub_u16_sdwa v126, v126, v128 dst_sel:BYTE_1 dst_unused:UNUSED_PAD src0_sel:DWORD src1_sel:BYTE_3
	v_sub_u16_sdwa v127, v127, v128 dst_sel:DWORD dst_unused:UNUSED_PAD src0_sel:WORD_1 src1_sel:WORD_1
	v_or_b32_sdwa v129, v129, v137 dst_sel:DWORD dst_unused:UNUSED_PAD src0_sel:BYTE_0 src1_sel:DWORD
	v_or_b32_sdwa v126, v127, v126 dst_sel:WORD_1 dst_unused:UNUSED_PAD src0_sel:BYTE_0 src1_sel:DWORD
	v_add_u32_e32 v128, 0x4218, v132
	v_or_b32_sdwa v137, v129, v126 dst_sel:DWORD dst_unused:UNUSED_PAD src0_sel:WORD_0 src1_sel:DWORD
	ds_read2_b32 v[126:127], v130 offset0:6 offset1:7
	ds_read2_b32 v[128:129], v128 offset1:1
	s_waitcnt lgkmcnt(1)
	v_ashrrev_i32_e32 v126, s25, v126
	s_waitcnt lgkmcnt(0)
	v_ashrrev_i32_e32 v128, s3, v128
	v_lshlrev_b32_e32 v128, 2, v128
	v_and_b32_e32 v130, 0x3030303, v126
	v_bfe_u32 v126, v126, 24, 2
	v_and_b32_e32 v128, 0x4040404, v128
	v_sub_u16_e32 v132, v130, v128
	v_sub_u16_sdwa v138, v130, v128 dst_sel:BYTE_1 dst_unused:UNUSED_PAD src0_sel:BYTE_1 src1_sel:BYTE_1
	v_sub_u16_sdwa v126, v126, v128 dst_sel:BYTE_1 dst_unused:UNUSED_PAD src0_sel:DWORD src1_sel:BYTE_3
	v_sub_u16_sdwa v128, v130, v128 dst_sel:DWORD dst_unused:UNUSED_PAD src0_sel:WORD_1 src1_sel:WORD_1
	v_or_b32_sdwa v132, v132, v138 dst_sel:DWORD dst_unused:UNUSED_PAD src0_sel:BYTE_0 src1_sel:DWORD
	v_or_b32_sdwa v126, v128, v126 dst_sel:WORD_1 dst_unused:UNUSED_PAD src0_sel:BYTE_0 src1_sel:DWORD
	v_ashrrev_i32_e32 v129, s3, v129
	v_or_b32_sdwa v128, v132, v126 dst_sel:DWORD dst_unused:UNUSED_PAD src0_sel:WORD_0 src1_sel:DWORD
	v_ashrrev_i32_e32 v126, s25, v127
	v_lshlrev_b32_e32 v129, 2, v129
	v_and_b32_e32 v127, 0x3030303, v126
	v_bfe_u32 v126, v126, 24, 2
	v_and_b32_e32 v129, 0x4040404, v129
	v_sub_u16_e32 v130, v127, v129
	v_sub_u16_sdwa v132, v127, v129 dst_sel:BYTE_1 dst_unused:UNUSED_PAD src0_sel:BYTE_1 src1_sel:BYTE_1
	v_sub_u16_sdwa v126, v126, v129 dst_sel:BYTE_1 dst_unused:UNUSED_PAD src0_sel:DWORD src1_sel:BYTE_3
	v_sub_u16_sdwa v127, v127, v129 dst_sel:DWORD dst_unused:UNUSED_PAD src0_sel:WORD_1 src1_sel:WORD_1
	v_or_b32_sdwa v130, v130, v132 dst_sel:DWORD dst_unused:UNUSED_PAD src0_sel:BYTE_0 src1_sel:DWORD
	v_or_b32_sdwa v126, v127, v126 dst_sel:WORD_1 dst_unused:UNUSED_PAD src0_sel:BYTE_0 src1_sel:DWORD
	v_add_u32_e32 v129, s36, v31
	v_or_b32_sdwa v127, v130, v126 dst_sel:DWORD dst_unused:UNUSED_PAD src0_sel:WORD_0 src1_sel:DWORD
	v_add_u32_e32 v126, s34, v83
	ds_read_b32 v129, v129
	ds_read_u16 v126, v126 offset:25330
	v_mov_b32_e32 v130, 0
	v_dot4c_i32_i8_e32 v130, v131, v6
	v_dot4c_i32_i8_e32 v130, v133, v7
	;; [unrolled: 1-line block ×4, first 2 shown]
	s_waitcnt lgkmcnt(0)
	v_lshrrev_b16_e32 v131, 8, v126
	v_bfe_i32 v126, v126, 0, 8
	v_add_lshl_u32 v132, v33, s33, 2
	v_mul_lo_u32 v126, v130, v126
	v_mov_b32_e32 v130, 0
	v_dot4c_i32_i8_e32 v130, v136, v2
	v_dot4c_i32_i8_e32 v130, v137, v3
	;; [unrolled: 1-line block ×4, first 2 shown]
	v_bfe_i32 v127, v131, 0, 8
	v_add_u32_e32 v128, 0x4200, v132
	s_nop 0
	v_mad_u64_u32 v[126:127], s[38:39], v130, v127, v[126:127]
	v_cvt_f32_i32_e32 v126, v126
	v_mul_f32_e32 v127, v125, v129
	v_add_u32_e32 v130, s35, v35
	ds_read2_b32 v[128:129], v128 offset1:1
	v_fmac_f32_e32 v118, v127, v126
	ds_read2_b32 v[126:127], v130 offset1:1
	s_waitcnt lgkmcnt(1)
	v_ashrrev_i32_e32 v128, s3, v128
	v_lshlrev_b32_e32 v128, 2, v128
	s_waitcnt lgkmcnt(0)
	v_ashrrev_i32_e32 v126, s25, v126
	v_and_b32_e32 v131, 0x3030303, v126
	v_bfe_u32 v126, v126, 24, 2
	v_and_b32_e32 v128, 0x4040404, v128
	v_sub_u16_e32 v133, v131, v128
	v_sub_u16_sdwa v134, v131, v128 dst_sel:BYTE_1 dst_unused:UNUSED_PAD src0_sel:BYTE_1 src1_sel:BYTE_1
	v_sub_u16_sdwa v126, v126, v128 dst_sel:BYTE_1 dst_unused:UNUSED_PAD src0_sel:DWORD src1_sel:BYTE_3
	v_sub_u16_sdwa v128, v131, v128 dst_sel:DWORD dst_unused:UNUSED_PAD src0_sel:WORD_1 src1_sel:WORD_1
	v_or_b32_sdwa v133, v133, v134 dst_sel:DWORD dst_unused:UNUSED_PAD src0_sel:BYTE_0 src1_sel:DWORD
	v_or_b32_sdwa v126, v128, v126 dst_sel:WORD_1 dst_unused:UNUSED_PAD src0_sel:BYTE_0 src1_sel:DWORD
	v_ashrrev_i32_e32 v128, s3, v129
	v_or_b32_sdwa v131, v133, v126 dst_sel:DWORD dst_unused:UNUSED_PAD src0_sel:WORD_0 src1_sel:DWORD
	v_ashrrev_i32_e32 v126, s25, v127
	v_lshlrev_b32_e32 v128, 2, v128
	v_and_b32_e32 v127, 0x3030303, v126
	v_bfe_u32 v126, v126, 24, 2
	v_and_b32_e32 v128, 0x4040404, v128
	v_sub_u16_e32 v129, v127, v128
	v_sub_u16_sdwa v133, v127, v128 dst_sel:BYTE_1 dst_unused:UNUSED_PAD src0_sel:BYTE_1 src1_sel:BYTE_1
	v_sub_u16_sdwa v126, v126, v128 dst_sel:BYTE_1 dst_unused:UNUSED_PAD src0_sel:DWORD src1_sel:BYTE_3
	v_sub_u16_sdwa v127, v127, v128 dst_sel:DWORD dst_unused:UNUSED_PAD src0_sel:WORD_1 src1_sel:WORD_1
	v_or_b32_sdwa v129, v129, v133 dst_sel:DWORD dst_unused:UNUSED_PAD src0_sel:BYTE_0 src1_sel:DWORD
	v_or_b32_sdwa v126, v127, v126 dst_sel:WORD_1 dst_unused:UNUSED_PAD src0_sel:BYTE_0 src1_sel:DWORD
	v_add_u32_e32 v128, 0x4208, v132
	v_or_b32_sdwa v133, v129, v126 dst_sel:DWORD dst_unused:UNUSED_PAD src0_sel:WORD_0 src1_sel:DWORD
	ds_read2_b32 v[126:127], v130 offset0:2 offset1:3
	ds_read2_b32 v[128:129], v128 offset1:1
	s_waitcnt lgkmcnt(1)
	v_ashrrev_i32_e32 v126, s25, v126
	s_waitcnt lgkmcnt(0)
	v_ashrrev_i32_e32 v128, s3, v128
	v_lshlrev_b32_e32 v128, 2, v128
	v_and_b32_e32 v134, 0x3030303, v126
	v_bfe_u32 v126, v126, 24, 2
	v_and_b32_e32 v128, 0x4040404, v128
	v_sub_u16_e32 v135, v134, v128
	v_sub_u16_sdwa v136, v134, v128 dst_sel:BYTE_1 dst_unused:UNUSED_PAD src0_sel:BYTE_1 src1_sel:BYTE_1
	v_sub_u16_sdwa v126, v126, v128 dst_sel:BYTE_1 dst_unused:UNUSED_PAD src0_sel:DWORD src1_sel:BYTE_3
	v_sub_u16_sdwa v128, v134, v128 dst_sel:DWORD dst_unused:UNUSED_PAD src0_sel:WORD_1 src1_sel:WORD_1
	v_or_b32_sdwa v135, v135, v136 dst_sel:DWORD dst_unused:UNUSED_PAD src0_sel:BYTE_0 src1_sel:DWORD
	v_or_b32_sdwa v126, v128, v126 dst_sel:WORD_1 dst_unused:UNUSED_PAD src0_sel:BYTE_0 src1_sel:DWORD
	v_ashrrev_i32_e32 v128, s3, v129
	v_or_b32_sdwa v134, v135, v126 dst_sel:DWORD dst_unused:UNUSED_PAD src0_sel:WORD_0 src1_sel:DWORD
	v_ashrrev_i32_e32 v126, s25, v127
	v_lshlrev_b32_e32 v128, 2, v128
	v_and_b32_e32 v127, 0x3030303, v126
	v_bfe_u32 v126, v126, 24, 2
	v_and_b32_e32 v128, 0x4040404, v128
	v_sub_u16_e32 v129, v127, v128
	v_sub_u16_sdwa v135, v127, v128 dst_sel:BYTE_1 dst_unused:UNUSED_PAD src0_sel:BYTE_1 src1_sel:BYTE_1
	v_sub_u16_sdwa v126, v126, v128 dst_sel:BYTE_1 dst_unused:UNUSED_PAD src0_sel:DWORD src1_sel:BYTE_3
	v_sub_u16_sdwa v127, v127, v128 dst_sel:DWORD dst_unused:UNUSED_PAD src0_sel:WORD_1 src1_sel:WORD_1
	v_or_b32_sdwa v129, v129, v135 dst_sel:DWORD dst_unused:UNUSED_PAD src0_sel:BYTE_0 src1_sel:DWORD
	v_or_b32_sdwa v126, v127, v126 dst_sel:WORD_1 dst_unused:UNUSED_PAD src0_sel:BYTE_0 src1_sel:DWORD
	v_add_u32_e32 v128, 0x4210, v132
	v_or_b32_sdwa v135, v129, v126 dst_sel:DWORD dst_unused:UNUSED_PAD src0_sel:WORD_0 src1_sel:DWORD
	ds_read2_b32 v[126:127], v130 offset0:4 offset1:5
	ds_read2_b32 v[128:129], v128 offset1:1
	s_waitcnt lgkmcnt(1)
	v_ashrrev_i32_e32 v126, s25, v126
	s_waitcnt lgkmcnt(0)
	v_ashrrev_i32_e32 v128, s3, v128
	v_lshlrev_b32_e32 v128, 2, v128
	;; [unrolled: 31-line block ×3, first 2 shown]
	v_and_b32_e32 v130, 0x3030303, v126
	v_bfe_u32 v126, v126, 24, 2
	v_and_b32_e32 v128, 0x4040404, v128
	v_sub_u16_e32 v132, v130, v128
	v_sub_u16_sdwa v138, v130, v128 dst_sel:BYTE_1 dst_unused:UNUSED_PAD src0_sel:BYTE_1 src1_sel:BYTE_1
	v_sub_u16_sdwa v126, v126, v128 dst_sel:BYTE_1 dst_unused:UNUSED_PAD src0_sel:DWORD src1_sel:BYTE_3
	v_sub_u16_sdwa v128, v130, v128 dst_sel:DWORD dst_unused:UNUSED_PAD src0_sel:WORD_1 src1_sel:WORD_1
	v_or_b32_sdwa v132, v132, v138 dst_sel:DWORD dst_unused:UNUSED_PAD src0_sel:BYTE_0 src1_sel:DWORD
	v_or_b32_sdwa v126, v128, v126 dst_sel:WORD_1 dst_unused:UNUSED_PAD src0_sel:BYTE_0 src1_sel:DWORD
	v_ashrrev_i32_e32 v129, s3, v129
	v_or_b32_sdwa v128, v132, v126 dst_sel:DWORD dst_unused:UNUSED_PAD src0_sel:WORD_0 src1_sel:DWORD
	v_ashrrev_i32_e32 v126, s25, v127
	v_lshlrev_b32_e32 v129, 2, v129
	v_and_b32_e32 v127, 0x3030303, v126
	v_bfe_u32 v126, v126, 24, 2
	v_and_b32_e32 v129, 0x4040404, v129
	v_sub_u16_e32 v130, v127, v129
	v_sub_u16_sdwa v132, v127, v129 dst_sel:BYTE_1 dst_unused:UNUSED_PAD src0_sel:BYTE_1 src1_sel:BYTE_1
	v_sub_u16_sdwa v126, v126, v129 dst_sel:BYTE_1 dst_unused:UNUSED_PAD src0_sel:DWORD src1_sel:BYTE_3
	v_sub_u16_sdwa v127, v127, v129 dst_sel:DWORD dst_unused:UNUSED_PAD src0_sel:WORD_1 src1_sel:WORD_1
	v_or_b32_sdwa v130, v130, v132 dst_sel:DWORD dst_unused:UNUSED_PAD src0_sel:BYTE_0 src1_sel:DWORD
	v_or_b32_sdwa v126, v127, v126 dst_sel:WORD_1 dst_unused:UNUSED_PAD src0_sel:BYTE_0 src1_sel:DWORD
	v_add_u32_e32 v129, s36, v37
	v_or_b32_sdwa v127, v130, v126 dst_sel:DWORD dst_unused:UNUSED_PAD src0_sel:WORD_0 src1_sel:DWORD
	v_add_u32_e32 v126, s34, v81
	ds_read_b32 v129, v129
	ds_read_u16 v126, v126 offset:26354
	v_mov_b32_e32 v130, 0
	v_dot4c_i32_i8_e32 v130, v131, v6
	v_dot4c_i32_i8_e32 v130, v133, v7
	;; [unrolled: 1-line block ×4, first 2 shown]
	s_waitcnt lgkmcnt(0)
	v_lshrrev_b16_e32 v131, 8, v126
	v_bfe_i32 v126, v126, 0, 8
	v_add_lshl_u32 v132, v39, s33, 2
	v_mul_lo_u32 v126, v130, v126
	v_mov_b32_e32 v130, 0
	v_dot4c_i32_i8_e32 v130, v136, v2
	v_dot4c_i32_i8_e32 v130, v137, v3
	;; [unrolled: 1-line block ×4, first 2 shown]
	v_bfe_i32 v127, v131, 0, 8
	v_add_u32_e32 v128, 0x4200, v132
	s_nop 0
	v_mad_u64_u32 v[126:127], s[38:39], v130, v127, v[126:127]
	v_cvt_f32_i32_e32 v126, v126
	v_mul_f32_e32 v127, v125, v129
	v_add_u32_e32 v130, s35, v41
	ds_read2_b32 v[128:129], v128 offset1:1
	v_fmac_f32_e32 v119, v127, v126
	ds_read2_b32 v[126:127], v130 offset1:1
	s_waitcnt lgkmcnt(1)
	v_ashrrev_i32_e32 v128, s3, v128
	v_lshlrev_b32_e32 v128, 2, v128
	s_waitcnt lgkmcnt(0)
	v_ashrrev_i32_e32 v126, s25, v126
	v_and_b32_e32 v131, 0x3030303, v126
	v_bfe_u32 v126, v126, 24, 2
	v_and_b32_e32 v128, 0x4040404, v128
	v_sub_u16_e32 v133, v131, v128
	v_sub_u16_sdwa v134, v131, v128 dst_sel:BYTE_1 dst_unused:UNUSED_PAD src0_sel:BYTE_1 src1_sel:BYTE_1
	v_sub_u16_sdwa v126, v126, v128 dst_sel:BYTE_1 dst_unused:UNUSED_PAD src0_sel:DWORD src1_sel:BYTE_3
	v_sub_u16_sdwa v128, v131, v128 dst_sel:DWORD dst_unused:UNUSED_PAD src0_sel:WORD_1 src1_sel:WORD_1
	v_or_b32_sdwa v133, v133, v134 dst_sel:DWORD dst_unused:UNUSED_PAD src0_sel:BYTE_0 src1_sel:DWORD
	v_or_b32_sdwa v126, v128, v126 dst_sel:WORD_1 dst_unused:UNUSED_PAD src0_sel:BYTE_0 src1_sel:DWORD
	v_ashrrev_i32_e32 v128, s3, v129
	v_or_b32_sdwa v131, v133, v126 dst_sel:DWORD dst_unused:UNUSED_PAD src0_sel:WORD_0 src1_sel:DWORD
	v_ashrrev_i32_e32 v126, s25, v127
	v_lshlrev_b32_e32 v128, 2, v128
	v_and_b32_e32 v127, 0x3030303, v126
	v_bfe_u32 v126, v126, 24, 2
	v_and_b32_e32 v128, 0x4040404, v128
	v_sub_u16_e32 v129, v127, v128
	v_sub_u16_sdwa v133, v127, v128 dst_sel:BYTE_1 dst_unused:UNUSED_PAD src0_sel:BYTE_1 src1_sel:BYTE_1
	v_sub_u16_sdwa v126, v126, v128 dst_sel:BYTE_1 dst_unused:UNUSED_PAD src0_sel:DWORD src1_sel:BYTE_3
	v_sub_u16_sdwa v127, v127, v128 dst_sel:DWORD dst_unused:UNUSED_PAD src0_sel:WORD_1 src1_sel:WORD_1
	v_or_b32_sdwa v129, v129, v133 dst_sel:DWORD dst_unused:UNUSED_PAD src0_sel:BYTE_0 src1_sel:DWORD
	v_or_b32_sdwa v126, v127, v126 dst_sel:WORD_1 dst_unused:UNUSED_PAD src0_sel:BYTE_0 src1_sel:DWORD
	v_add_u32_e32 v128, 0x4208, v132
	v_or_b32_sdwa v133, v129, v126 dst_sel:DWORD dst_unused:UNUSED_PAD src0_sel:WORD_0 src1_sel:DWORD
	ds_read2_b32 v[126:127], v130 offset0:2 offset1:3
	ds_read2_b32 v[128:129], v128 offset1:1
	s_waitcnt lgkmcnt(1)
	v_ashrrev_i32_e32 v126, s25, v126
	s_waitcnt lgkmcnt(0)
	v_ashrrev_i32_e32 v128, s3, v128
	v_lshlrev_b32_e32 v128, 2, v128
	v_and_b32_e32 v134, 0x3030303, v126
	v_bfe_u32 v126, v126, 24, 2
	v_and_b32_e32 v128, 0x4040404, v128
	v_sub_u16_e32 v135, v134, v128
	v_sub_u16_sdwa v136, v134, v128 dst_sel:BYTE_1 dst_unused:UNUSED_PAD src0_sel:BYTE_1 src1_sel:BYTE_1
	v_sub_u16_sdwa v126, v126, v128 dst_sel:BYTE_1 dst_unused:UNUSED_PAD src0_sel:DWORD src1_sel:BYTE_3
	v_sub_u16_sdwa v128, v134, v128 dst_sel:DWORD dst_unused:UNUSED_PAD src0_sel:WORD_1 src1_sel:WORD_1
	v_or_b32_sdwa v135, v135, v136 dst_sel:DWORD dst_unused:UNUSED_PAD src0_sel:BYTE_0 src1_sel:DWORD
	v_or_b32_sdwa v126, v128, v126 dst_sel:WORD_1 dst_unused:UNUSED_PAD src0_sel:BYTE_0 src1_sel:DWORD
	v_ashrrev_i32_e32 v128, s3, v129
	v_or_b32_sdwa v134, v135, v126 dst_sel:DWORD dst_unused:UNUSED_PAD src0_sel:WORD_0 src1_sel:DWORD
	v_ashrrev_i32_e32 v126, s25, v127
	v_lshlrev_b32_e32 v128, 2, v128
	v_and_b32_e32 v127, 0x3030303, v126
	v_bfe_u32 v126, v126, 24, 2
	v_and_b32_e32 v128, 0x4040404, v128
	v_sub_u16_e32 v129, v127, v128
	v_sub_u16_sdwa v135, v127, v128 dst_sel:BYTE_1 dst_unused:UNUSED_PAD src0_sel:BYTE_1 src1_sel:BYTE_1
	v_sub_u16_sdwa v126, v126, v128 dst_sel:BYTE_1 dst_unused:UNUSED_PAD src0_sel:DWORD src1_sel:BYTE_3
	v_sub_u16_sdwa v127, v127, v128 dst_sel:DWORD dst_unused:UNUSED_PAD src0_sel:WORD_1 src1_sel:WORD_1
	v_or_b32_sdwa v129, v129, v135 dst_sel:DWORD dst_unused:UNUSED_PAD src0_sel:BYTE_0 src1_sel:DWORD
	v_or_b32_sdwa v126, v127, v126 dst_sel:WORD_1 dst_unused:UNUSED_PAD src0_sel:BYTE_0 src1_sel:DWORD
	v_add_u32_e32 v128, 0x4210, v132
	v_or_b32_sdwa v135, v129, v126 dst_sel:DWORD dst_unused:UNUSED_PAD src0_sel:WORD_0 src1_sel:DWORD
	ds_read2_b32 v[126:127], v130 offset0:4 offset1:5
	ds_read2_b32 v[128:129], v128 offset1:1
	s_waitcnt lgkmcnt(1)
	v_ashrrev_i32_e32 v126, s25, v126
	s_waitcnt lgkmcnt(0)
	v_ashrrev_i32_e32 v128, s3, v128
	v_lshlrev_b32_e32 v128, 2, v128
	;; [unrolled: 31-line block ×3, first 2 shown]
	v_and_b32_e32 v130, 0x3030303, v126
	v_bfe_u32 v126, v126, 24, 2
	v_and_b32_e32 v128, 0x4040404, v128
	v_sub_u16_e32 v132, v130, v128
	v_sub_u16_sdwa v138, v130, v128 dst_sel:BYTE_1 dst_unused:UNUSED_PAD src0_sel:BYTE_1 src1_sel:BYTE_1
	v_sub_u16_sdwa v126, v126, v128 dst_sel:BYTE_1 dst_unused:UNUSED_PAD src0_sel:DWORD src1_sel:BYTE_3
	v_sub_u16_sdwa v128, v130, v128 dst_sel:DWORD dst_unused:UNUSED_PAD src0_sel:WORD_1 src1_sel:WORD_1
	v_or_b32_sdwa v132, v132, v138 dst_sel:DWORD dst_unused:UNUSED_PAD src0_sel:BYTE_0 src1_sel:DWORD
	v_or_b32_sdwa v126, v128, v126 dst_sel:WORD_1 dst_unused:UNUSED_PAD src0_sel:BYTE_0 src1_sel:DWORD
	v_ashrrev_i32_e32 v129, s3, v129
	v_or_b32_sdwa v128, v132, v126 dst_sel:DWORD dst_unused:UNUSED_PAD src0_sel:WORD_0 src1_sel:DWORD
	v_ashrrev_i32_e32 v126, s25, v127
	v_lshlrev_b32_e32 v129, 2, v129
	v_and_b32_e32 v127, 0x3030303, v126
	v_bfe_u32 v126, v126, 24, 2
	v_and_b32_e32 v129, 0x4040404, v129
	v_sub_u16_e32 v130, v127, v129
	v_sub_u16_sdwa v132, v127, v129 dst_sel:BYTE_1 dst_unused:UNUSED_PAD src0_sel:BYTE_1 src1_sel:BYTE_1
	v_sub_u16_sdwa v126, v126, v129 dst_sel:BYTE_1 dst_unused:UNUSED_PAD src0_sel:DWORD src1_sel:BYTE_3
	v_sub_u16_sdwa v127, v127, v129 dst_sel:DWORD dst_unused:UNUSED_PAD src0_sel:WORD_1 src1_sel:WORD_1
	v_or_b32_sdwa v130, v130, v132 dst_sel:DWORD dst_unused:UNUSED_PAD src0_sel:BYTE_0 src1_sel:DWORD
	v_or_b32_sdwa v126, v127, v126 dst_sel:WORD_1 dst_unused:UNUSED_PAD src0_sel:BYTE_0 src1_sel:DWORD
	v_add_u32_e32 v129, s36, v43
	v_or_b32_sdwa v127, v130, v126 dst_sel:DWORD dst_unused:UNUSED_PAD src0_sel:WORD_0 src1_sel:DWORD
	v_add_u32_e32 v126, s34, v79
	ds_read_b32 v129, v129
	ds_read_u16 v126, v126 offset:27378
	v_mov_b32_e32 v130, 0
	v_dot4c_i32_i8_e32 v130, v131, v6
	v_dot4c_i32_i8_e32 v130, v133, v7
	;; [unrolled: 1-line block ×4, first 2 shown]
	s_waitcnt lgkmcnt(0)
	v_lshrrev_b16_e32 v131, 8, v126
	v_bfe_i32 v126, v126, 0, 8
	v_add_lshl_u32 v132, v45, s33, 2
	v_mul_lo_u32 v126, v130, v126
	v_mov_b32_e32 v130, 0
	v_dot4c_i32_i8_e32 v130, v136, v2
	v_dot4c_i32_i8_e32 v130, v137, v3
	;; [unrolled: 1-line block ×4, first 2 shown]
	v_bfe_i32 v127, v131, 0, 8
	v_add_u32_e32 v128, 0x4200, v132
	s_nop 0
	v_mad_u64_u32 v[126:127], s[38:39], v130, v127, v[126:127]
	v_cvt_f32_i32_e32 v126, v126
	v_mul_f32_e32 v127, v125, v129
	v_add_u32_e32 v130, s35, v47
	ds_read2_b32 v[128:129], v128 offset1:1
	v_fmac_f32_e32 v120, v127, v126
	ds_read2_b32 v[126:127], v130 offset1:1
	s_waitcnt lgkmcnt(1)
	v_ashrrev_i32_e32 v128, s3, v128
	v_lshlrev_b32_e32 v128, 2, v128
	s_waitcnt lgkmcnt(0)
	v_ashrrev_i32_e32 v126, s25, v126
	v_and_b32_e32 v131, 0x3030303, v126
	v_bfe_u32 v126, v126, 24, 2
	v_and_b32_e32 v128, 0x4040404, v128
	v_sub_u16_e32 v133, v131, v128
	v_sub_u16_sdwa v134, v131, v128 dst_sel:BYTE_1 dst_unused:UNUSED_PAD src0_sel:BYTE_1 src1_sel:BYTE_1
	v_sub_u16_sdwa v126, v126, v128 dst_sel:BYTE_1 dst_unused:UNUSED_PAD src0_sel:DWORD src1_sel:BYTE_3
	v_sub_u16_sdwa v128, v131, v128 dst_sel:DWORD dst_unused:UNUSED_PAD src0_sel:WORD_1 src1_sel:WORD_1
	v_or_b32_sdwa v133, v133, v134 dst_sel:DWORD dst_unused:UNUSED_PAD src0_sel:BYTE_0 src1_sel:DWORD
	v_or_b32_sdwa v126, v128, v126 dst_sel:WORD_1 dst_unused:UNUSED_PAD src0_sel:BYTE_0 src1_sel:DWORD
	v_ashrrev_i32_e32 v128, s3, v129
	v_or_b32_sdwa v131, v133, v126 dst_sel:DWORD dst_unused:UNUSED_PAD src0_sel:WORD_0 src1_sel:DWORD
	v_ashrrev_i32_e32 v126, s25, v127
	v_lshlrev_b32_e32 v128, 2, v128
	v_and_b32_e32 v127, 0x3030303, v126
	v_bfe_u32 v126, v126, 24, 2
	v_and_b32_e32 v128, 0x4040404, v128
	v_sub_u16_e32 v129, v127, v128
	v_sub_u16_sdwa v133, v127, v128 dst_sel:BYTE_1 dst_unused:UNUSED_PAD src0_sel:BYTE_1 src1_sel:BYTE_1
	v_sub_u16_sdwa v126, v126, v128 dst_sel:BYTE_1 dst_unused:UNUSED_PAD src0_sel:DWORD src1_sel:BYTE_3
	v_sub_u16_sdwa v127, v127, v128 dst_sel:DWORD dst_unused:UNUSED_PAD src0_sel:WORD_1 src1_sel:WORD_1
	v_or_b32_sdwa v129, v129, v133 dst_sel:DWORD dst_unused:UNUSED_PAD src0_sel:BYTE_0 src1_sel:DWORD
	v_or_b32_sdwa v126, v127, v126 dst_sel:WORD_1 dst_unused:UNUSED_PAD src0_sel:BYTE_0 src1_sel:DWORD
	v_add_u32_e32 v128, 0x4208, v132
	v_or_b32_sdwa v133, v129, v126 dst_sel:DWORD dst_unused:UNUSED_PAD src0_sel:WORD_0 src1_sel:DWORD
	ds_read2_b32 v[126:127], v130 offset0:2 offset1:3
	ds_read2_b32 v[128:129], v128 offset1:1
	s_waitcnt lgkmcnt(1)
	v_ashrrev_i32_e32 v126, s25, v126
	s_waitcnt lgkmcnt(0)
	v_ashrrev_i32_e32 v128, s3, v128
	v_lshlrev_b32_e32 v128, 2, v128
	v_and_b32_e32 v134, 0x3030303, v126
	v_bfe_u32 v126, v126, 24, 2
	v_and_b32_e32 v128, 0x4040404, v128
	v_sub_u16_e32 v135, v134, v128
	v_sub_u16_sdwa v136, v134, v128 dst_sel:BYTE_1 dst_unused:UNUSED_PAD src0_sel:BYTE_1 src1_sel:BYTE_1
	v_sub_u16_sdwa v126, v126, v128 dst_sel:BYTE_1 dst_unused:UNUSED_PAD src0_sel:DWORD src1_sel:BYTE_3
	v_sub_u16_sdwa v128, v134, v128 dst_sel:DWORD dst_unused:UNUSED_PAD src0_sel:WORD_1 src1_sel:WORD_1
	v_or_b32_sdwa v135, v135, v136 dst_sel:DWORD dst_unused:UNUSED_PAD src0_sel:BYTE_0 src1_sel:DWORD
	v_or_b32_sdwa v126, v128, v126 dst_sel:WORD_1 dst_unused:UNUSED_PAD src0_sel:BYTE_0 src1_sel:DWORD
	v_ashrrev_i32_e32 v128, s3, v129
	v_or_b32_sdwa v134, v135, v126 dst_sel:DWORD dst_unused:UNUSED_PAD src0_sel:WORD_0 src1_sel:DWORD
	v_ashrrev_i32_e32 v126, s25, v127
	v_lshlrev_b32_e32 v128, 2, v128
	v_and_b32_e32 v127, 0x3030303, v126
	v_bfe_u32 v126, v126, 24, 2
	v_and_b32_e32 v128, 0x4040404, v128
	v_sub_u16_e32 v129, v127, v128
	v_sub_u16_sdwa v135, v127, v128 dst_sel:BYTE_1 dst_unused:UNUSED_PAD src0_sel:BYTE_1 src1_sel:BYTE_1
	v_sub_u16_sdwa v126, v126, v128 dst_sel:BYTE_1 dst_unused:UNUSED_PAD src0_sel:DWORD src1_sel:BYTE_3
	v_sub_u16_sdwa v127, v127, v128 dst_sel:DWORD dst_unused:UNUSED_PAD src0_sel:WORD_1 src1_sel:WORD_1
	v_or_b32_sdwa v129, v129, v135 dst_sel:DWORD dst_unused:UNUSED_PAD src0_sel:BYTE_0 src1_sel:DWORD
	v_or_b32_sdwa v126, v127, v126 dst_sel:WORD_1 dst_unused:UNUSED_PAD src0_sel:BYTE_0 src1_sel:DWORD
	v_add_u32_e32 v128, 0x4210, v132
	v_or_b32_sdwa v135, v129, v126 dst_sel:DWORD dst_unused:UNUSED_PAD src0_sel:WORD_0 src1_sel:DWORD
	ds_read2_b32 v[126:127], v130 offset0:4 offset1:5
	ds_read2_b32 v[128:129], v128 offset1:1
	s_waitcnt lgkmcnt(1)
	v_ashrrev_i32_e32 v126, s25, v126
	s_waitcnt lgkmcnt(0)
	v_ashrrev_i32_e32 v128, s3, v128
	v_lshlrev_b32_e32 v128, 2, v128
	;; [unrolled: 31-line block ×3, first 2 shown]
	v_and_b32_e32 v130, 0x3030303, v126
	v_bfe_u32 v126, v126, 24, 2
	v_and_b32_e32 v128, 0x4040404, v128
	v_ashrrev_i32_e32 v129, s3, v129
	v_sub_u16_e32 v132, v130, v128
	v_sub_u16_sdwa v138, v130, v128 dst_sel:BYTE_1 dst_unused:UNUSED_PAD src0_sel:BYTE_1 src1_sel:BYTE_1
	v_sub_u16_sdwa v126, v126, v128 dst_sel:BYTE_1 dst_unused:UNUSED_PAD src0_sel:DWORD src1_sel:BYTE_3
	v_sub_u16_sdwa v128, v130, v128 dst_sel:DWORD dst_unused:UNUSED_PAD src0_sel:WORD_1 src1_sel:WORD_1
	v_ashrrev_i32_e32 v127, s25, v127
	v_lshlrev_b32_e32 v129, 2, v129
	v_or_b32_sdwa v132, v132, v138 dst_sel:DWORD dst_unused:UNUSED_PAD src0_sel:BYTE_0 src1_sel:DWORD
	v_or_b32_sdwa v126, v128, v126 dst_sel:WORD_1 dst_unused:UNUSED_PAD src0_sel:BYTE_0 src1_sel:DWORD
	v_and_b32_e32 v128, 0x3030303, v127
	v_bfe_u32 v127, v127, 24, 2
	v_and_b32_e32 v129, 0x4040404, v129
	v_or_b32_sdwa v126, v132, v126 dst_sel:DWORD dst_unused:UNUSED_PAD src0_sel:WORD_0 src1_sel:DWORD
	v_sub_u16_e32 v130, v128, v129
	v_sub_u16_sdwa v132, v128, v129 dst_sel:BYTE_1 dst_unused:UNUSED_PAD src0_sel:BYTE_1 src1_sel:BYTE_1
	v_sub_u16_sdwa v127, v127, v129 dst_sel:BYTE_1 dst_unused:UNUSED_PAD src0_sel:DWORD src1_sel:BYTE_3
	v_sub_u16_sdwa v128, v128, v129 dst_sel:DWORD dst_unused:UNUSED_PAD src0_sel:WORD_1 src1_sel:WORD_1
	v_or_b32_sdwa v130, v130, v132 dst_sel:DWORD dst_unused:UNUSED_PAD src0_sel:BYTE_0 src1_sel:DWORD
	v_or_b32_sdwa v127, v128, v127 dst_sel:WORD_1 dst_unused:UNUSED_PAD src0_sel:BYTE_0 src1_sel:DWORD
	v_add_u32_e32 v128, s34, v77
	v_or_b32_sdwa v127, v130, v127 dst_sel:DWORD dst_unused:UNUSED_PAD src0_sel:WORD_0 src1_sel:DWORD
	v_add_u32_e32 v129, s36, v49
	v_mov_b32_e32 v130, 0
	ds_read_b32 v129, v129
	v_dot4c_i32_i8_e32 v130, v131, v6
	ds_read_u16 v6, v128 offset:28402
	v_dot4c_i32_i8_e32 v130, v133, v7
	v_dot4c_i32_i8_e32 v130, v134, v8
	v_mov_b32_e32 v8, 0
	v_dot4c_i32_i8_e32 v8, v136, v2
	v_dot4c_i32_i8_e32 v8, v137, v3
	;; [unrolled: 1-line block ×3, first 2 shown]
	s_waitcnt lgkmcnt(0)
	v_lshrrev_b16_e32 v7, 8, v6
	v_bfe_i32 v6, v6, 0, 8
	v_dot4c_i32_i8_e32 v8, v126, v4
	v_mul_lo_u32 v6, v130, v6
	v_dot4c_i32_i8_e32 v8, v127, v5
	v_bfe_i32 v2, v7, 0, 8
	s_add_i32 s3, s3, 1
	s_cmp_lt_u32 s24, 30
	v_mad_u64_u32 v[2:3], s[34:35], v8, v2, v[6:7]
	v_cvt_f32_i32_e32 v2, v2
	v_mul_f32_e32 v3, v125, v129
	s_mov_b32 s34, s24
	v_fmac_f32_e32 v121, v3, v2
	s_cbranch_scc1 .LBB210_36
; %bb.37:                               ;   in Loop: Header=BB210_5 Depth=1
	s_barrier
	s_branch .LBB210_4
.LBB210_38:
	v_mov_b32_e32 v2, 0
	v_mov_b32_e32 v4, 0
	;; [unrolled: 1-line block ×3, first 2 shown]
	s_mul_i32 s0, s10, s7
	s_waitcnt vmcnt(0)
	v_cmp_gt_i32_e32 vcc, s0, v1
	s_and_saveexec_b64 s[0:1], vcc
	s_cbranch_execnz .LBB210_41
.LBB210_39:
	s_endpgm
.LBB210_40:
	v_cvt_f16_f32_e32 v6, v118
	v_cvt_f16_f32_e32 v4, v119
	;; [unrolled: 1-line block ×4, first 2 shown]
	s_mul_i32 s0, s10, s7
	v_cmp_gt_i32_e32 vcc, s0, v1
	s_and_saveexec_b64 s[0:1], vcc
	s_cbranch_execz .LBB210_39
.LBB210_41:
	v_and_b32_e32 v0, 0x3ff, v0
	v_add_u32_e32 v5, s11, v0
	v_mul_lo_u32 v0, v1, s9
	v_cmp_gt_u32_e32 vcc, s9, v5
	s_and_saveexec_b64 s[0:1], vcc
	s_cbranch_execz .LBB210_43
; %bb.42:
	v_add_u32_e32 v8, v0, v5
	v_mov_b32_e32 v9, 0
	v_lshl_add_u64 v[8:9], v[8:9], 1, s[16:17]
	global_store_short v[8:9], v6, off
.LBB210_43:
	s_or_b64 exec, exec, s[0:1]
	v_add_u32_e32 v1, 32, v5
	v_cmp_gt_u32_e32 vcc, s9, v1
	s_and_saveexec_b64 s[0:1], vcc
	s_cbranch_execz .LBB210_45
; %bb.44:
	v_add_u32_e32 v6, v0, v1
	v_mov_b32_e32 v7, 0
	v_lshl_add_u64 v[6:7], v[6:7], 1, s[16:17]
	global_store_short v[6:7], v4, off
.LBB210_45:
	s_or_b64 exec, exec, s[0:1]
	v_add_u32_e32 v1, 64, v5
	v_cmp_gt_u32_e32 vcc, s9, v1
	s_and_saveexec_b64 s[0:1], vcc
	s_cbranch_execz .LBB210_47
; %bb.46:
	v_add_u32_e32 v6, v0, v1
	v_mov_b32_e32 v7, 0
	v_lshl_add_u64 v[6:7], v[6:7], 1, s[16:17]
	global_store_short v[6:7], v2, off
.LBB210_47:
	s_or_b64 exec, exec, s[0:1]
	v_add_u32_e32 v1, 0x60, v5
	v_cmp_gt_u32_e32 vcc, s9, v1
	s_and_b64 exec, exec, vcc
	s_cbranch_execz .LBB210_39
; %bb.48:
	v_add_u32_e32 v0, v0, v1
	v_mov_b32_e32 v1, 0
	v_lshl_add_u64 v[0:1], v[0:1], 1, s[16:17]
	global_store_short v[0:1], v3, off
	s_endpgm
	.section	.rodata,"a",@progbits
	.p2align	6, 0x0
	.amdhsa_kernel _ZL8moe_q3_KIN3c104HalfELb1EEvPKvS3_PT_PKiS7_S7_iiiiiii
		.amdhsa_group_segment_fixed_size 31776
		.amdhsa_private_segment_fixed_size 0
		.amdhsa_kernarg_size 76
		.amdhsa_user_sgpr_count 2
		.amdhsa_user_sgpr_dispatch_ptr 0
		.amdhsa_user_sgpr_queue_ptr 0
		.amdhsa_user_sgpr_kernarg_segment_ptr 1
		.amdhsa_user_sgpr_dispatch_id 0
		.amdhsa_user_sgpr_kernarg_preload_length 0
		.amdhsa_user_sgpr_kernarg_preload_offset 0
		.amdhsa_user_sgpr_private_segment_size 0
		.amdhsa_uses_dynamic_stack 0
		.amdhsa_enable_private_segment 0
		.amdhsa_system_sgpr_workgroup_id_x 1
		.amdhsa_system_sgpr_workgroup_id_y 1
		.amdhsa_system_sgpr_workgroup_id_z 0
		.amdhsa_system_sgpr_workgroup_info 0
		.amdhsa_system_vgpr_workitem_id 1
		.amdhsa_next_free_vgpr 153
		.amdhsa_next_free_sgpr 42
		.amdhsa_accum_offset 156
		.amdhsa_reserve_vcc 1
		.amdhsa_float_round_mode_32 0
		.amdhsa_float_round_mode_16_64 0
		.amdhsa_float_denorm_mode_32 3
		.amdhsa_float_denorm_mode_16_64 3
		.amdhsa_dx10_clamp 1
		.amdhsa_ieee_mode 1
		.amdhsa_fp16_overflow 0
		.amdhsa_tg_split 0
		.amdhsa_exception_fp_ieee_invalid_op 0
		.amdhsa_exception_fp_denorm_src 0
		.amdhsa_exception_fp_ieee_div_zero 0
		.amdhsa_exception_fp_ieee_overflow 0
		.amdhsa_exception_fp_ieee_underflow 0
		.amdhsa_exception_fp_ieee_inexact 0
		.amdhsa_exception_int_div_zero 0
	.end_amdhsa_kernel
	.section	.text._ZL8moe_q3_KIN3c104HalfELb1EEvPKvS3_PT_PKiS7_S7_iiiiiii,"axG",@progbits,_ZL8moe_q3_KIN3c104HalfELb1EEvPKvS3_PT_PKiS7_S7_iiiiiii,comdat
.Lfunc_end210:
	.size	_ZL8moe_q3_KIN3c104HalfELb1EEvPKvS3_PT_PKiS7_S7_iiiiiii, .Lfunc_end210-_ZL8moe_q3_KIN3c104HalfELb1EEvPKvS3_PT_PKiS7_S7_iiiiiii
                                        ; -- End function
	.section	.AMDGPU.csdata,"",@progbits
; Kernel info:
; codeLenInByte = 20412
; NumSgprs: 48
; NumVgprs: 153
; NumAgprs: 0
; TotalNumVgprs: 153
; ScratchSize: 0
; MemoryBound: 0
; FloatMode: 240
; IeeeMode: 1
; LDSByteSize: 31776 bytes/workgroup (compile time only)
; SGPRBlocks: 5
; VGPRBlocks: 19
; NumSGPRsForWavesPerEU: 48
; NumVGPRsForWavesPerEU: 153
; AccumOffset: 156
; Occupancy: 2
; WaveLimiterHint : 1
; COMPUTE_PGM_RSRC2:SCRATCH_EN: 0
; COMPUTE_PGM_RSRC2:USER_SGPR: 2
; COMPUTE_PGM_RSRC2:TRAP_HANDLER: 0
; COMPUTE_PGM_RSRC2:TGID_X_EN: 1
; COMPUTE_PGM_RSRC2:TGID_Y_EN: 1
; COMPUTE_PGM_RSRC2:TGID_Z_EN: 0
; COMPUTE_PGM_RSRC2:TIDIG_COMP_CNT: 1
; COMPUTE_PGM_RSRC3_GFX90A:ACCUM_OFFSET: 38
; COMPUTE_PGM_RSRC3_GFX90A:TG_SPLIT: 0
	.section	.text._ZL8moe_q4_KIN3c104HalfELb0EEvPKvS3_PT_PKiS7_S7_iiiiiii,"axG",@progbits,_ZL8moe_q4_KIN3c104HalfELb0EEvPKvS3_PT_PKiS7_S7_iiiiiii,comdat
	.globl	_ZL8moe_q4_KIN3c104HalfELb0EEvPKvS3_PT_PKiS7_S7_iiiiiii ; -- Begin function _ZL8moe_q4_KIN3c104HalfELb0EEvPKvS3_PT_PKiS7_S7_iiiiiii
	.p2align	8
	.type	_ZL8moe_q4_KIN3c104HalfELb0EEvPKvS3_PT_PKiS7_S7_iiiiiii,@function
_ZL8moe_q4_KIN3c104HalfELb0EEvPKvS3_PT_PKiS7_S7_iiiiiii: ; @_ZL8moe_q4_KIN3c104HalfELb0EEvPKvS3_PT_PKiS7_S7_iiiiiii
; %bb.0:
	s_load_dwordx4 s[4:7], s[0:1], 0x18
	s_mov_b32 s8, s3
	s_mov_b32 s9, 0
	s_lshl_b64 s[10:11], s[8:9], 2
	s_waitcnt lgkmcnt(0)
	s_add_u32 s6, s6, s10
	s_addc_u32 s7, s7, s11
	s_load_dword s3, s[6:7], 0x0
	s_waitcnt lgkmcnt(0)
	s_cmpk_gt_u32 s3, 0xff
	s_cbranch_scc1 .LBB211_19
; %bb.1:
	s_load_dwordx2 s[6:7], s[0:1], 0x28
	s_waitcnt lgkmcnt(0)
	s_load_dword s7, s[6:7], 0x0
	s_lshl_b32 s6, s8, 3
	s_waitcnt lgkmcnt(0)
	s_cmp_gt_u32 s6, s7
	s_cbranch_scc1 .LBB211_19
; %bb.2:
	v_bfe_u32 v4, v0, 10, 10
	v_mov_b32_e32 v6, s4
	v_mov_b32_e32 v7, s5
	v_add_u32_e32 v2, s6, v4
	v_mov_b32_e32 v3, 0
	v_lshl_add_u64 v[6:7], v[2:3], 2, v[6:7]
	global_load_dword v1, v[6:7], off
	s_load_dwordx2 s[14:15], s[0:1], 0x30
	s_load_dwordx2 s[12:13], s[0:1], 0x10
	s_load_dwordx4 s[4:7], s[0:1], 0x3c
	s_lshl_b32 s24, s2, 7
	s_mov_b32 s22, 0
	s_waitcnt lgkmcnt(0)
	s_cmpk_lt_i32 s15, 0x100
	s_cbranch_scc1 .LBB211_18
; %bb.3:
	s_load_dwordx4 s[8:11], s[0:1], 0x0
	s_ashr_i32 s0, s15, 31
	s_lshr_b32 s0, s0, 24
	s_add_i32 s0, s15, s0
	s_ashr_i32 s25, s0, 8
	s_ashr_i32 s0, s5, 31
	s_lshr_b32 s0, s0, 27
	s_add_i32 s0, s5, s0
	v_and_b32_e32 v22, 0x3ff, v0
	s_ashr_i32 s5, s0, 5
	v_lshlrev_b32_e32 v6, 2, v22
	s_movk_i32 s0, 0x84
	v_mad_u32_u24 v92, v4, s0, v6
	s_lshl_b32 s0, s25, 3
	v_mov_b32_e32 v2, s0
	v_mad_i32_i24 v8, s25, v4, v2
	v_add_u32_e32 v9, s0, v8
	v_add_u32_e32 v10, s0, v9
	;; [unrolled: 1-line block ×10, first 2 shown]
	v_lshlrev_b32_e32 v2, 5, v4
	v_add_u32_e32 v19, s0, v18
	v_add_u32_e32 v23, v2, v22
	;; [unrolled: 1-line block ×3, first 2 shown]
	v_and_b32_e32 v3, 0x7f, v23
	v_lshrrev_b32_e32 v26, 3, v23
	v_add_u32_e32 v21, s0, v20
	v_mul_i32_i24_e32 v62, s25, v3
	v_and_b32_e32 v26, 12, v26
	v_lshlrev_b32_e32 v3, 2, v3
	s_movk_i32 s0, 0x4e40
	v_and_b32_e32 v28, 3, v22
	v_add3_u32 v108, v3, v26, s0
	v_lshlrev_b32_e32 v3, 3, v4
	v_lshrrev_b32_e32 v26, 2, v22
	v_add_u32_e32 v29, 0xfe, v28
	v_cmp_gt_u32_e32 vcc, 2, v28
	v_add_u32_e32 v27, v26, v3
	v_add_u16_e32 v3, v26, v3
	v_cndmask_b32_e32 v29, v29, v28, vcc
	s_mul_i32 s16, s3, s14
	v_and_b32_e32 v29, 0xff, v29
	v_cmp_ne_u32_e32 vcc, 0, v28
	v_cmp_lt_u32_e64 s[2:3], 1, v28
	v_and_b32_e32 v27, 0x7f, v27
	v_lshlrev_b32_e32 v28, 2, v28
	v_lshrrev_b16_e32 v3, 1, v3
	v_addc_co_u32_e32 v64, vcc, 0, v29, vcc
	v_lshlrev_b32_e32 v110, 1, v29
	v_lshl_or_b32 v29, v27, 4, v28
	v_and_b32_e32 v3, 60, v3
	s_movk_i32 s1, 0x4200
	v_add3_u32 v111, v29, v3, s1
	v_xor_b32_e32 v3, 64, v27
	v_mul_i32_i24_e32 v68, s25, v3
	v_lshl_or_b32 v26, v3, 4, v28
	v_lshrrev_b32_e32 v3, 1, v3
	v_mov_b32_e32 v25, 0
	v_and_b32_e32 v3, 60, v3
	v_add3_u32 v112, v26, v3, s1
	v_and_or_b32 v28, v22, 31, v2
	v_and_b32_e32 v2, 28, v6
	v_mov_b32_e32 v3, v25
	s_movk_i32 s1, 0xffe4
	v_mul_i32_i24_e32 v65, s25, v27
	s_waitcnt lgkmcnt(0)
	v_lshl_add_u64 v[26:27], s[10:11], 0, v[2:3]
	v_mov_b32_e32 v2, 0x4a40
	v_mad_i32_i24 v3, v4, s1, v23
	v_mov_b32_e32 v23, 0x5050
	v_lshrrev_b32_e32 v115, 3, v22
	v_lshrrev_b32_e32 v5, 5, v22
	v_lshl_add_u32 v113, v28, 2, v2
	v_lshl_add_u32 v114, v3, 2, v23
	;; [unrolled: 1-line block ×3, first 2 shown]
	v_add_u32_e32 v2, v115, v6
	v_mov_b32_e32 v3, 0x4200
	v_lshl_add_u32 v118, v2, 2, v3
	v_lshlrev_b32_e32 v2, 2, v5
	v_add3_u32 v120, v2, v6, s0
	v_add_u32_e32 v2, 32, v22
	v_lshrrev_b32_e32 v121, 3, v2
	v_lshl_add_u32 v2, v2, 2, v121
	v_lshl_add_u32 v122, v2, 2, v3
	v_and_b32_e32 v2, 60, v121
	v_add3_u32 v123, v6, v2, s0
	v_add_u32_e32 v2, 64, v22
	v_lshrrev_b32_e32 v23, 3, v2
	v_lshl_add_u32 v2, v2, 2, v23
	s_abs_i32 s18, s7
	v_lshl_add_u32 v124, v2, 2, v3
	v_and_b32_e32 v2, 60, v23
	v_cvt_f32_u32_e32 v28, s18
	v_add3_u32 v125, v6, v2, s0
	v_add_u32_e32 v2, 0x60, v22
	v_lshrrev_b32_e32 v23, 3, v2
	v_lshl_add_u32 v2, v2, 2, v23
	v_lshl_add_u32 v126, v2, 2, v3
	v_rcp_iflag_f32_e32 v3, v28
	v_and_b32_e32 v2, 60, v23
	v_add3_u32 v127, v6, v2, s0
	s_sub_i32 s0, 0, s18
	v_mul_f32_e32 v3, 0x4f7ffffe, v3
	v_cvt_u32_f32_e32 v3, v3
	v_and_b32_e32 v24, 0x7c, v6
	v_and_b32_e32 v30, 4, v6
	s_waitcnt vmcnt(0)
	v_sub_u32_e32 v6, 0, v1
	v_mul_lo_u32 v23, s0, v3
	v_mul_hi_u32 v23, v3, v23
	v_max_i32_e32 v6, v1, v6
	v_add_u32_e32 v3, v3, v23
	v_mul_hi_u32 v3, v6, v3
	v_mul_lo_u32 v23, v3, s18
	v_sub_u32_e32 v6, v6, v23
	v_add_u32_e32 v23, 1, v3
	v_cmp_le_u32_e64 s[0:1], s18, v6
	v_xor_b32_e32 v2, s7, v1
	v_ashrrev_i32_e32 v2, 31, v2
	v_cndmask_b32_e64 v3, v3, v23, s[0:1]
	v_subrev_u32_e32 v23, s18, v6
	v_cndmask_b32_e64 v6, v6, v23, s[0:1]
	v_add_u32_e32 v23, 1, v3
	v_cmp_le_u32_e64 s[0:1], s18, v6
	s_mul_i32 s14, s25, s24
	s_mul_hi_i32 s27, s14, 0x90
	v_cndmask_b32_e64 v3, v3, v23, s[0:1]
	v_xor_b32_e32 v3, v3, v2
	v_sub_u32_e32 v2, v3, v2
	s_mul_i32 s26, s14, 0x90
	v_cmp_gt_i32_e64 s[0:1], s4, v2
	v_mul_lo_u32 v28, v2, s5
	s_movk_i32 s23, 0x90
	v_mov_b64_e32 v[2:3], s[26:27]
	v_mul_i32_i24_e32 v7, s25, v4
	v_mad_u64_u32 v[2:3], s[28:29], v5, s23, v[2:3]
	v_mad_u64_u32 v[6:7], s[28:29], v7, s23, v[2:3]
	v_lshl_add_u64 v[6:7], v[6:7], 0, v[24:25]
	v_lshl_add_u64 v[6:7], v[6:7], 0, s[8:9]
	v_cndmask_b32_e64 v109, 0, v30, s[2:3]
	v_lshl_add_u64 v[30:31], v[6:7], 0, 16
	v_mad_u64_u32 v[6:7], s[28:29], v8, s23, v[2:3]
	v_lshl_add_u64 v[6:7], v[6:7], 0, v[24:25]
	v_lshl_add_u64 v[6:7], v[6:7], 0, s[8:9]
	v_lshl_add_u64 v[32:33], v[6:7], 0, 16
	v_mad_u64_u32 v[6:7], s[28:29], v9, s23, v[2:3]
	v_lshl_add_u64 v[6:7], v[6:7], 0, v[24:25]
	v_lshl_add_u64 v[6:7], v[6:7], 0, s[8:9]
	;; [unrolled: 4-line block ×13, first 2 shown]
	v_lshl_add_u64 v[56:57], v[6:7], 0, 16
	v_mad_u64_u32 v[6:7], s[28:29], v21, s23, v[2:3]
	s_mul_i32 s28, s25, 0x78
	s_ashr_i32 s17, s16, 31
	v_mov_b32_e32 v5, s28
	v_lshlrev_b32_e32 v117, 4, v4
	s_add_u32 s20, s10, 0x90
	v_mad_i32_i24 v4, s25, v4, v5
	s_addc_u32 s21, s11, 0
	v_mad_u64_u32 v[2:3], s[28:29], v4, s23, v[2:3]
	v_lshl_add_u64 v[2:3], v[2:3], 0, v[24:25]
	s_add_u32 s26, s8, s26
	v_lshl_add_u64 v[6:7], v[6:7], 0, v[24:25]
	v_lshl_add_u64 v[2:3], v[2:3], 0, s[8:9]
	s_addc_u32 s27, s9, s27
	v_lshl_add_u64 v[6:7], v[6:7], 0, s[8:9]
	v_lshl_add_u64 v[60:61], v[2:3], 0, 16
	v_mov_b64_e32 v[2:3], s[26:27]
	v_lshl_add_u64 v[58:59], v[6:7], 0, 16
	v_mad_u64_u32 v[62:63], s[26:27], v62, s23, v[2:3]
	v_mad_u64_u32 v[2:3], s[26:27], v65, s23, 0
	v_mov_b32_e32 v6, 0x90
	v_mad_i64_i32 v[2:3], s[26:27], s14, v6, v[2:3]
	v_lshlrev_b32_e32 v24, 2, v64
	v_lshl_add_u64 v[4:5], v[2:3], 0, v[24:25]
	v_lshl_add_u64 v[4:5], v[4:5], 0, s[8:9]
	;; [unrolled: 1-line block ×3, first 2 shown]
	v_cndmask_b32_e64 v4, 0, 1, s[2:3]
	v_lshlrev_b32_e32 v7, 2, v4
	v_or_b32_e32 v2, v2, v7
	v_lshl_add_u64 v[2:3], v[2:3], 0, s[8:9]
	v_lshl_add_u64 v[66:67], v[2:3], 0, 4
	v_mad_u64_u32 v[2:3], s[2:3], v68, s23, 0
	v_mad_i64_i32 v[2:3], s[2:3], s14, v6, v[2:3]
	v_lshl_add_u64 v[4:5], v[2:3], 0, v[24:25]
	v_or_b32_e32 v2, v2, v7
	v_lshl_add_u64 v[4:5], v[4:5], 0, s[8:9]
	v_lshl_add_u64 v[2:3], v[2:3], 0, s[8:9]
	s_mov_b32 s23, s22
	v_add_u32_e32 v93, 0x420, v92
	v_add_u32_e32 v94, 0x840, v92
	;; [unrolled: 1-line block ×15, first 2 shown]
	v_cmp_gt_u32_e32 vcc, 4, v22
	v_mul_u32_u24_e32 v119, 0x84, v22
	v_ashrrev_i32_e32 v29, 31, v28
	s_mov_b64 s[18:19], 0x90
	v_lshl_add_u64 v[68:69], v[4:5], 0, 4
	v_lshl_add_u64 v[70:71], v[2:3], 0, 4
	s_movk_i32 s14, 0x80
	v_mov_b64_e32 v[72:73], s[22:23]
	s_mov_b32 s22, 0x30303030
	v_mov_b32_e32 v128, v25
	s_branch .LBB211_6
.LBB211_4:                              ;   in Loop: Header=BB211_6 Depth=1
	s_or_b64 exec, exec, s[8:9]
	s_waitcnt lgkmcnt(0)
	s_barrier
	ds_read_b128 v[2:5], v117 offset:20560
	ds_read2_b32 v[74:75], v119 offset0:16 offset1:17
	ds_read_b128 v[18:21], v116
	ds_read_b128 v[14:17], v116 offset:16
	ds_read_b128 v[10:13], v116 offset:32
	;; [unrolled: 1-line block ×3, first 2 shown]
	ds_read_b32 v23, v120
	ds_read2_b32 v[76:77], v119 offset0:18 offset1:19
	s_waitcnt lgkmcnt(6)
	v_and_b32_e32 v24, 0xf0f0f0f, v74
	v_mov_b32_e32 v129, 0
	s_waitcnt lgkmcnt(5)
	v_dot4c_i32_i8_e32 v129, v24, v18
	v_and_b32_e32 v24, 0xf0f0f0f, v75
	ds_read2_b32 v[78:79], v119 offset0:20 offset1:21
	ds_read2_b32 v[84:85], v119 offset0:22 offset1:23
	;; [unrolled: 1-line block ×3, first 2 shown]
	v_dot4c_i32_i8_e32 v129, v24, v19
	s_waitcnt lgkmcnt(3)
	v_and_b32_e32 v24, 0xf0f0f0f, v76
	v_dot4c_i32_i8_e32 v129, v24, v20
	v_and_b32_e32 v24, 0xf0f0f0f, v77
	v_dot4c_i32_i8_e32 v129, v24, v21
	s_waitcnt lgkmcnt(2)
	v_and_b32_e32 v24, 0xf0f0f0f, v78
	v_dot4c_i32_i8_e32 v129, v24, v14
	v_and_b32_e32 v24, 0xf0f0f0f, v79
	;; [unrolled: 5-line block ×3, first 2 shown]
	v_dot4c_i32_i8_e32 v129, v24, v17
	v_lshrrev_b32_e32 v24, 4, v74
	v_and_b32_e32 v24, 0xf0f0f0f, v24
	v_mov_b32_e32 v141, 0
	v_dot4c_i32_i8_e32 v141, v24, v10
	v_lshrrev_b32_e32 v24, 4, v75
	v_and_b32_e32 v24, 0xf0f0f0f, v24
	v_dot4c_i32_i8_e32 v141, v24, v11
	v_lshrrev_b32_e32 v24, 4, v76
	v_and_b32_e32 v24, 0xf0f0f0f, v24
	;; [unrolled: 3-line block ×3, first 2 shown]
	v_add_u32_e32 v74, 0x10c0, v119
	ds_read2_b32 v[82:83], v118 offset0:1 offset1:3
	v_dot4c_i32_i8_e32 v141, v24, v13
	v_lshrrev_b32_e32 v24, 4, v78
	ds_read2_b32 v[86:87], v119 offset0:26 offset1:27
	ds_read2_b32 v[88:89], v119 offset0:28 offset1:29
	;; [unrolled: 1-line block ×3, first 2 shown]
	ds_read2_b32 v[74:75], v74 offset1:1
	v_and_b32_e32 v24, 0xf0f0f0f, v24
	v_dot4c_i32_i8_e32 v141, v24, v6
	v_lshrrev_b32_e32 v24, 4, v79
	v_and_b32_e32 v24, 0xf0f0f0f, v24
	v_dot4c_i32_i8_e32 v141, v24, v7
	v_lshrrev_b32_e32 v24, 4, v84
	v_and_b32_e32 v24, 0xf0f0f0f, v24
	s_waitcnt lgkmcnt(0)
	v_and_b32_e32 v76, 0xf0f0f0f, v74
	v_mov_b32_e32 v130, 0
	v_dot4c_i32_i8_e32 v141, v24, v8
	v_lshrrev_b32_e32 v24, 4, v85
	v_dot4c_i32_i8_e32 v130, v76, v18
	v_and_b32_e32 v76, 0xf0f0f0f, v75
	v_and_b32_e32 v24, 0xf0f0f0f, v24
	v_dot4c_i32_i8_e32 v130, v76, v19
	v_add_u32_e32 v76, 0x10c8, v119
	v_dot4c_i32_i8_e32 v141, v24, v9
	v_cvt_f32_f16_e32 v24, v23
	v_cvt_f32_f16_sdwa v84, v23 dst_sel:DWORD dst_unused:UNUSED_PAD src0_sel:WORD_1
	ds_read_b32 v131, v123 offset:128
	ds_read_b32 v85, v125 offset:256
	;; [unrolled: 1-line block ×3, first 2 shown]
	ds_read2_b32 v[76:77], v76 offset1:1
	v_add_u32_e32 v78, 0x10d0, v119
	v_add_u32_e32 v136, 0x2140, v119
	;; [unrolled: 1-line block ×3, first 2 shown]
	ds_read2_b32 v[132:133], v78 offset1:1
	ds_read2_b32 v[134:135], v79 offset1:1
	;; [unrolled: 1-line block ×3, first 2 shown]
	s_waitcnt lgkmcnt(3)
	v_and_b32_e32 v78, 0xf0f0f0f, v76
	v_dot4c_i32_i8_e32 v130, v78, v20
	v_and_b32_e32 v78, 0xf0f0f0f, v77
	v_dot4c_i32_i8_e32 v130, v78, v21
	s_waitcnt lgkmcnt(2)
	v_and_b32_e32 v78, 0xf0f0f0f, v132
	v_dot4c_i32_i8_e32 v130, v78, v14
	v_and_b32_e32 v78, 0xf0f0f0f, v133
	v_dot4c_i32_i8_e32 v130, v78, v15
	ds_read2_b32 v[78:79], v122 offset0:1 offset1:3
	s_waitcnt lgkmcnt(2)
	v_and_b32_e32 v138, 0xf0f0f0f, v134
	v_dot4c_i32_i8_e32 v130, v138, v16
	v_and_b32_e32 v138, 0xf0f0f0f, v135
	v_dot4c_i32_i8_e32 v130, v138, v17
	s_waitcnt lgkmcnt(0)
	v_and_b32_e32 v138, 0xff, v78
	v_lshrrev_b32_e32 v74, 4, v74
	v_and_b32_e32 v74, 0xf0f0f0f, v74
	v_mul_lo_u32 v130, v130, v138
	v_cvt_f32_i32_e32 v143, v130
	v_mov_b32_e32 v130, 0
	v_dot4c_i32_i8_e32 v130, v74, v10
	v_lshrrev_b32_e32 v74, 4, v75
	v_and_b32_e32 v74, 0xf0f0f0f, v74
	v_dot4c_i32_i8_e32 v130, v74, v11
	v_lshrrev_b32_e32 v74, 4, v76
	v_and_b32_e32 v74, 0xf0f0f0f, v74
	;; [unrolled: 3-line block ×7, first 2 shown]
	v_dot4c_i32_i8_e32 v130, v74, v9
	v_bfe_u32 v74, v78, 8, 8
	v_mov_b32_e32 v147, 0
	v_mov_b32_e32 v149, 0
	v_mul_lo_u32 v74, v130, v74
	v_cvt_f32_i32_e32 v145, v74
	v_and_b32_e32 v74, 0xf0f0f0f, v136
	v_dot4c_i32_i8_e32 v147, v74, v18
	v_and_b32_e32 v74, 0xf0f0f0f, v137
	v_dot4c_i32_i8_e32 v147, v74, v19
	v_add_u32_e32 v74, 0x2148, v119
	ds_read2_b32 v[76:77], v74 offset1:1
	v_lshrrev_b32_e32 v136, 4, v136
	v_and_b32_e32 v136, 0xf0f0f0f, v136
	v_add_u32_e32 v75, 0x2150, v119
	v_add_u32_e32 v74, 0x31c0, v119
	v_dot4c_i32_i8_e32 v149, v136, v10
	v_lshrrev_b32_e32 v136, 4, v137
	v_add_u32_e32 v130, 0x2158, v119
	ds_read2_b32 v[132:133], v75 offset1:1
	ds_read2_b32 v[134:135], v130 offset1:1
	;; [unrolled: 1-line block ×3, first 2 shown]
	s_waitcnt lgkmcnt(3)
	v_and_b32_e32 v74, 0xf0f0f0f, v76
	v_and_b32_e32 v136, 0xf0f0f0f, v136
	v_lshrrev_b32_e32 v76, 4, v76
	v_dot4c_i32_i8_e32 v149, v136, v11
	v_and_b32_e32 v76, 0xf0f0f0f, v76
	v_dot4c_i32_i8_e32 v149, v76, v12
	v_lshrrev_b32_e32 v76, 4, v77
	v_and_b32_e32 v76, 0xf0f0f0f, v76
	v_dot4c_i32_i8_e32 v147, v74, v20
	v_and_b32_e32 v74, 0xf0f0f0f, v77
	v_dot4c_i32_i8_e32 v149, v76, v13
	s_waitcnt lgkmcnt(2)
	v_lshrrev_b32_e32 v76, 4, v132
	v_dot4c_i32_i8_e32 v147, v74, v21
	v_and_b32_e32 v74, 0xf0f0f0f, v132
	v_and_b32_e32 v76, 0xf0f0f0f, v76
	v_dot4c_i32_i8_e32 v147, v74, v14
	v_and_b32_e32 v74, 0xf0f0f0f, v133
	v_dot4c_i32_i8_e32 v149, v76, v6
	v_lshrrev_b32_e32 v76, 4, v133
	v_dot4c_i32_i8_e32 v147, v74, v15
	ds_read2_b32 v[74:75], v124 offset0:1 offset1:3
	v_and_b32_e32 v76, 0xf0f0f0f, v76
	v_dot4c_i32_i8_e32 v149, v76, v7
	s_waitcnt lgkmcnt(2)
	v_lshrrev_b32_e32 v76, 4, v134
	v_and_b32_e32 v76, 0xf0f0f0f, v76
	v_dot4c_i32_i8_e32 v149, v76, v8
	v_lshrrev_b32_e32 v76, 4, v135
	v_and_b32_e32 v76, 0xf0f0f0f, v76
	v_dot4c_i32_i8_e32 v149, v76, v9
	s_waitcnt lgkmcnt(0)
	v_bfe_u32 v76, v74, 8, 8
	v_mov_b32_e32 v151, 0
	v_and_b32_e32 v130, 0xf0f0f0f, v134
	v_mul_lo_u32 v76, v149, v76
	v_cvt_f32_i32_e32 v149, v76
	v_and_b32_e32 v76, 0xf0f0f0f, v138
	v_dot4c_i32_i8_e32 v151, v76, v18
	v_and_b32_e32 v18, 0xf0f0f0f, v139
	v_dot4c_i32_i8_e32 v151, v18, v19
	v_add_u32_e32 v18, 0x31c8, v119
	ds_read2_b32 v[18:19], v18 offset1:1
	v_add_u32_e32 v76, 0x31d0, v119
	v_add_u32_e32 v136, 0x10e0, v119
	v_dot4c_i32_i8_e32 v147, v130, v16
	v_and_b32_e32 v130, 0xf0f0f0f, v135
	v_add_u32_e32 v77, 0x31d8, v119
	ds_read2_b32 v[132:133], v76 offset1:1
	ds_read2_b32 v[134:135], v77 offset1:1
	ds_read2_b32 v[136:137], v136 offset1:1
	s_waitcnt lgkmcnt(3)
	v_and_b32_e32 v76, 0xf0f0f0f, v18
	v_dot4c_i32_i8_e32 v151, v76, v20
	v_and_b32_e32 v20, 0xf0f0f0f, v19
	ds_read2_b32 v[76:77], v126 offset0:1 offset1:3
	v_dot4c_i32_i8_e32 v151, v20, v21
	s_waitcnt lgkmcnt(3)
	v_and_b32_e32 v20, 0xf0f0f0f, v132
	v_dot4c_i32_i8_e32 v151, v20, v14
	v_and_b32_e32 v14, 0xf0f0f0f, v133
	v_dot4c_i32_i8_e32 v151, v14, v15
	s_waitcnt lgkmcnt(2)
	v_and_b32_e32 v14, 0xf0f0f0f, v134
	v_dot4c_i32_i8_e32 v151, v14, v16
	v_and_b32_e32 v14, 0xf0f0f0f, v135
	v_dot4c_i32_i8_e32 v151, v14, v17
	s_waitcnt lgkmcnt(0)
	v_and_b32_e32 v14, 0xff, v76
	v_mov_b32_e32 v15, 0
	v_dot4c_i32_i8_e32 v147, v130, v17
	v_mul_lo_u32 v14, v151, v14
	v_cvt_f32_i32_e32 v151, v14
	v_lshrrev_b32_e32 v14, 4, v138
	v_and_b32_e32 v14, 0xf0f0f0f, v14
	v_dot4c_i32_i8_e32 v15, v14, v10
	v_lshrrev_b32_e32 v10, 4, v139
	v_and_b32_e32 v10, 0xf0f0f0f, v10
	v_dot4c_i32_i8_e32 v15, v10, v11
	;; [unrolled: 3-line block ×8, first 2 shown]
	v_bfe_u32 v6, v76, 8, 8
	v_and_b32_e32 v132, 0xf0f0f0f, v80
	v_mov_b32_e32 v133, 0
	v_mul_lo_u32 v6, v15, v6
	v_cvt_f32_i32_e32 v138, v6
	ds_read_b128 v[18:21], v116 offset:64
	ds_read_b128 v[14:17], v116 offset:80
	;; [unrolled: 1-line block ×4, first 2 shown]
	v_lshrrev_b32_e32 v80, 4, v80
	s_waitcnt lgkmcnt(3)
	v_dot4c_i32_i8_e32 v133, v132, v18
	v_and_b32_e32 v132, 0xf0f0f0f, v81
	v_dot4c_i32_i8_e32 v133, v132, v19
	v_and_b32_e32 v132, 0xf0f0f0f, v86
	;; [unrolled: 2-line block ×4, first 2 shown]
	s_waitcnt lgkmcnt(2)
	v_dot4c_i32_i8_e32 v133, v132, v14
	v_and_b32_e32 v132, 0xf0f0f0f, v89
	v_dot4c_i32_i8_e32 v133, v132, v15
	v_and_b32_e32 v132, 0xf0f0f0f, v90
	;; [unrolled: 2-line block ×4, first 2 shown]
	v_mov_b32_e32 v132, 0
	s_waitcnt lgkmcnt(1)
	v_dot4c_i32_i8_e32 v132, v80, v10
	v_lshrrev_b32_e32 v80, 4, v81
	v_and_b32_e32 v80, 0xf0f0f0f, v80
	v_dot4c_i32_i8_e32 v132, v80, v11
	v_lshrrev_b32_e32 v80, 4, v86
	v_and_b32_e32 v80, 0xf0f0f0f, v80
	;; [unrolled: 3-line block ×4, first 2 shown]
	s_waitcnt lgkmcnt(0)
	v_dot4c_i32_i8_e32 v132, v80, v6
	v_lshrrev_b32_e32 v80, 4, v89
	v_and_b32_e32 v80, 0xf0f0f0f, v80
	v_dot4c_i32_i8_e32 v132, v80, v7
	v_lshrrev_b32_e32 v80, 4, v90
	v_cvt_f32_f16_e32 v87, v4
	v_cvt_f32_f16_sdwa v81, v4 dst_sel:DWORD dst_unused:UNUSED_PAD src0_sel:WORD_1
	v_and_b32_e32 v4, 0xff, v82
	v_bfe_u32 v88, v82, 16, 8
	v_and_b32_e32 v80, 0xf0f0f0f, v80
	v_mul_lo_u32 v4, v129, v4
	v_mul_lo_u32 v88, v133, v88
	v_dot4c_i32_i8_e32 v132, v80, v8
	v_lshrrev_b32_e32 v80, 4, v91
	v_cvt_f32_f16_e32 v86, v2
	v_cvt_f32_i32_e32 v91, v88
	v_cvt_f32_i32_e32 v90, v4
	v_and_b32_e32 v80, 0xf0f0f0f, v80
	v_lshrrev_b32_e32 v140, 24, v82
	v_dot4c_i32_i8_e32 v132, v80, v9
	v_bfe_u32 v82, v82, 8, 8
	v_pk_fma_f32 v[90:91], v[86:87], v[90:91], 0 op_sel_hi:[1,1,0]
	v_mul_lo_u32 v82, v141, v82
	v_mul_lo_u32 v86, v132, v140
	v_and_b32_e32 v148, 0xff, v74
	v_cvt_f32_f16_sdwa v80, v2 dst_sel:DWORD dst_unused:UNUSED_PAD src0_sel:WORD_1
	v_cvt_f32_f16_e32 v89, v5
	v_cvt_f32_f16_e32 v88, v3
	v_cvt_f32_i32_e32 v133, v86
	v_cvt_f32_i32_e32 v132, v82
	v_mul_lo_u32 v147, v147, v148
	v_cvt_f32_f16_sdwa v5, v5 dst_sel:DWORD dst_unused:UNUSED_PAD src0_sel:WORD_1
	v_cvt_f32_f16_sdwa v4, v3 dst_sel:DWORD dst_unused:UNUSED_PAD src0_sel:WORD_1
	v_cvt_f32_i32_e32 v147, v147
	v_cvt_f32_ubyte2_e32 v135, v83
	v_cvt_f32_ubyte0_e32 v134, v83
	v_pk_fma_f32 v[134:135], v[80:81], v[134:135], 0 op_sel_hi:[1,1,0]
	v_pk_fma_f32 v[90:91], v[88:89], v[132:133], v[90:91]
	v_cvt_f32_ubyte3_e32 v133, v83
	v_cvt_f32_ubyte1_e32 v132, v83
	v_pk_fma_f32 v[82:83], v[4:5], v[132:133], v[134:135]
	v_cvt_f32_ubyte0_e32 v144, v79
	v_cvt_f32_ubyte0_e32 v148, v75
	;; [unrolled: 1-line block ×3, first 2 shown]
	v_pk_mul_f32 v[82:83], v[82:83], v[84:85] op_sel_hi:[1,0]
	v_fma_mix_f32 v80, v2, v147, 0 op_sel_hi:[1,0,0]
	v_cvt_f32_ubyte1_e32 v139, v77
	v_pk_fma_f32 v[82:83], v[90:91], v[24:25], v[82:83] op_sel_hi:[1,0,1] neg_lo:[0,0,1] neg_hi:[0,0,1]
	v_fma_mix_f32 v4, v2, v143, 0 op_sel_hi:[1,0,0]
	v_fma_mix_f32 v24, v2, v144, 0 op_sel:[1,0,0] op_sel_hi:[1,0,0]
	v_fma_mix_f32 v84, v2, v148, 0 op_sel:[1,0,0] op_sel_hi:[1,0,0]
	v_fma_mix_f32 v129, v3, v149, v80 op_sel_hi:[1,0,0]
	v_fma_mix_f32 v80, v2, v151, 0 op_sel_hi:[1,0,0]
	v_fma_mix_f32 v2, v2, v153, 0 op_sel:[1,0,0] op_sel_hi:[1,0,0]
	v_fma_mix_f32 v140, v3, v138, v80 op_sel_hi:[1,0,0]
	v_fma_mix_f32 v141, v3, v139, v2 op_sel:[1,0,0] op_sel_hi:[1,0,0]
	v_and_b32_e32 v2, 0xf0f0f0f, v136
	v_mov_b32_e32 v80, 0
	v_dot4c_i32_i8_e32 v80, v2, v18
	v_and_b32_e32 v2, 0xf0f0f0f, v137
	v_cvt_f32_ubyte1_e32 v146, v79
	v_cvt_f32_ubyte1_e32 v150, v75
	v_dot4c_i32_i8_e32 v80, v2, v19
	v_add_u32_e32 v2, 0x10e8, v119
	v_fma_mix_f32 v4, v3, v145, v4 op_sel_hi:[1,0,0]
	v_fma_mix_f32 v24, v3, v146, v24 op_sel:[1,0,0] op_sel_hi:[1,0,0]
	v_fma_mix_f32 v84, v3, v150, v84 op_sel:[1,0,0] op_sel_hi:[1,0,0]
	ds_read2_b32 v[2:3], v2 offset1:1
	v_add_u32_e32 v86, 0x10f0, v119
	v_add_u32_e32 v134, 0x2160, v119
	v_add_u32_e32 v88, 0x10f8, v119
	ds_read2_b32 v[90:91], v86 offset1:1
	ds_read2_b32 v[132:133], v88 offset1:1
	;; [unrolled: 1-line block ×3, first 2 shown]
	s_waitcnt lgkmcnt(3)
	v_and_b32_e32 v86, 0xf0f0f0f, v2
	v_dot4c_i32_i8_e32 v80, v86, v20
	v_and_b32_e32 v86, 0xf0f0f0f, v3
	v_dot4c_i32_i8_e32 v80, v86, v21
	s_waitcnt lgkmcnt(2)
	v_and_b32_e32 v86, 0xf0f0f0f, v90
	v_dot4c_i32_i8_e32 v80, v86, v14
	v_and_b32_e32 v86, 0xf0f0f0f, v91
	v_dot4c_i32_i8_e32 v80, v86, v15
	s_waitcnt lgkmcnt(1)
	v_and_b32_e32 v86, 0xf0f0f0f, v132
	v_dot4c_i32_i8_e32 v80, v86, v16
	v_and_b32_e32 v86, 0xf0f0f0f, v133
	v_lshrrev_b32_e32 v142, 24, v78
	v_dot4c_i32_i8_e32 v80, v86, v17
	v_bfe_u32 v78, v78, 16, 8
	v_lshrrev_b32_e32 v2, 4, v2
	v_and_b32_e32 v2, 0xf0f0f0f, v2
	v_mul_lo_u32 v78, v80, v78
	v_cvt_f32_i32_e32 v138, v78
	v_lshrrev_b32_e32 v78, 4, v136
	v_and_b32_e32 v78, 0xf0f0f0f, v78
	v_mov_b32_e32 v80, 0
	v_dot4c_i32_i8_e32 v80, v78, v10
	v_lshrrev_b32_e32 v78, 4, v137
	v_and_b32_e32 v78, 0xf0f0f0f, v78
	v_dot4c_i32_i8_e32 v80, v78, v11
	v_dot4c_i32_i8_e32 v80, v2, v12
	v_lshrrev_b32_e32 v2, 4, v3
	v_and_b32_e32 v2, 0xf0f0f0f, v2
	v_dot4c_i32_i8_e32 v80, v2, v13
	v_lshrrev_b32_e32 v2, 4, v90
	v_and_b32_e32 v2, 0xf0f0f0f, v2
	;; [unrolled: 3-line block ×5, first 2 shown]
	v_dot4c_i32_i8_e32 v80, v2, v9
	v_cvt_f32_f16_sdwa v3, v131 dst_sel:DWORD dst_unused:UNUSED_PAD src0_sel:WORD_1
	v_cvt_f32_ubyte2_e32 v139, v79
	v_cvt_f32_ubyte3_e32 v79, v79
	v_mul_lo_u32 v2, v80, v142
	v_cvt_f32_i32_e32 v78, v2
	v_cvt_f32_f16_e32 v2, v131
	v_mul_f32_e32 v24, v24, v3
	v_mov_b32_e32 v80, v87
	v_fma_mix_f32 v91, v4, v131, -v24 op_sel_hi:[0,1,0]
	v_pk_fma_f32 v[86:87], v[80:81], v[138:139], 0 op_sel_hi:[1,1,0]
	v_mov_b32_e32 v4, v89
	v_pk_fma_f32 v[78:79], v[4:5], v[78:79], v[86:87]
	v_mov_b32_e32 v90, v82
	v_pk_mul_f32 v[86:87], v[78:79], v[2:3]
	v_pk_add_f32 v[72:73], v[72:73], v[90:91]
	v_mov_b32_e32 v87, v86
	v_pk_fma_f32 v[2:3], v[78:79], v[2:3], v[86:87] neg_lo:[1,0,0] neg_hi:[1,0,0]
	v_mov_b32_e32 v24, 0
	v_mov_b32_e32 v2, v83
	v_pk_add_f32 v[72:73], v[72:73], v[2:3]
	s_waitcnt lgkmcnt(0)
	v_and_b32_e32 v2, 0xf0f0f0f, v134
	v_dot4c_i32_i8_e32 v24, v2, v18
	v_and_b32_e32 v2, 0xf0f0f0f, v135
	v_dot4c_i32_i8_e32 v24, v2, v19
	v_add_u32_e32 v2, 0x2168, v119
	ds_read2_b32 v[2:3], v2 offset1:1
	v_add_u32_e32 v78, 0x2170, v119
	v_add_u32_e32 v82, 0x2178, v119
	;; [unrolled: 1-line block ×3, first 2 shown]
	ds_read2_b32 v[78:79], v78 offset1:1
	ds_read2_b32 v[82:83], v82 offset1:1
	;; [unrolled: 1-line block ×3, first 2 shown]
	s_waitcnt lgkmcnt(3)
	v_and_b32_e32 v88, 0xf0f0f0f, v2
	v_dot4c_i32_i8_e32 v24, v88, v20
	v_and_b32_e32 v88, 0xf0f0f0f, v3
	v_dot4c_i32_i8_e32 v24, v88, v21
	s_waitcnt lgkmcnt(2)
	v_and_b32_e32 v88, 0xf0f0f0f, v78
	v_dot4c_i32_i8_e32 v24, v88, v14
	v_and_b32_e32 v88, 0xf0f0f0f, v79
	v_dot4c_i32_i8_e32 v24, v88, v15
	s_waitcnt lgkmcnt(1)
	v_and_b32_e32 v88, 0xf0f0f0f, v82
	v_dot4c_i32_i8_e32 v24, v88, v16
	v_and_b32_e32 v88, 0xf0f0f0f, v83
	v_lshrrev_b32_e32 v130, 24, v74
	v_dot4c_i32_i8_e32 v24, v88, v17
	v_bfe_u32 v74, v74, 16, 8
	v_lshrrev_b32_e32 v2, 4, v2
	v_and_b32_e32 v2, 0xf0f0f0f, v2
	v_mul_lo_u32 v24, v24, v74
	v_cvt_f32_i32_e32 v88, v24
	v_lshrrev_b32_e32 v24, 4, v134
	v_and_b32_e32 v24, 0xf0f0f0f, v24
	v_mov_b32_e32 v74, 0
	v_dot4c_i32_i8_e32 v74, v24, v10
	v_lshrrev_b32_e32 v24, 4, v135
	v_and_b32_e32 v24, 0xf0f0f0f, v24
	v_dot4c_i32_i8_e32 v74, v24, v11
	v_dot4c_i32_i8_e32 v74, v2, v12
	v_lshrrev_b32_e32 v2, 4, v3
	v_and_b32_e32 v2, 0xf0f0f0f, v2
	v_dot4c_i32_i8_e32 v74, v2, v13
	v_lshrrev_b32_e32 v2, 4, v78
	v_and_b32_e32 v2, 0xf0f0f0f, v2
	;; [unrolled: 3-line block ×5, first 2 shown]
	v_cvt_f32_f16_sdwa v3, v85 dst_sel:DWORD dst_unused:UNUSED_PAD src0_sel:WORD_1
	v_dot4c_i32_i8_e32 v74, v2, v9
	v_cvt_f32_ubyte2_e32 v89, v75
	v_cvt_f32_ubyte3_e32 v75, v75
	v_mul_f32_e32 v24, v84, v3
	v_mul_lo_u32 v2, v74, v130
	v_cvt_f32_i32_e32 v74, v2
	v_cvt_f32_f16_e32 v2, v85
	v_fma_mix_f32 v24, v129, v85, -v24 op_sel_hi:[0,1,0]
	v_add_f32_e32 v78, v25, v24
	v_pk_fma_f32 v[24:25], v[80:81], v[88:89], 0 op_sel_hi:[1,1,0]
	v_lshrrev_b32_e32 v152, 24, v76
	v_pk_fma_f32 v[24:25], v[4:5], v[74:75], v[24:25]
	v_add_u32_e32 v74, 0x31f8, v119
	v_pk_mul_f32 v[2:3], v[24:25], v[2:3]
	v_mov_b32_e32 v24, 0
	v_sub_f32_e32 v2, v2, v3
	v_add_f32_e32 v25, v78, v2
	s_waitcnt lgkmcnt(0)
	v_and_b32_e32 v2, 0xf0f0f0f, v86
	v_dot4c_i32_i8_e32 v24, v2, v18
	v_and_b32_e32 v2, 0xf0f0f0f, v87
	v_dot4c_i32_i8_e32 v24, v2, v19
	v_add_u32_e32 v2, 0x31e8, v119
	ds_read2_b32 v[2:3], v2 offset1:1
	v_add_u32_e32 v18, 0x31f0, v119
	ds_read2_b32 v[18:19], v18 offset1:1
	ds_read2_b32 v[74:75], v74 offset1:1
	s_waitcnt lgkmcnt(0)
	s_barrier
	v_and_b32_e32 v78, 0xf0f0f0f, v2
	v_dot4c_i32_i8_e32 v24, v78, v20
	v_and_b32_e32 v20, 0xf0f0f0f, v3
	v_dot4c_i32_i8_e32 v24, v20, v21
	;; [unrolled: 2-line block ×5, first 2 shown]
	v_and_b32_e32 v14, 0xf0f0f0f, v75
	v_lshrrev_b32_e32 v16, 4, v86
	v_dot4c_i32_i8_e32 v24, v14, v17
	v_and_b32_e32 v16, 0xf0f0f0f, v16
	v_mov_b32_e32 v17, 0
	v_dot4c_i32_i8_e32 v17, v16, v10
	v_lshrrev_b32_e32 v10, 4, v87
	v_and_b32_e32 v10, 0xf0f0f0f, v10
	v_lshrrev_b32_e32 v2, 4, v2
	v_dot4c_i32_i8_e32 v17, v10, v11
	v_and_b32_e32 v2, 0xf0f0f0f, v2
	v_dot4c_i32_i8_e32 v17, v2, v12
	v_lshrrev_b32_e32 v2, 4, v3
	v_and_b32_e32 v2, 0xf0f0f0f, v2
	v_dot4c_i32_i8_e32 v17, v2, v13
	v_lshrrev_b32_e32 v2, 4, v18
	;; [unrolled: 3-line block ×5, first 2 shown]
	v_bfe_u32 v14, v76, 16, 8
	v_and_b32_e32 v2, 0xf0f0f0f, v2
	v_cvt_f32_f16_sdwa v3, v23 dst_sel:DWORD dst_unused:UNUSED_PAD src0_sel:WORD_1
	v_mul_lo_u32 v14, v24, v14
	v_dot4c_i32_i8_e32 v17, v2, v9
	v_cvt_f32_i32_e32 v14, v14
	v_mul_f32_e32 v8, v141, v3
	v_cvt_f32_ubyte2_e32 v15, v77
	v_mul_lo_u32 v2, v17, v152
	v_cvt_f32_i32_e32 v6, v2
	v_cvt_f32_f16_e32 v2, v23
	v_fma_mix_f32 v8, v140, v23, -v8 op_sel_hi:[0,1,0]
	v_cvt_f32_ubyte3_e32 v7, v77
	v_add_f32_e32 v10, v128, v8
	v_pk_fma_f32 v[8:9], v[80:81], v[14:15], 0 op_sel_hi:[1,1,0]
	s_nop 0
	v_pk_fma_f32 v[4:5], v[4:5], v[6:7], v[8:9]
	s_nop 0
	v_pk_mul_f32 v[2:3], v[4:5], v[2:3]
	s_nop 0
	v_sub_f32_e32 v2, v2, v3
	v_add_f32_e32 v128, v10, v2
.LBB211_5:                              ;   in Loop: Header=BB211_6 Depth=1
	s_add_i32 s25, s25, -1
	s_addk_i32 s14, 0x100
	v_add_u32_e32 v22, 8, v22
	v_add_u32_e32 v121, 8, v121
	;; [unrolled: 1-line block ×3, first 2 shown]
	v_lshl_add_u64 v[30:31], v[30:31], 0, s[18:19]
	v_lshl_add_u64 v[32:33], v[32:33], 0, s[18:19]
	;; [unrolled: 1-line block ×20, first 2 shown]
	s_cmp_eq_u32 s25, 0
	v_lshl_add_u64 v[70:71], v[70:71], 0, s[18:19]
	s_cbranch_scc1 .LBB211_20
.LBB211_6:                              ; =>This Inner Loop Header: Depth=1
	v_lshl_add_u64 v[2:3], v[30:31], 0, s[16:17]
	global_load_dword v4, v[2:3], off
	v_lshl_add_u64 v[2:3], v[32:33], 0, s[16:17]
	global_load_dword v5, v[2:3], off
	;; [unrolled: 2-line block ×21, first 2 shown]
	s_add_i32 s2, s14, 0xffffff80
	s_cmp_lt_i32 s2, s15
	s_waitcnt vmcnt(20)
	ds_write_b32 v92, v4
	s_waitcnt vmcnt(19)
	ds_write_b32 v93, v5
	;; [unrolled: 2-line block ×17, first 2 shown]
	s_waitcnt vmcnt(3)
	v_ashrrev_i32_e32 v3, v109, v21
	v_and_b32_e32 v3, 0xf0f0f0f, v3
	s_waitcnt vmcnt(2)
	v_ashrrev_i32_e32 v4, v110, v23
	v_and_or_b32 v3, v4, s22, v3
	s_waitcnt vmcnt(1)
	v_ashrrev_i32_e32 v5, v109, v24
	v_and_b32_e32 v5, 0xf0f0f0f, v5
	s_waitcnt vmcnt(0)
	v_ashrrev_i32_e32 v2, v110, v2
	v_and_or_b32 v2, v2, s22, v5
	ds_write_b32 v111, v3
	ds_write_b32 v112, v2
	s_cbranch_scc0 .LBB211_5
; %bb.7:                                ;   in Loop: Header=BB211_6 Depth=1
	v_cmp_gt_i32_e64 s[2:3], s5, v115
	s_and_b64 s[8:9], s[0:1], s[2:3]
	s_and_saveexec_b64 s[2:3], s[8:9]
	s_cbranch_execz .LBB211_9
; %bb.8:                                ;   in Loop: Header=BB211_6 Depth=1
	v_add_u32_e32 v2, v28, v115
	v_mad_i64_i32 v[2:3], s[8:9], v2, 36, v[26:27]
	global_load_dword v2, v[2:3], off offset:4
	s_waitcnt vmcnt(0)
	ds_write_b32 v113, v2
.LBB211_9:                              ;   in Loop: Header=BB211_6 Depth=1
	s_or_b64 exec, exec, s[2:3]
	s_and_saveexec_b64 s[8:9], vcc
	s_cbranch_execz .LBB211_12
; %bb.10:                               ;   in Loop: Header=BB211_6 Depth=1
	v_cmp_gt_i32_e64 s[2:3], s5, v22
	s_and_b64 s[2:3], s[0:1], s[2:3]
	s_and_b64 exec, exec, s[2:3]
	s_cbranch_execz .LBB211_12
; %bb.11:                               ;   in Loop: Header=BB211_6 Depth=1
	v_add_u32_e32 v2, v28, v22
	v_mad_i64_i32 v[2:3], s[2:3], v2, 36, s[10:11]
	global_load_dword v2, v[2:3], off
	s_waitcnt vmcnt(0)
	ds_write_b32 v114, v2
.LBB211_12:                             ;   in Loop: Header=BB211_6 Depth=1
	s_or_b64 exec, exec, s[8:9]
	s_waitcnt lgkmcnt(0)
	s_barrier
	ds_read_b128 v[2:5], v117 offset:20560
	ds_read2_b32 v[74:75], v119 offset1:1
	ds_read_b128 v[18:21], v116
	ds_read_b128 v[14:17], v116 offset:16
	ds_read_b128 v[10:13], v116 offset:32
	ds_read_b128 v[6:9], v116 offset:48
	ds_read_b32 v23, v120
	ds_read2_b32 v[76:77], v119 offset0:2 offset1:3
	s_waitcnt lgkmcnt(6)
	v_and_b32_e32 v24, 0xf0f0f0f, v74
	v_mov_b32_e32 v129, 0
	s_waitcnt lgkmcnt(5)
	v_dot4c_i32_i8_e32 v129, v24, v18
	v_and_b32_e32 v24, 0xf0f0f0f, v75
	ds_read2_b32 v[78:79], v119 offset0:4 offset1:5
	ds_read2_b32 v[84:85], v119 offset0:6 offset1:7
	;; [unrolled: 1-line block ×3, first 2 shown]
	v_dot4c_i32_i8_e32 v129, v24, v19
	s_waitcnt lgkmcnt(3)
	v_and_b32_e32 v24, 0xf0f0f0f, v76
	v_dot4c_i32_i8_e32 v129, v24, v20
	v_and_b32_e32 v24, 0xf0f0f0f, v77
	v_dot4c_i32_i8_e32 v129, v24, v21
	s_waitcnt lgkmcnt(2)
	v_and_b32_e32 v24, 0xf0f0f0f, v78
	v_dot4c_i32_i8_e32 v129, v24, v14
	v_and_b32_e32 v24, 0xf0f0f0f, v79
	;; [unrolled: 5-line block ×3, first 2 shown]
	v_dot4c_i32_i8_e32 v129, v24, v17
	v_lshrrev_b32_e32 v24, 4, v74
	v_and_b32_e32 v24, 0xf0f0f0f, v24
	v_mov_b32_e32 v141, 0
	v_dot4c_i32_i8_e32 v141, v24, v10
	v_lshrrev_b32_e32 v24, 4, v75
	v_and_b32_e32 v24, 0xf0f0f0f, v24
	v_dot4c_i32_i8_e32 v141, v24, v11
	v_lshrrev_b32_e32 v24, 4, v76
	v_and_b32_e32 v24, 0xf0f0f0f, v24
	;; [unrolled: 3-line block ×3, first 2 shown]
	v_add_u32_e32 v74, 0x1080, v119
	ds_read2_b32 v[82:83], v118 offset1:2
	v_dot4c_i32_i8_e32 v141, v24, v13
	v_lshrrev_b32_e32 v24, 4, v78
	ds_read2_b32 v[86:87], v119 offset0:10 offset1:11
	ds_read2_b32 v[88:89], v119 offset0:12 offset1:13
	;; [unrolled: 1-line block ×3, first 2 shown]
	ds_read2_b32 v[74:75], v74 offset1:1
	v_and_b32_e32 v24, 0xf0f0f0f, v24
	v_dot4c_i32_i8_e32 v141, v24, v6
	v_lshrrev_b32_e32 v24, 4, v79
	v_and_b32_e32 v24, 0xf0f0f0f, v24
	v_dot4c_i32_i8_e32 v141, v24, v7
	v_lshrrev_b32_e32 v24, 4, v84
	v_and_b32_e32 v24, 0xf0f0f0f, v24
	s_waitcnt lgkmcnt(0)
	v_and_b32_e32 v76, 0xf0f0f0f, v74
	v_mov_b32_e32 v130, 0
	v_dot4c_i32_i8_e32 v141, v24, v8
	v_lshrrev_b32_e32 v24, 4, v85
	v_dot4c_i32_i8_e32 v130, v76, v18
	v_and_b32_e32 v76, 0xf0f0f0f, v75
	v_and_b32_e32 v24, 0xf0f0f0f, v24
	v_dot4c_i32_i8_e32 v130, v76, v19
	v_add_u32_e32 v76, 0x1088, v119
	v_dot4c_i32_i8_e32 v141, v24, v9
	v_cvt_f32_f16_e32 v24, v23
	v_cvt_f32_f16_sdwa v84, v23 dst_sel:DWORD dst_unused:UNUSED_PAD src0_sel:WORD_1
	ds_read_b32 v131, v123 offset:128
	ds_read_b32 v85, v125 offset:256
	;; [unrolled: 1-line block ×3, first 2 shown]
	ds_read2_b32 v[76:77], v76 offset1:1
	v_add_u32_e32 v78, 0x1090, v119
	v_add_u32_e32 v136, 0x2100, v119
	;; [unrolled: 1-line block ×3, first 2 shown]
	ds_read2_b32 v[132:133], v78 offset1:1
	ds_read2_b32 v[134:135], v79 offset1:1
	;; [unrolled: 1-line block ×3, first 2 shown]
	s_waitcnt lgkmcnt(3)
	v_and_b32_e32 v78, 0xf0f0f0f, v76
	v_dot4c_i32_i8_e32 v130, v78, v20
	v_and_b32_e32 v78, 0xf0f0f0f, v77
	v_dot4c_i32_i8_e32 v130, v78, v21
	s_waitcnt lgkmcnt(2)
	v_and_b32_e32 v78, 0xf0f0f0f, v132
	v_dot4c_i32_i8_e32 v130, v78, v14
	v_and_b32_e32 v78, 0xf0f0f0f, v133
	v_dot4c_i32_i8_e32 v130, v78, v15
	ds_read2_b32 v[78:79], v122 offset1:2
	s_waitcnt lgkmcnt(2)
	v_and_b32_e32 v138, 0xf0f0f0f, v134
	v_dot4c_i32_i8_e32 v130, v138, v16
	v_and_b32_e32 v138, 0xf0f0f0f, v135
	v_dot4c_i32_i8_e32 v130, v138, v17
	s_waitcnt lgkmcnt(0)
	v_and_b32_e32 v138, 0xff, v78
	v_lshrrev_b32_e32 v74, 4, v74
	v_and_b32_e32 v74, 0xf0f0f0f, v74
	v_mul_lo_u32 v130, v130, v138
	v_cvt_f32_i32_e32 v143, v130
	v_mov_b32_e32 v130, 0
	v_dot4c_i32_i8_e32 v130, v74, v10
	v_lshrrev_b32_e32 v74, 4, v75
	v_and_b32_e32 v74, 0xf0f0f0f, v74
	v_dot4c_i32_i8_e32 v130, v74, v11
	v_lshrrev_b32_e32 v74, 4, v76
	v_and_b32_e32 v74, 0xf0f0f0f, v74
	;; [unrolled: 3-line block ×7, first 2 shown]
	v_dot4c_i32_i8_e32 v130, v74, v9
	v_bfe_u32 v74, v78, 8, 8
	v_mov_b32_e32 v147, 0
	v_mov_b32_e32 v149, 0
	v_mul_lo_u32 v74, v130, v74
	v_cvt_f32_i32_e32 v145, v74
	v_and_b32_e32 v74, 0xf0f0f0f, v136
	v_dot4c_i32_i8_e32 v147, v74, v18
	v_and_b32_e32 v74, 0xf0f0f0f, v137
	v_dot4c_i32_i8_e32 v147, v74, v19
	v_add_u32_e32 v74, 0x2108, v119
	ds_read2_b32 v[76:77], v74 offset1:1
	v_lshrrev_b32_e32 v136, 4, v136
	v_and_b32_e32 v136, 0xf0f0f0f, v136
	v_add_u32_e32 v75, 0x2110, v119
	v_add_u32_e32 v74, 0x3180, v119
	v_dot4c_i32_i8_e32 v149, v136, v10
	v_lshrrev_b32_e32 v136, 4, v137
	v_add_u32_e32 v130, 0x2118, v119
	ds_read2_b32 v[132:133], v75 offset1:1
	ds_read2_b32 v[134:135], v130 offset1:1
	;; [unrolled: 1-line block ×3, first 2 shown]
	s_waitcnt lgkmcnt(3)
	v_and_b32_e32 v74, 0xf0f0f0f, v76
	v_and_b32_e32 v136, 0xf0f0f0f, v136
	v_lshrrev_b32_e32 v76, 4, v76
	v_dot4c_i32_i8_e32 v149, v136, v11
	v_and_b32_e32 v76, 0xf0f0f0f, v76
	v_dot4c_i32_i8_e32 v149, v76, v12
	v_lshrrev_b32_e32 v76, 4, v77
	v_and_b32_e32 v76, 0xf0f0f0f, v76
	v_dot4c_i32_i8_e32 v147, v74, v20
	v_and_b32_e32 v74, 0xf0f0f0f, v77
	v_dot4c_i32_i8_e32 v149, v76, v13
	s_waitcnt lgkmcnt(2)
	v_lshrrev_b32_e32 v76, 4, v132
	v_dot4c_i32_i8_e32 v147, v74, v21
	v_and_b32_e32 v74, 0xf0f0f0f, v132
	v_and_b32_e32 v76, 0xf0f0f0f, v76
	v_dot4c_i32_i8_e32 v147, v74, v14
	v_and_b32_e32 v74, 0xf0f0f0f, v133
	v_dot4c_i32_i8_e32 v149, v76, v6
	v_lshrrev_b32_e32 v76, 4, v133
	v_dot4c_i32_i8_e32 v147, v74, v15
	ds_read2_b32 v[74:75], v124 offset1:2
	v_and_b32_e32 v76, 0xf0f0f0f, v76
	v_dot4c_i32_i8_e32 v149, v76, v7
	s_waitcnt lgkmcnt(2)
	v_lshrrev_b32_e32 v76, 4, v134
	v_and_b32_e32 v76, 0xf0f0f0f, v76
	v_dot4c_i32_i8_e32 v149, v76, v8
	v_lshrrev_b32_e32 v76, 4, v135
	v_and_b32_e32 v76, 0xf0f0f0f, v76
	v_dot4c_i32_i8_e32 v149, v76, v9
	s_waitcnt lgkmcnt(0)
	v_bfe_u32 v76, v74, 8, 8
	v_mov_b32_e32 v151, 0
	v_and_b32_e32 v130, 0xf0f0f0f, v134
	v_mul_lo_u32 v76, v149, v76
	v_cvt_f32_i32_e32 v149, v76
	v_and_b32_e32 v76, 0xf0f0f0f, v138
	v_dot4c_i32_i8_e32 v151, v76, v18
	v_and_b32_e32 v18, 0xf0f0f0f, v139
	v_dot4c_i32_i8_e32 v151, v18, v19
	v_add_u32_e32 v18, 0x3188, v119
	ds_read2_b32 v[18:19], v18 offset1:1
	v_add_u32_e32 v76, 0x3190, v119
	v_add_u32_e32 v136, 0x10a0, v119
	v_dot4c_i32_i8_e32 v147, v130, v16
	v_and_b32_e32 v130, 0xf0f0f0f, v135
	v_add_u32_e32 v77, 0x3198, v119
	ds_read2_b32 v[132:133], v76 offset1:1
	ds_read2_b32 v[134:135], v77 offset1:1
	;; [unrolled: 1-line block ×3, first 2 shown]
	s_waitcnt lgkmcnt(3)
	v_and_b32_e32 v76, 0xf0f0f0f, v18
	v_dot4c_i32_i8_e32 v151, v76, v20
	v_and_b32_e32 v20, 0xf0f0f0f, v19
	ds_read2_b32 v[76:77], v126 offset1:2
	v_dot4c_i32_i8_e32 v151, v20, v21
	s_waitcnt lgkmcnt(3)
	v_and_b32_e32 v20, 0xf0f0f0f, v132
	v_dot4c_i32_i8_e32 v151, v20, v14
	v_and_b32_e32 v14, 0xf0f0f0f, v133
	v_dot4c_i32_i8_e32 v151, v14, v15
	s_waitcnt lgkmcnt(2)
	v_and_b32_e32 v14, 0xf0f0f0f, v134
	v_dot4c_i32_i8_e32 v151, v14, v16
	v_and_b32_e32 v14, 0xf0f0f0f, v135
	v_dot4c_i32_i8_e32 v151, v14, v17
	s_waitcnt lgkmcnt(0)
	v_and_b32_e32 v14, 0xff, v76
	v_mov_b32_e32 v15, 0
	v_dot4c_i32_i8_e32 v147, v130, v17
	v_mul_lo_u32 v14, v151, v14
	v_cvt_f32_i32_e32 v151, v14
	v_lshrrev_b32_e32 v14, 4, v138
	v_and_b32_e32 v14, 0xf0f0f0f, v14
	v_dot4c_i32_i8_e32 v15, v14, v10
	v_lshrrev_b32_e32 v10, 4, v139
	v_and_b32_e32 v10, 0xf0f0f0f, v10
	v_dot4c_i32_i8_e32 v15, v10, v11
	;; [unrolled: 3-line block ×8, first 2 shown]
	v_bfe_u32 v6, v76, 8, 8
	v_and_b32_e32 v132, 0xf0f0f0f, v80
	v_mov_b32_e32 v133, 0
	v_mul_lo_u32 v6, v15, v6
	v_cvt_f32_i32_e32 v138, v6
	ds_read_b128 v[18:21], v116 offset:64
	ds_read_b128 v[14:17], v116 offset:80
	;; [unrolled: 1-line block ×4, first 2 shown]
	v_lshrrev_b32_e32 v80, 4, v80
	s_waitcnt lgkmcnt(3)
	v_dot4c_i32_i8_e32 v133, v132, v18
	v_and_b32_e32 v132, 0xf0f0f0f, v81
	v_dot4c_i32_i8_e32 v133, v132, v19
	v_and_b32_e32 v132, 0xf0f0f0f, v86
	;; [unrolled: 2-line block ×4, first 2 shown]
	s_waitcnt lgkmcnt(2)
	v_dot4c_i32_i8_e32 v133, v132, v14
	v_and_b32_e32 v132, 0xf0f0f0f, v89
	v_dot4c_i32_i8_e32 v133, v132, v15
	v_and_b32_e32 v132, 0xf0f0f0f, v90
	;; [unrolled: 2-line block ×4, first 2 shown]
	v_mov_b32_e32 v132, 0
	s_waitcnt lgkmcnt(1)
	v_dot4c_i32_i8_e32 v132, v80, v10
	v_lshrrev_b32_e32 v80, 4, v81
	v_and_b32_e32 v80, 0xf0f0f0f, v80
	v_dot4c_i32_i8_e32 v132, v80, v11
	v_lshrrev_b32_e32 v80, 4, v86
	v_and_b32_e32 v80, 0xf0f0f0f, v80
	;; [unrolled: 3-line block ×4, first 2 shown]
	s_waitcnt lgkmcnt(0)
	v_dot4c_i32_i8_e32 v132, v80, v6
	v_lshrrev_b32_e32 v80, 4, v89
	v_and_b32_e32 v80, 0xf0f0f0f, v80
	v_dot4c_i32_i8_e32 v132, v80, v7
	v_lshrrev_b32_e32 v80, 4, v90
	v_cvt_f32_f16_e32 v87, v4
	v_cvt_f32_f16_sdwa v81, v4 dst_sel:DWORD dst_unused:UNUSED_PAD src0_sel:WORD_1
	v_and_b32_e32 v4, 0xff, v82
	v_bfe_u32 v88, v82, 16, 8
	v_and_b32_e32 v80, 0xf0f0f0f, v80
	v_mul_lo_u32 v4, v129, v4
	v_mul_lo_u32 v88, v133, v88
	v_dot4c_i32_i8_e32 v132, v80, v8
	v_lshrrev_b32_e32 v80, 4, v91
	v_cvt_f32_f16_e32 v86, v2
	v_cvt_f32_i32_e32 v91, v88
	v_cvt_f32_i32_e32 v90, v4
	v_and_b32_e32 v80, 0xf0f0f0f, v80
	v_lshrrev_b32_e32 v140, 24, v82
	v_dot4c_i32_i8_e32 v132, v80, v9
	v_bfe_u32 v82, v82, 8, 8
	v_pk_fma_f32 v[90:91], v[86:87], v[90:91], 0 op_sel_hi:[1,1,0]
	v_mul_lo_u32 v82, v141, v82
	v_mul_lo_u32 v86, v132, v140
	v_and_b32_e32 v148, 0xff, v74
	v_cvt_f32_f16_sdwa v80, v2 dst_sel:DWORD dst_unused:UNUSED_PAD src0_sel:WORD_1
	v_cvt_f32_f16_e32 v89, v5
	v_cvt_f32_f16_e32 v88, v3
	v_cvt_f32_i32_e32 v133, v86
	v_cvt_f32_i32_e32 v132, v82
	v_mul_lo_u32 v147, v147, v148
	v_cvt_f32_f16_sdwa v5, v5 dst_sel:DWORD dst_unused:UNUSED_PAD src0_sel:WORD_1
	v_cvt_f32_f16_sdwa v4, v3 dst_sel:DWORD dst_unused:UNUSED_PAD src0_sel:WORD_1
	v_cvt_f32_i32_e32 v147, v147
	v_cvt_f32_ubyte2_e32 v135, v83
	v_cvt_f32_ubyte0_e32 v134, v83
	v_pk_fma_f32 v[134:135], v[80:81], v[134:135], 0 op_sel_hi:[1,1,0]
	v_pk_fma_f32 v[90:91], v[88:89], v[132:133], v[90:91]
	v_cvt_f32_ubyte3_e32 v133, v83
	v_cvt_f32_ubyte1_e32 v132, v83
	v_pk_fma_f32 v[82:83], v[4:5], v[132:133], v[134:135]
	v_cvt_f32_ubyte0_e32 v144, v79
	v_cvt_f32_ubyte0_e32 v148, v75
	;; [unrolled: 1-line block ×3, first 2 shown]
	v_pk_mul_f32 v[82:83], v[82:83], v[84:85] op_sel_hi:[1,0]
	v_fma_mix_f32 v80, v2, v147, 0 op_sel_hi:[1,0,0]
	v_cvt_f32_ubyte1_e32 v139, v77
	v_pk_fma_f32 v[82:83], v[90:91], v[24:25], v[82:83] op_sel_hi:[1,0,1] neg_lo:[0,0,1] neg_hi:[0,0,1]
	v_fma_mix_f32 v4, v2, v143, 0 op_sel_hi:[1,0,0]
	v_fma_mix_f32 v24, v2, v144, 0 op_sel:[1,0,0] op_sel_hi:[1,0,0]
	v_fma_mix_f32 v84, v2, v148, 0 op_sel:[1,0,0] op_sel_hi:[1,0,0]
	v_fma_mix_f32 v129, v3, v149, v80 op_sel_hi:[1,0,0]
	v_fma_mix_f32 v80, v2, v151, 0 op_sel_hi:[1,0,0]
	v_fma_mix_f32 v2, v2, v153, 0 op_sel:[1,0,0] op_sel_hi:[1,0,0]
	v_fma_mix_f32 v140, v3, v138, v80 op_sel_hi:[1,0,0]
	v_fma_mix_f32 v141, v3, v139, v2 op_sel:[1,0,0] op_sel_hi:[1,0,0]
	v_and_b32_e32 v2, 0xf0f0f0f, v136
	v_mov_b32_e32 v80, 0
	v_dot4c_i32_i8_e32 v80, v2, v18
	v_and_b32_e32 v2, 0xf0f0f0f, v137
	v_cvt_f32_ubyte1_e32 v146, v79
	v_cvt_f32_ubyte1_e32 v150, v75
	v_dot4c_i32_i8_e32 v80, v2, v19
	v_add_u32_e32 v2, 0x10a8, v119
	v_fma_mix_f32 v4, v3, v145, v4 op_sel_hi:[1,0,0]
	v_fma_mix_f32 v24, v3, v146, v24 op_sel:[1,0,0] op_sel_hi:[1,0,0]
	v_fma_mix_f32 v84, v3, v150, v84 op_sel:[1,0,0] op_sel_hi:[1,0,0]
	ds_read2_b32 v[2:3], v2 offset1:1
	v_add_u32_e32 v86, 0x10b0, v119
	v_add_u32_e32 v134, 0x2120, v119
	;; [unrolled: 1-line block ×3, first 2 shown]
	ds_read2_b32 v[90:91], v86 offset1:1
	ds_read2_b32 v[132:133], v88 offset1:1
	;; [unrolled: 1-line block ×3, first 2 shown]
	s_waitcnt lgkmcnt(3)
	v_and_b32_e32 v86, 0xf0f0f0f, v2
	v_dot4c_i32_i8_e32 v80, v86, v20
	v_and_b32_e32 v86, 0xf0f0f0f, v3
	v_dot4c_i32_i8_e32 v80, v86, v21
	s_waitcnt lgkmcnt(2)
	v_and_b32_e32 v86, 0xf0f0f0f, v90
	v_dot4c_i32_i8_e32 v80, v86, v14
	v_and_b32_e32 v86, 0xf0f0f0f, v91
	v_dot4c_i32_i8_e32 v80, v86, v15
	s_waitcnt lgkmcnt(1)
	v_and_b32_e32 v86, 0xf0f0f0f, v132
	v_dot4c_i32_i8_e32 v80, v86, v16
	v_and_b32_e32 v86, 0xf0f0f0f, v133
	v_lshrrev_b32_e32 v142, 24, v78
	v_dot4c_i32_i8_e32 v80, v86, v17
	v_bfe_u32 v78, v78, 16, 8
	v_lshrrev_b32_e32 v2, 4, v2
	v_and_b32_e32 v2, 0xf0f0f0f, v2
	v_mul_lo_u32 v78, v80, v78
	v_cvt_f32_i32_e32 v138, v78
	v_lshrrev_b32_e32 v78, 4, v136
	v_and_b32_e32 v78, 0xf0f0f0f, v78
	v_mov_b32_e32 v80, 0
	v_dot4c_i32_i8_e32 v80, v78, v10
	v_lshrrev_b32_e32 v78, 4, v137
	v_and_b32_e32 v78, 0xf0f0f0f, v78
	v_dot4c_i32_i8_e32 v80, v78, v11
	v_dot4c_i32_i8_e32 v80, v2, v12
	v_lshrrev_b32_e32 v2, 4, v3
	v_and_b32_e32 v2, 0xf0f0f0f, v2
	v_dot4c_i32_i8_e32 v80, v2, v13
	v_lshrrev_b32_e32 v2, 4, v90
	v_and_b32_e32 v2, 0xf0f0f0f, v2
	;; [unrolled: 3-line block ×5, first 2 shown]
	v_dot4c_i32_i8_e32 v80, v2, v9
	v_cvt_f32_f16_sdwa v3, v131 dst_sel:DWORD dst_unused:UNUSED_PAD src0_sel:WORD_1
	v_cvt_f32_ubyte2_e32 v139, v79
	v_cvt_f32_ubyte3_e32 v79, v79
	v_mul_lo_u32 v2, v80, v142
	v_cvt_f32_i32_e32 v78, v2
	v_cvt_f32_f16_e32 v2, v131
	v_mul_f32_e32 v24, v24, v3
	v_mov_b32_e32 v80, v87
	v_fma_mix_f32 v91, v4, v131, -v24 op_sel_hi:[0,1,0]
	v_pk_fma_f32 v[86:87], v[80:81], v[138:139], 0 op_sel_hi:[1,1,0]
	v_mov_b32_e32 v4, v89
	v_pk_fma_f32 v[78:79], v[4:5], v[78:79], v[86:87]
	v_mov_b32_e32 v90, v82
	v_pk_mul_f32 v[86:87], v[78:79], v[2:3]
	v_pk_add_f32 v[72:73], v[72:73], v[90:91]
	v_mov_b32_e32 v87, v86
	v_pk_fma_f32 v[2:3], v[78:79], v[2:3], v[86:87] neg_lo:[1,0,0] neg_hi:[1,0,0]
	v_mov_b32_e32 v24, 0
	v_mov_b32_e32 v2, v83
	v_pk_add_f32 v[72:73], v[72:73], v[2:3]
	s_waitcnt lgkmcnt(0)
	v_and_b32_e32 v2, 0xf0f0f0f, v134
	v_dot4c_i32_i8_e32 v24, v2, v18
	v_and_b32_e32 v2, 0xf0f0f0f, v135
	v_dot4c_i32_i8_e32 v24, v2, v19
	v_add_u32_e32 v2, 0x2128, v119
	ds_read2_b32 v[2:3], v2 offset1:1
	v_add_u32_e32 v78, 0x2130, v119
	v_add_u32_e32 v82, 0x2138, v119
	;; [unrolled: 1-line block ×3, first 2 shown]
	ds_read2_b32 v[78:79], v78 offset1:1
	ds_read2_b32 v[82:83], v82 offset1:1
	;; [unrolled: 1-line block ×3, first 2 shown]
	s_waitcnt lgkmcnt(3)
	v_and_b32_e32 v88, 0xf0f0f0f, v2
	v_dot4c_i32_i8_e32 v24, v88, v20
	v_and_b32_e32 v88, 0xf0f0f0f, v3
	v_dot4c_i32_i8_e32 v24, v88, v21
	s_waitcnt lgkmcnt(2)
	v_and_b32_e32 v88, 0xf0f0f0f, v78
	v_dot4c_i32_i8_e32 v24, v88, v14
	v_and_b32_e32 v88, 0xf0f0f0f, v79
	v_dot4c_i32_i8_e32 v24, v88, v15
	s_waitcnt lgkmcnt(1)
	v_and_b32_e32 v88, 0xf0f0f0f, v82
	v_dot4c_i32_i8_e32 v24, v88, v16
	v_and_b32_e32 v88, 0xf0f0f0f, v83
	v_lshrrev_b32_e32 v130, 24, v74
	v_dot4c_i32_i8_e32 v24, v88, v17
	v_bfe_u32 v74, v74, 16, 8
	v_lshrrev_b32_e32 v2, 4, v2
	v_and_b32_e32 v2, 0xf0f0f0f, v2
	v_mul_lo_u32 v24, v24, v74
	v_cvt_f32_i32_e32 v88, v24
	v_lshrrev_b32_e32 v24, 4, v134
	v_and_b32_e32 v24, 0xf0f0f0f, v24
	v_mov_b32_e32 v74, 0
	v_dot4c_i32_i8_e32 v74, v24, v10
	v_lshrrev_b32_e32 v24, 4, v135
	v_and_b32_e32 v24, 0xf0f0f0f, v24
	v_dot4c_i32_i8_e32 v74, v24, v11
	v_dot4c_i32_i8_e32 v74, v2, v12
	v_lshrrev_b32_e32 v2, 4, v3
	v_and_b32_e32 v2, 0xf0f0f0f, v2
	v_dot4c_i32_i8_e32 v74, v2, v13
	v_lshrrev_b32_e32 v2, 4, v78
	v_and_b32_e32 v2, 0xf0f0f0f, v2
	;; [unrolled: 3-line block ×5, first 2 shown]
	v_cvt_f32_f16_sdwa v3, v85 dst_sel:DWORD dst_unused:UNUSED_PAD src0_sel:WORD_1
	v_dot4c_i32_i8_e32 v74, v2, v9
	v_cvt_f32_ubyte2_e32 v89, v75
	v_cvt_f32_ubyte3_e32 v75, v75
	v_mul_f32_e32 v24, v84, v3
	v_mul_lo_u32 v2, v74, v130
	v_cvt_f32_i32_e32 v74, v2
	v_cvt_f32_f16_e32 v2, v85
	v_fma_mix_f32 v24, v129, v85, -v24 op_sel_hi:[0,1,0]
	v_add_f32_e32 v78, v25, v24
	v_pk_fma_f32 v[24:25], v[80:81], v[88:89], 0 op_sel_hi:[1,1,0]
	v_lshrrev_b32_e32 v152, 24, v76
	v_pk_fma_f32 v[24:25], v[4:5], v[74:75], v[24:25]
	v_add_u32_e32 v74, 0x31b8, v119
	v_pk_mul_f32 v[2:3], v[24:25], v[2:3]
	v_mov_b32_e32 v24, 0
	v_sub_f32_e32 v2, v2, v3
	v_add_f32_e32 v25, v78, v2
	s_waitcnt lgkmcnt(0)
	v_and_b32_e32 v2, 0xf0f0f0f, v86
	v_dot4c_i32_i8_e32 v24, v2, v18
	v_and_b32_e32 v2, 0xf0f0f0f, v87
	v_dot4c_i32_i8_e32 v24, v2, v19
	v_add_u32_e32 v2, 0x31a8, v119
	ds_read2_b32 v[2:3], v2 offset1:1
	v_add_u32_e32 v18, 0x31b0, v119
	ds_read2_b32 v[18:19], v18 offset1:1
	ds_read2_b32 v[74:75], v74 offset1:1
	s_cmp_ge_i32 s14, s15
	s_waitcnt lgkmcnt(0)
	v_and_b32_e32 v78, 0xf0f0f0f, v2
	v_dot4c_i32_i8_e32 v24, v78, v20
	v_and_b32_e32 v20, 0xf0f0f0f, v3
	v_dot4c_i32_i8_e32 v24, v20, v21
	;; [unrolled: 2-line block ×5, first 2 shown]
	v_and_b32_e32 v14, 0xf0f0f0f, v75
	v_lshrrev_b32_e32 v16, 4, v86
	v_dot4c_i32_i8_e32 v24, v14, v17
	v_and_b32_e32 v16, 0xf0f0f0f, v16
	v_mov_b32_e32 v17, 0
	v_dot4c_i32_i8_e32 v17, v16, v10
	v_lshrrev_b32_e32 v10, 4, v87
	v_and_b32_e32 v10, 0xf0f0f0f, v10
	v_lshrrev_b32_e32 v2, 4, v2
	v_dot4c_i32_i8_e32 v17, v10, v11
	v_and_b32_e32 v2, 0xf0f0f0f, v2
	v_dot4c_i32_i8_e32 v17, v2, v12
	v_lshrrev_b32_e32 v2, 4, v3
	v_and_b32_e32 v2, 0xf0f0f0f, v2
	v_dot4c_i32_i8_e32 v17, v2, v13
	v_lshrrev_b32_e32 v2, 4, v18
	;; [unrolled: 3-line block ×5, first 2 shown]
	v_bfe_u32 v14, v76, 16, 8
	v_and_b32_e32 v2, 0xf0f0f0f, v2
	v_cvt_f32_f16_sdwa v3, v23 dst_sel:DWORD dst_unused:UNUSED_PAD src0_sel:WORD_1
	v_mul_lo_u32 v14, v24, v14
	v_dot4c_i32_i8_e32 v17, v2, v9
	v_cvt_f32_i32_e32 v14, v14
	v_mul_f32_e32 v8, v141, v3
	v_cvt_f32_ubyte2_e32 v15, v77
	v_mul_lo_u32 v2, v17, v152
	v_cvt_f32_i32_e32 v6, v2
	v_cvt_f32_f16_e32 v2, v23
	v_fma_mix_f32 v8, v140, v23, -v8 op_sel_hi:[0,1,0]
	v_cvt_f32_ubyte3_e32 v7, v77
	v_add_f32_e32 v10, v128, v8
	v_pk_fma_f32 v[8:9], v[80:81], v[14:15], 0 op_sel_hi:[1,1,0]
	s_barrier
	v_pk_fma_f32 v[4:5], v[4:5], v[6:7], v[8:9]
	s_nop 0
	v_pk_mul_f32 v[2:3], v[4:5], v[2:3]
	s_nop 0
	v_sub_f32_e32 v2, v2, v3
	v_add_f32_e32 v128, v10, v2
	s_cbranch_scc1 .LBB211_5
; %bb.13:                               ;   in Loop: Header=BB211_6 Depth=1
	v_cmp_gt_i32_e64 s[2:3], s5, v121
	s_and_b64 s[8:9], s[0:1], s[2:3]
	s_and_saveexec_b64 s[2:3], s[8:9]
	s_cbranch_execz .LBB211_15
; %bb.14:                               ;   in Loop: Header=BB211_6 Depth=1
	v_add_u32_e32 v2, v28, v121
	v_mad_i64_i32 v[2:3], s[8:9], v2, 36, v[26:27]
	global_load_dword v2, v[2:3], off offset:4
	s_waitcnt vmcnt(0)
	ds_write_b32 v113, v2
.LBB211_15:                             ;   in Loop: Header=BB211_6 Depth=1
	s_or_b64 exec, exec, s[2:3]
	s_and_saveexec_b64 s[8:9], vcc
	s_cbranch_execz .LBB211_4
; %bb.16:                               ;   in Loop: Header=BB211_6 Depth=1
	v_add_u32_e32 v2, 4, v22
	v_cmp_gt_i32_e64 s[2:3], s5, v2
	s_and_b64 s[2:3], s[0:1], s[2:3]
	s_and_b64 exec, exec, s[2:3]
	s_cbranch_execz .LBB211_4
; %bb.17:                               ;   in Loop: Header=BB211_6 Depth=1
	v_ashrrev_i32_e32 v23, 31, v22
	v_lshl_add_u64 v[2:3], v[28:29], 0, v[22:23]
	v_mad_u64_u32 v[4:5], s[2:3], v2, 36, s[20:21]
	v_mad_i32_i24 v5, v3, 36, v5
	global_load_dword v2, v[4:5], off
	s_waitcnt vmcnt(0)
	ds_write_b32 v114, v2
	s_branch .LBB211_4
.LBB211_18:
	v_mov_b32_e32 v2, 0
	v_mov_b32_e32 v4, 0
	;; [unrolled: 1-line block ×3, first 2 shown]
	s_mul_i32 s0, s7, s4
	s_waitcnt vmcnt(0)
	v_cmp_gt_i32_e32 vcc, s0, v1
	s_and_saveexec_b64 s[0:1], vcc
	s_cbranch_execnz .LBB211_21
.LBB211_19:
	s_endpgm
.LBB211_20:
	v_cvt_f16_f32_e32 v6, v72
	v_cvt_f16_f32_e32 v4, v73
	;; [unrolled: 1-line block ×4, first 2 shown]
	s_mul_i32 s0, s7, s4
	v_cmp_gt_i32_e32 vcc, s0, v1
	s_and_saveexec_b64 s[0:1], vcc
	s_cbranch_execz .LBB211_19
.LBB211_21:
	v_and_b32_e32 v0, 0x3ff, v0
	v_add_u32_e32 v5, s24, v0
	v_mul_lo_u32 v0, v1, s6
	v_cmp_gt_u32_e32 vcc, s6, v5
	s_and_saveexec_b64 s[0:1], vcc
	s_cbranch_execz .LBB211_23
; %bb.22:
	v_add_u32_e32 v8, v0, v5
	v_mov_b32_e32 v9, 0
	v_lshl_add_u64 v[8:9], v[8:9], 1, s[12:13]
	global_store_short v[8:9], v6, off
.LBB211_23:
	s_or_b64 exec, exec, s[0:1]
	v_add_u32_e32 v1, 32, v5
	v_cmp_gt_u32_e32 vcc, s6, v1
	s_and_saveexec_b64 s[0:1], vcc
	s_cbranch_execz .LBB211_25
; %bb.24:
	v_add_u32_e32 v6, v0, v1
	v_mov_b32_e32 v7, 0
	v_lshl_add_u64 v[6:7], v[6:7], 1, s[12:13]
	global_store_short v[6:7], v4, off
.LBB211_25:
	s_or_b64 exec, exec, s[0:1]
	v_add_u32_e32 v1, 64, v5
	;; [unrolled: 11-line block ×3, first 2 shown]
	v_cmp_gt_u32_e32 vcc, s6, v1
	s_and_b64 exec, exec, vcc
	s_cbranch_execz .LBB211_19
; %bb.28:
	v_add_u32_e32 v0, v0, v1
	v_mov_b32_e32 v1, 0
	v_lshl_add_u64 v[0:1], v[0:1], 1, s[12:13]
	global_store_short v[0:1], v3, off
	s_endpgm
	.section	.rodata,"a",@progbits
	.p2align	6, 0x0
	.amdhsa_kernel _ZL8moe_q4_KIN3c104HalfELb0EEvPKvS3_PT_PKiS7_S7_iiiiiii
		.amdhsa_group_segment_fixed_size 20688
		.amdhsa_private_segment_fixed_size 0
		.amdhsa_kernarg_size 76
		.amdhsa_user_sgpr_count 2
		.amdhsa_user_sgpr_dispatch_ptr 0
		.amdhsa_user_sgpr_queue_ptr 0
		.amdhsa_user_sgpr_kernarg_segment_ptr 1
		.amdhsa_user_sgpr_dispatch_id 0
		.amdhsa_user_sgpr_kernarg_preload_length 0
		.amdhsa_user_sgpr_kernarg_preload_offset 0
		.amdhsa_user_sgpr_private_segment_size 0
		.amdhsa_uses_dynamic_stack 0
		.amdhsa_enable_private_segment 0
		.amdhsa_system_sgpr_workgroup_id_x 1
		.amdhsa_system_sgpr_workgroup_id_y 1
		.amdhsa_system_sgpr_workgroup_id_z 0
		.amdhsa_system_sgpr_workgroup_info 0
		.amdhsa_system_vgpr_workitem_id 1
		.amdhsa_next_free_vgpr 154
		.amdhsa_next_free_sgpr 30
		.amdhsa_accum_offset 156
		.amdhsa_reserve_vcc 1
		.amdhsa_float_round_mode_32 0
		.amdhsa_float_round_mode_16_64 0
		.amdhsa_float_denorm_mode_32 3
		.amdhsa_float_denorm_mode_16_64 3
		.amdhsa_dx10_clamp 1
		.amdhsa_ieee_mode 1
		.amdhsa_fp16_overflow 0
		.amdhsa_tg_split 0
		.amdhsa_exception_fp_ieee_invalid_op 0
		.amdhsa_exception_fp_denorm_src 0
		.amdhsa_exception_fp_ieee_div_zero 0
		.amdhsa_exception_fp_ieee_overflow 0
		.amdhsa_exception_fp_ieee_underflow 0
		.amdhsa_exception_fp_ieee_inexact 0
		.amdhsa_exception_int_div_zero 0
	.end_amdhsa_kernel
	.section	.text._ZL8moe_q4_KIN3c104HalfELb0EEvPKvS3_PT_PKiS7_S7_iiiiiii,"axG",@progbits,_ZL8moe_q4_KIN3c104HalfELb0EEvPKvS3_PT_PKiS7_S7_iiiiiii,comdat
.Lfunc_end211:
	.size	_ZL8moe_q4_KIN3c104HalfELb0EEvPKvS3_PT_PKiS7_S7_iiiiiii, .Lfunc_end211-_ZL8moe_q4_KIN3c104HalfELb0EEvPKvS3_PT_PKiS7_S7_iiiiiii
                                        ; -- End function
	.section	.AMDGPU.csdata,"",@progbits
; Kernel info:
; codeLenInByte = 9948
; NumSgprs: 36
; NumVgprs: 154
; NumAgprs: 0
; TotalNumVgprs: 154
; ScratchSize: 0
; MemoryBound: 0
; FloatMode: 240
; IeeeMode: 1
; LDSByteSize: 20688 bytes/workgroup (compile time only)
; SGPRBlocks: 4
; VGPRBlocks: 19
; NumSGPRsForWavesPerEU: 36
; NumVGPRsForWavesPerEU: 154
; AccumOffset: 156
; Occupancy: 3
; WaveLimiterHint : 1
; COMPUTE_PGM_RSRC2:SCRATCH_EN: 0
; COMPUTE_PGM_RSRC2:USER_SGPR: 2
; COMPUTE_PGM_RSRC2:TRAP_HANDLER: 0
; COMPUTE_PGM_RSRC2:TGID_X_EN: 1
; COMPUTE_PGM_RSRC2:TGID_Y_EN: 1
; COMPUTE_PGM_RSRC2:TGID_Z_EN: 0
; COMPUTE_PGM_RSRC2:TIDIG_COMP_CNT: 1
; COMPUTE_PGM_RSRC3_GFX90A:ACCUM_OFFSET: 38
; COMPUTE_PGM_RSRC3_GFX90A:TG_SPLIT: 0
	.section	.text._ZL8moe_q4_KIN3c104HalfELb1EEvPKvS3_PT_PKiS7_S7_iiiiiii,"axG",@progbits,_ZL8moe_q4_KIN3c104HalfELb1EEvPKvS3_PT_PKiS7_S7_iiiiiii,comdat
	.globl	_ZL8moe_q4_KIN3c104HalfELb1EEvPKvS3_PT_PKiS7_S7_iiiiiii ; -- Begin function _ZL8moe_q4_KIN3c104HalfELb1EEvPKvS3_PT_PKiS7_S7_iiiiiii
	.p2align	8
	.type	_ZL8moe_q4_KIN3c104HalfELb1EEvPKvS3_PT_PKiS7_S7_iiiiiii,@function
_ZL8moe_q4_KIN3c104HalfELb1EEvPKvS3_PT_PKiS7_S7_iiiiiii: ; @_ZL8moe_q4_KIN3c104HalfELb1EEvPKvS3_PT_PKiS7_S7_iiiiiii
; %bb.0:
	s_load_dwordx4 s[4:7], s[0:1], 0x18
	s_mov_b32 s8, s3
	s_mov_b32 s9, 0
	s_lshl_b64 s[10:11], s[8:9], 2
	s_waitcnt lgkmcnt(0)
	s_add_u32 s6, s6, s10
	s_addc_u32 s7, s7, s11
	s_load_dword s3, s[6:7], 0x0
	s_waitcnt lgkmcnt(0)
	s_cmpk_gt_u32 s3, 0xff
	s_cbranch_scc1 .LBB212_19
; %bb.1:
	s_load_dwordx2 s[6:7], s[0:1], 0x28
	s_waitcnt lgkmcnt(0)
	s_load_dword s7, s[6:7], 0x0
	s_lshl_b32 s6, s8, 3
	s_waitcnt lgkmcnt(0)
	s_cmp_gt_u32 s6, s7
	s_cbranch_scc1 .LBB212_19
; %bb.2:
	v_bfe_u32 v4, v0, 10, 10
	v_mov_b32_e32 v6, s4
	v_mov_b32_e32 v7, s5
	v_add_u32_e32 v2, s6, v4
	v_mov_b32_e32 v3, 0
	v_lshl_add_u64 v[6:7], v[2:3], 2, v[6:7]
	global_load_dword v1, v[6:7], off
	s_load_dwordx8 s[4:11], s[0:1], 0x30
	s_load_dwordx2 s[16:17], s[0:1], 0x10
	s_waitcnt lgkmcnt(0)
	s_lshl_b32 s11, s2, 7
	s_mov_b32 s24, 0
	s_cmpk_lt_i32 s5, 0x100
	s_cbranch_scc1 .LBB212_18
; %bb.3:
	s_load_dwordx4 s[12:15], s[0:1], 0x0
	s_ashr_i32 s0, s5, 31
	s_lshr_b32 s0, s0, 24
	s_add_i32 s0, s5, s0
	s_ashr_i32 s26, s0, 8
	s_ashr_i32 s0, s8, 31
	s_lshr_b32 s0, s0, 27
	s_add_i32 s0, s8, s0
	s_ashr_i32 s8, s0, 5
	s_not_b32 s0, s11
	s_add_i32 s6, s0, s6
	v_and_b32_e32 v22, 0x3ff, v0
	v_lshlrev_b32_e32 v2, 2, v22
	v_min_i32_e32 v3, s6, v4
	s_movk_i32 s2, 0x84
	v_mul_lo_u32 v8, v3, s26
	v_mad_u64_u32 v[26:27], s[0:1], v3, s2, v[2:3]
	v_add_u32_e32 v3, 8, v4
	v_min_i32_e32 v3, s6, v3
	v_mul_lo_u32 v9, v3, s26
	v_mad_u64_u32 v[28:29], s[0:1], v3, s2, v[2:3]
	v_add_u32_e32 v3, 16, v4
	v_min_i32_e32 v3, s6, v3
	;; [unrolled: 4-line block ×15, first 2 shown]
	v_mul_lo_u32 v92, v3, s26
	v_mad_u64_u32 v[56:57], s[0:1], v3, s2, v[2:3]
	v_lshlrev_b32_e32 v3, 5, v4
	v_add_u32_e32 v35, v3, v22
	v_and_b32_e32 v6, 0x7f, v35
	v_min_i32_e32 v6, s6, v6
	v_ashrrev_i32_e32 v7, 31, v6
	v_lshrrev_b32_e32 v7, 27, v7
	v_add_u32_e32 v7, v6, v7
	v_ashrrev_i32_e32 v7, 5, v7
	v_mul_lo_u32 v94, v6, s26
	v_lshlrev_b32_e32 v7, 2, v7
	v_lshlrev_b32_e32 v6, 2, v6
	s_movk_i32 s0, 0x4e40
	v_add3_u32 v27, v7, v6, s0
	v_lshrrev_b32_e32 v6, 2, v22
	v_lshl_add_u32 v6, v4, 3, v6
	v_and_b32_e32 v6, 0x7f, v6
	v_min_i32_e32 v33, s6, v6
	v_ashrrev_i32_e32 v37, 31, v33
	v_xor_b32_e32 v6, 64, v6
	v_lshrrev_b32_e32 v37, 29, v37
	v_min_i32_e32 v6, s6, v6
	v_mul_lo_u32 v97, v33, s26
	v_add_u32_e32 v37, v33, v37
	v_lshlrev_b32_e32 v107, 4, v33
	v_ashrrev_i32_e32 v33, 31, v6
	v_lshrrev_b32_e32 v33, 29, v33
	v_and_b32_e32 v7, 3, v22
	v_add_u32_e32 v33, v6, v33
	v_add_u32_e32 v29, 0xfe, v7
	v_cmp_gt_u32_e32 vcc, 2, v7
	v_ashrrev_i32_e32 v37, 3, v37
	v_ashrrev_i32_e32 v33, 3, v33
	s_mul_i32 s18, s3, s4
	v_mov_b32_e32 v25, 0
	v_cndmask_b32_e32 v29, v29, v7, vcc
	v_cmp_ne_u32_e32 vcc, 0, v7
	v_cmp_lt_u32_e64 s[2:3], 1, v7
	v_lshlrev_b32_e32 v37, 2, v37
	v_lshlrev_b32_e32 v7, 2, v7
	s_movk_i32 s1, 0x4200
	v_lshlrev_b32_e32 v33, 2, v33
	v_add3_u32 v106, v37, v7, s1
	v_mul_lo_u32 v100, v6, s26
	v_add3_u32 v108, v33, v7, s1
	v_lshlrev_b32_e32 v109, 4, v6
	v_and_b32_e32 v6, 28, v2
	v_mov_b32_e32 v7, v25
	v_and_or_b32 v3, v22, 31, v3
	s_waitcnt lgkmcnt(0)
	v_lshl_add_u64 v[58:59], s[14:15], 0, v[6:7]
	v_mov_b32_e32 v6, 0x4a40
	s_movk_i32 s1, 0xffe4
	v_lshl_add_u32 v33, v3, 2, v6
	v_mad_i32_i24 v3, v4, s1, v35
	v_mov_b32_e32 v7, 0x5050
	v_lshrrev_b32_e32 v37, 3, v22
	v_lshrrev_b32_e32 v5, 5, v22
	v_lshl_add_u32 v35, v3, 2, v7
	v_lshl_add_u32 v39, v4, 7, v6
	v_lshlrev_b32_e32 v41, 4, v4
	v_add_u32_e32 v3, v37, v2
	v_mov_b32_e32 v4, 0x4200
	v_lshl_add_u32 v43, v3, 2, v4
	v_lshlrev_b32_e32 v3, 2, v5
	v_add3_u32 v47, v3, v2, s0
	v_add_u32_e32 v3, 32, v22
	v_lshrrev_b32_e32 v49, 3, v3
	v_lshl_add_u32 v3, v3, 2, v49
	v_lshl_add_u32 v51, v3, 2, v4
	v_and_b32_e32 v3, 60, v49
	v_add3_u32 v53, v2, v3, s0
	v_add_u32_e32 v3, 64, v22
	v_lshrrev_b32_e32 v6, 3, v3
	v_lshl_add_u32 v3, v3, 2, v6
	s_abs_i32 s6, s10
	v_lshl_add_u32 v55, v3, 2, v4
	v_and_b32_e32 v3, 60, v6
	v_cvt_f32_u32_e32 v7, s6
	v_add3_u32 v57, v2, v3, s0
	v_add_u32_e32 v3, 0x60, v22
	v_lshrrev_b32_e32 v6, 3, v3
	v_lshl_add_u32 v3, v3, 2, v6
	v_lshl_add_u32 v124, v3, 2, v4
	v_rcp_iflag_f32_e32 v4, v7
	v_and_b32_e32 v3, 60, v6
	v_add3_u32 v125, v2, v3, s0
	s_sub_i32 s0, 0, s6
	v_mul_f32_e32 v3, 0x4f7ffffe, v4
	v_cvt_u32_f32_e32 v3, v3
	s_waitcnt vmcnt(0)
	v_sub_u32_e32 v4, 0, v1
	v_max_i32_e32 v4, v1, v4
	v_and_b32_e32 v24, 0x7c, v2
	v_mul_lo_u32 v6, s0, v3
	v_mul_hi_u32 v6, v3, v6
	v_add_u32_e32 v3, v3, v6
	v_mul_hi_u32 v3, v4, v3
	v_mul_lo_u32 v6, v3, s6
	v_sub_u32_e32 v4, v4, v6
	v_add_u32_e32 v6, 1, v3
	v_cmp_le_u32_e64 s[0:1], s6, v4
	v_and_b32_e32 v31, 0xff, v29
	v_and_b32_e32 v29, 4, v2
	v_cndmask_b32_e64 v3, v3, v6, s[0:1]
	v_subrev_u32_e32 v6, s6, v4
	v_cndmask_b32_e64 v4, v4, v6, s[0:1]
	v_xor_b32_e32 v2, s10, v1
	v_add_u32_e32 v6, 1, v3
	v_cmp_le_u32_e64 s[0:1], s6, v4
	v_ashrrev_i32_e32 v2, 31, v2
	s_mul_i32 s4, s26, s11
	v_cndmask_b32_e64 v3, v3, v6, s[0:1]
	v_xor_b32_e32 v3, v3, v2
	v_sub_u32_e32 v2, v3, v2
	s_mul_hi_i32 s29, s4, 0x90
	s_mul_i32 s28, s4, 0x90
	v_cmp_gt_i32_e64 s[0:1], s7, v2
	v_mul_lo_u32 v60, v2, s8
	s_movk_i32 s6, 0x90
	v_mov_b64_e32 v[2:3], s[28:29]
	v_mad_u64_u32 v[2:3], s[30:31], v5, s6, v[2:3]
	v_mad_i64_i32 v[4:5], s[30:31], v8, s6, v[2:3]
	v_lshl_add_u64 v[4:5], v[4:5], 0, v[24:25]
	v_lshl_add_u64 v[4:5], v[4:5], 0, s[12:13]
	v_lshl_add_u64 v[62:63], v[4:5], 0, 16
	v_mad_i64_i32 v[4:5], s[30:31], v9, s6, v[2:3]
	v_lshl_add_u64 v[4:5], v[4:5], 0, v[24:25]
	v_lshl_add_u64 v[4:5], v[4:5], 0, s[12:13]
	v_lshl_add_u64 v[64:65], v[4:5], 0, 16
	;; [unrolled: 4-line block ×13, first 2 shown]
	v_mad_i64_i32 v[4:5], s[30:31], v21, s6, v[2:3]
	s_ashr_i32 s19, s18, 31
	v_lshl_add_u64 v[4:5], v[4:5], 0, v[24:25]
	s_add_u32 s22, s14, 0x90
	v_lshl_add_u64 v[4:5], v[4:5], 0, s[12:13]
	s_addc_u32 s23, s15, 0
	v_lshl_add_u64 v[88:89], v[4:5], 0, 16
	v_mad_i64_i32 v[4:5], s[30:31], v23, s6, v[2:3]
	v_mad_i64_i32 v[2:3], s[30:31], v92, s6, v[2:3]
	v_lshl_add_u64 v[2:3], v[2:3], 0, v[24:25]
	s_add_u32 s28, s12, s28
	v_lshl_add_u64 v[2:3], v[2:3], 0, s[12:13]
	s_addc_u32 s29, s13, s29
	v_lshl_add_u64 v[92:93], v[2:3], 0, 16
	v_mov_b64_e32 v[2:3], s[28:29]
	v_addc_co_u32_e32 v96, vcc, 0, v31, vcc
	v_lshl_add_u64 v[4:5], v[4:5], 0, v[24:25]
	v_mad_i64_i32 v[94:95], s[28:29], v94, s6, v[2:3]
	v_mad_i64_i32 v[2:3], s[28:29], v97, s6, 0
	v_mov_b32_e32 v6, 0x90
	v_lshl_add_u64 v[4:5], v[4:5], 0, s[12:13]
	v_mad_i64_i32 v[2:3], s[28:29], s4, v6, v[2:3]
	v_lshlrev_b32_e32 v24, 2, v96
	v_lshl_add_u64 v[90:91], v[4:5], 0, 16
	v_lshl_add_u64 v[4:5], v[2:3], 0, v[24:25]
	;; [unrolled: 1-line block ×4, first 2 shown]
	v_cndmask_b32_e64 v4, 0, 1, s[2:3]
	v_lshlrev_b32_e32 v7, 2, v4
	v_or_b32_e32 v2, v2, v7
	v_lshl_add_u64 v[2:3], v[2:3], 0, s[12:13]
	v_cndmask_b32_e64 v29, 0, v29, s[2:3]
	v_lshl_add_u64 v[98:99], v[2:3], 0, 4
	v_mad_i64_i32 v[2:3], s[2:3], v100, s6, 0
	v_mad_i64_i32 v[2:3], s[2:3], s4, v6, v[2:3]
	v_lshl_add_u64 v[4:5], v[2:3], 0, v[24:25]
	v_or_b32_e32 v2, v2, v7
	v_lshl_add_u64 v[4:5], v[4:5], 0, s[12:13]
	v_lshl_add_u64 v[2:3], v[2:3], 0, s[12:13]
	s_mov_b32 s25, s24
	v_lshlrev_b32_e32 v31, 1, v31
	v_cmp_gt_u32_e32 vcc, 4, v22
	v_mul_u32_u24_e32 v45, 0x84, v22
	v_ashrrev_i32_e32 v61, 31, v60
	s_mov_b64 s[20:21], 0x90
	v_lshl_add_u64 v[100:101], v[4:5], 0, 4
	v_lshl_add_u64 v[102:103], v[2:3], 0, 4
	s_movk_i32 s4, 0x80
	v_mov_b64_e32 v[104:105], s[24:25]
	s_mov_b32 s6, 0x30303030
	v_add_u32_e32 v126, v106, v107
	v_add_u32_e32 v127, v108, v109
	v_mov_b32_e32 v128, v25
	s_branch .LBB212_6
.LBB212_4:                              ;   in Loop: Header=BB212_6 Depth=1
	s_or_b64 exec, exec, s[12:13]
	s_waitcnt lgkmcnt(0)
	s_barrier
	ds_read_b128 v[2:5], v41 offset:20560
	ds_read2_b32 v[106:107], v45 offset0:16 offset1:17
	ds_read_b128 v[18:21], v39
	ds_read_b128 v[14:17], v39 offset:16
	ds_read_b128 v[10:13], v39 offset:32
	;; [unrolled: 1-line block ×3, first 2 shown]
	ds_read_b32 v23, v47
	ds_read2_b32 v[108:109], v45 offset0:18 offset1:19
	s_waitcnt lgkmcnt(6)
	v_and_b32_e32 v24, 0xf0f0f0f, v106
	v_mov_b32_e32 v129, 0
	s_waitcnt lgkmcnt(5)
	v_dot4c_i32_i8_e32 v129, v24, v18
	v_and_b32_e32 v24, 0xf0f0f0f, v107
	ds_read2_b32 v[110:111], v45 offset0:20 offset1:21
	ds_read2_b32 v[116:117], v45 offset0:22 offset1:23
	;; [unrolled: 1-line block ×3, first 2 shown]
	v_dot4c_i32_i8_e32 v129, v24, v19
	s_waitcnt lgkmcnt(3)
	v_and_b32_e32 v24, 0xf0f0f0f, v108
	v_dot4c_i32_i8_e32 v129, v24, v20
	v_and_b32_e32 v24, 0xf0f0f0f, v109
	v_dot4c_i32_i8_e32 v129, v24, v21
	s_waitcnt lgkmcnt(2)
	v_and_b32_e32 v24, 0xf0f0f0f, v110
	v_dot4c_i32_i8_e32 v129, v24, v14
	v_and_b32_e32 v24, 0xf0f0f0f, v111
	;; [unrolled: 5-line block ×3, first 2 shown]
	v_dot4c_i32_i8_e32 v129, v24, v17
	v_lshrrev_b32_e32 v24, 4, v106
	v_and_b32_e32 v24, 0xf0f0f0f, v24
	v_mov_b32_e32 v141, 0
	v_dot4c_i32_i8_e32 v141, v24, v10
	v_lshrrev_b32_e32 v24, 4, v107
	v_and_b32_e32 v24, 0xf0f0f0f, v24
	v_dot4c_i32_i8_e32 v141, v24, v11
	v_lshrrev_b32_e32 v24, 4, v108
	v_and_b32_e32 v24, 0xf0f0f0f, v24
	;; [unrolled: 3-line block ×3, first 2 shown]
	v_add_u32_e32 v106, 0x10c0, v45
	ds_read2_b32 v[114:115], v43 offset0:1 offset1:3
	v_dot4c_i32_i8_e32 v141, v24, v13
	v_lshrrev_b32_e32 v24, 4, v110
	ds_read2_b32 v[118:119], v45 offset0:26 offset1:27
	ds_read2_b32 v[120:121], v45 offset0:28 offset1:29
	;; [unrolled: 1-line block ×3, first 2 shown]
	ds_read2_b32 v[106:107], v106 offset1:1
	v_and_b32_e32 v24, 0xf0f0f0f, v24
	v_dot4c_i32_i8_e32 v141, v24, v6
	v_lshrrev_b32_e32 v24, 4, v111
	v_and_b32_e32 v24, 0xf0f0f0f, v24
	v_dot4c_i32_i8_e32 v141, v24, v7
	v_lshrrev_b32_e32 v24, 4, v116
	v_and_b32_e32 v24, 0xf0f0f0f, v24
	s_waitcnt lgkmcnt(0)
	v_and_b32_e32 v108, 0xf0f0f0f, v106
	v_mov_b32_e32 v130, 0
	v_dot4c_i32_i8_e32 v141, v24, v8
	v_lshrrev_b32_e32 v24, 4, v117
	v_dot4c_i32_i8_e32 v130, v108, v18
	v_and_b32_e32 v108, 0xf0f0f0f, v107
	v_and_b32_e32 v24, 0xf0f0f0f, v24
	v_dot4c_i32_i8_e32 v130, v108, v19
	v_add_u32_e32 v108, 0x10c8, v45
	v_dot4c_i32_i8_e32 v141, v24, v9
	v_cvt_f32_f16_e32 v24, v23
	v_cvt_f32_f16_sdwa v116, v23 dst_sel:DWORD dst_unused:UNUSED_PAD src0_sel:WORD_1
	ds_read_b32 v131, v53 offset:128
	ds_read_b32 v117, v57 offset:256
	ds_read_b32 v23, v125 offset:384
	ds_read2_b32 v[108:109], v108 offset1:1
	v_add_u32_e32 v110, 0x10d0, v45
	v_add_u32_e32 v136, 0x2140, v45
	;; [unrolled: 1-line block ×3, first 2 shown]
	ds_read2_b32 v[132:133], v110 offset1:1
	ds_read2_b32 v[134:135], v111 offset1:1
	;; [unrolled: 1-line block ×3, first 2 shown]
	s_waitcnt lgkmcnt(3)
	v_and_b32_e32 v110, 0xf0f0f0f, v108
	v_dot4c_i32_i8_e32 v130, v110, v20
	v_and_b32_e32 v110, 0xf0f0f0f, v109
	v_dot4c_i32_i8_e32 v130, v110, v21
	s_waitcnt lgkmcnt(2)
	v_and_b32_e32 v110, 0xf0f0f0f, v132
	v_dot4c_i32_i8_e32 v130, v110, v14
	v_and_b32_e32 v110, 0xf0f0f0f, v133
	v_dot4c_i32_i8_e32 v130, v110, v15
	ds_read2_b32 v[110:111], v51 offset0:1 offset1:3
	s_waitcnt lgkmcnt(2)
	v_and_b32_e32 v138, 0xf0f0f0f, v134
	v_dot4c_i32_i8_e32 v130, v138, v16
	v_and_b32_e32 v138, 0xf0f0f0f, v135
	v_dot4c_i32_i8_e32 v130, v138, v17
	s_waitcnt lgkmcnt(0)
	v_and_b32_e32 v138, 0xff, v110
	v_lshrrev_b32_e32 v106, 4, v106
	v_and_b32_e32 v106, 0xf0f0f0f, v106
	v_mul_lo_u32 v130, v130, v138
	v_cvt_f32_i32_e32 v143, v130
	v_mov_b32_e32 v130, 0
	v_dot4c_i32_i8_e32 v130, v106, v10
	v_lshrrev_b32_e32 v106, 4, v107
	v_and_b32_e32 v106, 0xf0f0f0f, v106
	v_dot4c_i32_i8_e32 v130, v106, v11
	v_lshrrev_b32_e32 v106, 4, v108
	v_and_b32_e32 v106, 0xf0f0f0f, v106
	;; [unrolled: 3-line block ×7, first 2 shown]
	v_dot4c_i32_i8_e32 v130, v106, v9
	v_bfe_u32 v106, v110, 8, 8
	v_mov_b32_e32 v147, 0
	v_mov_b32_e32 v149, 0
	v_mul_lo_u32 v106, v130, v106
	v_cvt_f32_i32_e32 v145, v106
	v_and_b32_e32 v106, 0xf0f0f0f, v136
	v_dot4c_i32_i8_e32 v147, v106, v18
	v_and_b32_e32 v106, 0xf0f0f0f, v137
	v_dot4c_i32_i8_e32 v147, v106, v19
	v_add_u32_e32 v106, 0x2148, v45
	ds_read2_b32 v[108:109], v106 offset1:1
	v_lshrrev_b32_e32 v136, 4, v136
	v_and_b32_e32 v136, 0xf0f0f0f, v136
	v_add_u32_e32 v107, 0x2150, v45
	v_add_u32_e32 v106, 0x31c0, v45
	v_dot4c_i32_i8_e32 v149, v136, v10
	v_lshrrev_b32_e32 v136, 4, v137
	v_add_u32_e32 v130, 0x2158, v45
	ds_read2_b32 v[132:133], v107 offset1:1
	ds_read2_b32 v[134:135], v130 offset1:1
	;; [unrolled: 1-line block ×3, first 2 shown]
	s_waitcnt lgkmcnt(3)
	v_and_b32_e32 v106, 0xf0f0f0f, v108
	v_and_b32_e32 v136, 0xf0f0f0f, v136
	v_lshrrev_b32_e32 v108, 4, v108
	v_dot4c_i32_i8_e32 v149, v136, v11
	v_and_b32_e32 v108, 0xf0f0f0f, v108
	v_dot4c_i32_i8_e32 v149, v108, v12
	v_lshrrev_b32_e32 v108, 4, v109
	v_and_b32_e32 v108, 0xf0f0f0f, v108
	v_dot4c_i32_i8_e32 v147, v106, v20
	v_and_b32_e32 v106, 0xf0f0f0f, v109
	v_dot4c_i32_i8_e32 v149, v108, v13
	s_waitcnt lgkmcnt(2)
	v_lshrrev_b32_e32 v108, 4, v132
	v_dot4c_i32_i8_e32 v147, v106, v21
	v_and_b32_e32 v106, 0xf0f0f0f, v132
	v_and_b32_e32 v108, 0xf0f0f0f, v108
	v_dot4c_i32_i8_e32 v147, v106, v14
	v_and_b32_e32 v106, 0xf0f0f0f, v133
	v_dot4c_i32_i8_e32 v149, v108, v6
	v_lshrrev_b32_e32 v108, 4, v133
	v_dot4c_i32_i8_e32 v147, v106, v15
	ds_read2_b32 v[106:107], v55 offset0:1 offset1:3
	v_and_b32_e32 v108, 0xf0f0f0f, v108
	v_dot4c_i32_i8_e32 v149, v108, v7
	s_waitcnt lgkmcnt(2)
	v_lshrrev_b32_e32 v108, 4, v134
	v_and_b32_e32 v108, 0xf0f0f0f, v108
	v_dot4c_i32_i8_e32 v149, v108, v8
	v_lshrrev_b32_e32 v108, 4, v135
	v_and_b32_e32 v108, 0xf0f0f0f, v108
	v_dot4c_i32_i8_e32 v149, v108, v9
	s_waitcnt lgkmcnt(0)
	v_bfe_u32 v108, v106, 8, 8
	v_mov_b32_e32 v151, 0
	v_and_b32_e32 v130, 0xf0f0f0f, v134
	v_mul_lo_u32 v108, v149, v108
	v_cvt_f32_i32_e32 v149, v108
	v_and_b32_e32 v108, 0xf0f0f0f, v138
	v_dot4c_i32_i8_e32 v151, v108, v18
	v_and_b32_e32 v18, 0xf0f0f0f, v139
	v_dot4c_i32_i8_e32 v151, v18, v19
	v_add_u32_e32 v18, 0x31c8, v45
	ds_read2_b32 v[18:19], v18 offset1:1
	v_add_u32_e32 v108, 0x31d0, v45
	v_add_u32_e32 v136, 0x10e0, v45
	v_dot4c_i32_i8_e32 v147, v130, v16
	v_and_b32_e32 v130, 0xf0f0f0f, v135
	v_add_u32_e32 v109, 0x31d8, v45
	ds_read2_b32 v[132:133], v108 offset1:1
	ds_read2_b32 v[134:135], v109 offset1:1
	;; [unrolled: 1-line block ×3, first 2 shown]
	s_waitcnt lgkmcnt(3)
	v_and_b32_e32 v108, 0xf0f0f0f, v18
	v_dot4c_i32_i8_e32 v151, v108, v20
	v_and_b32_e32 v20, 0xf0f0f0f, v19
	ds_read2_b32 v[108:109], v124 offset0:1 offset1:3
	v_dot4c_i32_i8_e32 v151, v20, v21
	s_waitcnt lgkmcnt(3)
	v_and_b32_e32 v20, 0xf0f0f0f, v132
	v_dot4c_i32_i8_e32 v151, v20, v14
	v_and_b32_e32 v14, 0xf0f0f0f, v133
	v_dot4c_i32_i8_e32 v151, v14, v15
	s_waitcnt lgkmcnt(2)
	v_and_b32_e32 v14, 0xf0f0f0f, v134
	v_dot4c_i32_i8_e32 v151, v14, v16
	v_and_b32_e32 v14, 0xf0f0f0f, v135
	v_dot4c_i32_i8_e32 v151, v14, v17
	s_waitcnt lgkmcnt(0)
	v_and_b32_e32 v14, 0xff, v108
	v_mov_b32_e32 v15, 0
	v_dot4c_i32_i8_e32 v147, v130, v17
	v_mul_lo_u32 v14, v151, v14
	v_cvt_f32_i32_e32 v151, v14
	v_lshrrev_b32_e32 v14, 4, v138
	v_and_b32_e32 v14, 0xf0f0f0f, v14
	v_dot4c_i32_i8_e32 v15, v14, v10
	v_lshrrev_b32_e32 v10, 4, v139
	v_and_b32_e32 v10, 0xf0f0f0f, v10
	v_dot4c_i32_i8_e32 v15, v10, v11
	;; [unrolled: 3-line block ×8, first 2 shown]
	v_bfe_u32 v6, v108, 8, 8
	v_and_b32_e32 v132, 0xf0f0f0f, v112
	v_mov_b32_e32 v133, 0
	v_mul_lo_u32 v6, v15, v6
	v_cvt_f32_i32_e32 v138, v6
	ds_read_b128 v[18:21], v39 offset:64
	ds_read_b128 v[14:17], v39 offset:80
	;; [unrolled: 1-line block ×4, first 2 shown]
	v_lshrrev_b32_e32 v112, 4, v112
	s_waitcnt lgkmcnt(3)
	v_dot4c_i32_i8_e32 v133, v132, v18
	v_and_b32_e32 v132, 0xf0f0f0f, v113
	v_dot4c_i32_i8_e32 v133, v132, v19
	v_and_b32_e32 v132, 0xf0f0f0f, v118
	;; [unrolled: 2-line block ×4, first 2 shown]
	s_waitcnt lgkmcnt(2)
	v_dot4c_i32_i8_e32 v133, v132, v14
	v_and_b32_e32 v132, 0xf0f0f0f, v121
	v_dot4c_i32_i8_e32 v133, v132, v15
	v_and_b32_e32 v132, 0xf0f0f0f, v122
	;; [unrolled: 2-line block ×4, first 2 shown]
	v_mov_b32_e32 v132, 0
	s_waitcnt lgkmcnt(1)
	v_dot4c_i32_i8_e32 v132, v112, v10
	v_lshrrev_b32_e32 v112, 4, v113
	v_and_b32_e32 v112, 0xf0f0f0f, v112
	v_dot4c_i32_i8_e32 v132, v112, v11
	v_lshrrev_b32_e32 v112, 4, v118
	v_and_b32_e32 v112, 0xf0f0f0f, v112
	;; [unrolled: 3-line block ×4, first 2 shown]
	s_waitcnt lgkmcnt(0)
	v_dot4c_i32_i8_e32 v132, v112, v6
	v_lshrrev_b32_e32 v112, 4, v121
	v_and_b32_e32 v112, 0xf0f0f0f, v112
	v_dot4c_i32_i8_e32 v132, v112, v7
	v_lshrrev_b32_e32 v112, 4, v122
	v_cvt_f32_f16_e32 v119, v4
	v_cvt_f32_f16_sdwa v113, v4 dst_sel:DWORD dst_unused:UNUSED_PAD src0_sel:WORD_1
	v_and_b32_e32 v4, 0xff, v114
	v_bfe_u32 v120, v114, 16, 8
	v_and_b32_e32 v112, 0xf0f0f0f, v112
	v_mul_lo_u32 v4, v129, v4
	v_mul_lo_u32 v120, v133, v120
	v_dot4c_i32_i8_e32 v132, v112, v8
	v_lshrrev_b32_e32 v112, 4, v123
	v_cvt_f32_f16_e32 v118, v2
	v_cvt_f32_i32_e32 v123, v120
	v_cvt_f32_i32_e32 v122, v4
	v_and_b32_e32 v112, 0xf0f0f0f, v112
	v_lshrrev_b32_e32 v140, 24, v114
	v_dot4c_i32_i8_e32 v132, v112, v9
	v_bfe_u32 v114, v114, 8, 8
	v_pk_fma_f32 v[122:123], v[118:119], v[122:123], 0 op_sel_hi:[1,1,0]
	v_mul_lo_u32 v114, v141, v114
	v_mul_lo_u32 v118, v132, v140
	v_and_b32_e32 v148, 0xff, v106
	v_cvt_f32_f16_sdwa v112, v2 dst_sel:DWORD dst_unused:UNUSED_PAD src0_sel:WORD_1
	v_cvt_f32_f16_e32 v121, v5
	v_cvt_f32_f16_e32 v120, v3
	v_cvt_f32_i32_e32 v133, v118
	v_cvt_f32_i32_e32 v132, v114
	v_mul_lo_u32 v147, v147, v148
	v_cvt_f32_f16_sdwa v5, v5 dst_sel:DWORD dst_unused:UNUSED_PAD src0_sel:WORD_1
	v_cvt_f32_f16_sdwa v4, v3 dst_sel:DWORD dst_unused:UNUSED_PAD src0_sel:WORD_1
	v_cvt_f32_i32_e32 v147, v147
	v_cvt_f32_ubyte2_e32 v135, v115
	v_cvt_f32_ubyte0_e32 v134, v115
	v_pk_fma_f32 v[134:135], v[112:113], v[134:135], 0 op_sel_hi:[1,1,0]
	v_pk_fma_f32 v[122:123], v[120:121], v[132:133], v[122:123]
	v_cvt_f32_ubyte3_e32 v133, v115
	v_cvt_f32_ubyte1_e32 v132, v115
	v_pk_fma_f32 v[114:115], v[4:5], v[132:133], v[134:135]
	v_cvt_f32_ubyte0_e32 v144, v111
	v_cvt_f32_ubyte0_e32 v148, v107
	;; [unrolled: 1-line block ×3, first 2 shown]
	v_pk_mul_f32 v[114:115], v[114:115], v[116:117] op_sel_hi:[1,0]
	v_fma_mix_f32 v112, v2, v147, 0 op_sel_hi:[1,0,0]
	v_cvt_f32_ubyte1_e32 v139, v109
	v_pk_fma_f32 v[114:115], v[122:123], v[24:25], v[114:115] op_sel_hi:[1,0,1] neg_lo:[0,0,1] neg_hi:[0,0,1]
	v_fma_mix_f32 v4, v2, v143, 0 op_sel_hi:[1,0,0]
	v_fma_mix_f32 v24, v2, v144, 0 op_sel:[1,0,0] op_sel_hi:[1,0,0]
	v_fma_mix_f32 v116, v2, v148, 0 op_sel:[1,0,0] op_sel_hi:[1,0,0]
	v_fma_mix_f32 v129, v3, v149, v112 op_sel_hi:[1,0,0]
	v_fma_mix_f32 v112, v2, v151, 0 op_sel_hi:[1,0,0]
	v_fma_mix_f32 v2, v2, v153, 0 op_sel:[1,0,0] op_sel_hi:[1,0,0]
	v_fma_mix_f32 v140, v3, v138, v112 op_sel_hi:[1,0,0]
	v_fma_mix_f32 v141, v3, v139, v2 op_sel:[1,0,0] op_sel_hi:[1,0,0]
	v_and_b32_e32 v2, 0xf0f0f0f, v136
	v_mov_b32_e32 v112, 0
	v_dot4c_i32_i8_e32 v112, v2, v18
	v_and_b32_e32 v2, 0xf0f0f0f, v137
	v_cvt_f32_ubyte1_e32 v146, v111
	v_cvt_f32_ubyte1_e32 v150, v107
	v_dot4c_i32_i8_e32 v112, v2, v19
	v_add_u32_e32 v2, 0x10e8, v45
	v_fma_mix_f32 v4, v3, v145, v4 op_sel_hi:[1,0,0]
	v_fma_mix_f32 v24, v3, v146, v24 op_sel:[1,0,0] op_sel_hi:[1,0,0]
	v_fma_mix_f32 v116, v3, v150, v116 op_sel:[1,0,0] op_sel_hi:[1,0,0]
	ds_read2_b32 v[2:3], v2 offset1:1
	v_add_u32_e32 v118, 0x10f0, v45
	v_add_u32_e32 v134, 0x2160, v45
	;; [unrolled: 1-line block ×3, first 2 shown]
	ds_read2_b32 v[122:123], v118 offset1:1
	ds_read2_b32 v[132:133], v120 offset1:1
	;; [unrolled: 1-line block ×3, first 2 shown]
	s_waitcnt lgkmcnt(3)
	v_and_b32_e32 v118, 0xf0f0f0f, v2
	v_dot4c_i32_i8_e32 v112, v118, v20
	v_and_b32_e32 v118, 0xf0f0f0f, v3
	v_dot4c_i32_i8_e32 v112, v118, v21
	s_waitcnt lgkmcnt(2)
	v_and_b32_e32 v118, 0xf0f0f0f, v122
	v_dot4c_i32_i8_e32 v112, v118, v14
	v_and_b32_e32 v118, 0xf0f0f0f, v123
	v_dot4c_i32_i8_e32 v112, v118, v15
	s_waitcnt lgkmcnt(1)
	v_and_b32_e32 v118, 0xf0f0f0f, v132
	v_dot4c_i32_i8_e32 v112, v118, v16
	v_and_b32_e32 v118, 0xf0f0f0f, v133
	v_lshrrev_b32_e32 v142, 24, v110
	v_dot4c_i32_i8_e32 v112, v118, v17
	v_bfe_u32 v110, v110, 16, 8
	v_lshrrev_b32_e32 v2, 4, v2
	v_and_b32_e32 v2, 0xf0f0f0f, v2
	v_mul_lo_u32 v110, v112, v110
	v_cvt_f32_i32_e32 v138, v110
	v_lshrrev_b32_e32 v110, 4, v136
	v_and_b32_e32 v110, 0xf0f0f0f, v110
	v_mov_b32_e32 v112, 0
	v_dot4c_i32_i8_e32 v112, v110, v10
	v_lshrrev_b32_e32 v110, 4, v137
	v_and_b32_e32 v110, 0xf0f0f0f, v110
	v_dot4c_i32_i8_e32 v112, v110, v11
	v_dot4c_i32_i8_e32 v112, v2, v12
	v_lshrrev_b32_e32 v2, 4, v3
	v_and_b32_e32 v2, 0xf0f0f0f, v2
	v_dot4c_i32_i8_e32 v112, v2, v13
	v_lshrrev_b32_e32 v2, 4, v122
	v_and_b32_e32 v2, 0xf0f0f0f, v2
	;; [unrolled: 3-line block ×5, first 2 shown]
	v_dot4c_i32_i8_e32 v112, v2, v9
	v_cvt_f32_f16_sdwa v3, v131 dst_sel:DWORD dst_unused:UNUSED_PAD src0_sel:WORD_1
	v_cvt_f32_ubyte2_e32 v139, v111
	v_cvt_f32_ubyte3_e32 v111, v111
	v_mul_lo_u32 v2, v112, v142
	v_cvt_f32_i32_e32 v110, v2
	v_cvt_f32_f16_e32 v2, v131
	v_mul_f32_e32 v24, v24, v3
	v_mov_b32_e32 v112, v119
	v_fma_mix_f32 v123, v4, v131, -v24 op_sel_hi:[0,1,0]
	v_pk_fma_f32 v[118:119], v[112:113], v[138:139], 0 op_sel_hi:[1,1,0]
	v_mov_b32_e32 v4, v121
	v_pk_fma_f32 v[110:111], v[4:5], v[110:111], v[118:119]
	v_mov_b32_e32 v122, v114
	v_pk_mul_f32 v[118:119], v[110:111], v[2:3]
	v_pk_add_f32 v[104:105], v[104:105], v[122:123]
	v_mov_b32_e32 v119, v118
	v_pk_fma_f32 v[2:3], v[110:111], v[2:3], v[118:119] neg_lo:[1,0,0] neg_hi:[1,0,0]
	v_mov_b32_e32 v24, 0
	v_mov_b32_e32 v2, v115
	v_pk_add_f32 v[104:105], v[104:105], v[2:3]
	s_waitcnt lgkmcnt(0)
	v_and_b32_e32 v2, 0xf0f0f0f, v134
	v_dot4c_i32_i8_e32 v24, v2, v18
	v_and_b32_e32 v2, 0xf0f0f0f, v135
	v_dot4c_i32_i8_e32 v24, v2, v19
	v_add_u32_e32 v2, 0x2168, v45
	ds_read2_b32 v[2:3], v2 offset1:1
	v_add_u32_e32 v110, 0x2170, v45
	v_add_u32_e32 v114, 0x2178, v45
	;; [unrolled: 1-line block ×3, first 2 shown]
	ds_read2_b32 v[110:111], v110 offset1:1
	ds_read2_b32 v[114:115], v114 offset1:1
	ds_read2_b32 v[118:119], v118 offset1:1
	s_waitcnt lgkmcnt(3)
	v_and_b32_e32 v120, 0xf0f0f0f, v2
	v_dot4c_i32_i8_e32 v24, v120, v20
	v_and_b32_e32 v120, 0xf0f0f0f, v3
	v_dot4c_i32_i8_e32 v24, v120, v21
	s_waitcnt lgkmcnt(2)
	v_and_b32_e32 v120, 0xf0f0f0f, v110
	v_dot4c_i32_i8_e32 v24, v120, v14
	v_and_b32_e32 v120, 0xf0f0f0f, v111
	v_dot4c_i32_i8_e32 v24, v120, v15
	s_waitcnt lgkmcnt(1)
	v_and_b32_e32 v120, 0xf0f0f0f, v114
	v_dot4c_i32_i8_e32 v24, v120, v16
	v_and_b32_e32 v120, 0xf0f0f0f, v115
	v_lshrrev_b32_e32 v130, 24, v106
	v_dot4c_i32_i8_e32 v24, v120, v17
	v_bfe_u32 v106, v106, 16, 8
	v_lshrrev_b32_e32 v2, 4, v2
	v_and_b32_e32 v2, 0xf0f0f0f, v2
	v_mul_lo_u32 v24, v24, v106
	v_cvt_f32_i32_e32 v120, v24
	v_lshrrev_b32_e32 v24, 4, v134
	v_and_b32_e32 v24, 0xf0f0f0f, v24
	v_mov_b32_e32 v106, 0
	v_dot4c_i32_i8_e32 v106, v24, v10
	v_lshrrev_b32_e32 v24, 4, v135
	v_and_b32_e32 v24, 0xf0f0f0f, v24
	v_dot4c_i32_i8_e32 v106, v24, v11
	v_dot4c_i32_i8_e32 v106, v2, v12
	v_lshrrev_b32_e32 v2, 4, v3
	v_and_b32_e32 v2, 0xf0f0f0f, v2
	v_dot4c_i32_i8_e32 v106, v2, v13
	v_lshrrev_b32_e32 v2, 4, v110
	v_and_b32_e32 v2, 0xf0f0f0f, v2
	;; [unrolled: 3-line block ×5, first 2 shown]
	v_cvt_f32_f16_sdwa v3, v117 dst_sel:DWORD dst_unused:UNUSED_PAD src0_sel:WORD_1
	v_dot4c_i32_i8_e32 v106, v2, v9
	v_cvt_f32_ubyte2_e32 v121, v107
	v_cvt_f32_ubyte3_e32 v107, v107
	v_mul_f32_e32 v24, v116, v3
	v_mul_lo_u32 v2, v106, v130
	v_cvt_f32_i32_e32 v106, v2
	v_cvt_f32_f16_e32 v2, v117
	v_fma_mix_f32 v24, v129, v117, -v24 op_sel_hi:[0,1,0]
	v_add_f32_e32 v110, v25, v24
	v_pk_fma_f32 v[24:25], v[112:113], v[120:121], 0 op_sel_hi:[1,1,0]
	v_lshrrev_b32_e32 v152, 24, v108
	v_pk_fma_f32 v[24:25], v[4:5], v[106:107], v[24:25]
	v_add_u32_e32 v106, 0x31f8, v45
	v_pk_mul_f32 v[2:3], v[24:25], v[2:3]
	v_mov_b32_e32 v24, 0
	v_sub_f32_e32 v2, v2, v3
	v_add_f32_e32 v25, v110, v2
	s_waitcnt lgkmcnt(0)
	v_and_b32_e32 v2, 0xf0f0f0f, v118
	v_dot4c_i32_i8_e32 v24, v2, v18
	v_and_b32_e32 v2, 0xf0f0f0f, v119
	v_dot4c_i32_i8_e32 v24, v2, v19
	v_add_u32_e32 v2, 0x31e8, v45
	ds_read2_b32 v[2:3], v2 offset1:1
	v_add_u32_e32 v18, 0x31f0, v45
	ds_read2_b32 v[18:19], v18 offset1:1
	ds_read2_b32 v[106:107], v106 offset1:1
	s_waitcnt lgkmcnt(0)
	s_barrier
	v_and_b32_e32 v110, 0xf0f0f0f, v2
	v_dot4c_i32_i8_e32 v24, v110, v20
	v_and_b32_e32 v20, 0xf0f0f0f, v3
	v_dot4c_i32_i8_e32 v24, v20, v21
	;; [unrolled: 2-line block ×5, first 2 shown]
	v_and_b32_e32 v14, 0xf0f0f0f, v107
	v_lshrrev_b32_e32 v16, 4, v118
	v_dot4c_i32_i8_e32 v24, v14, v17
	v_and_b32_e32 v16, 0xf0f0f0f, v16
	v_mov_b32_e32 v17, 0
	v_dot4c_i32_i8_e32 v17, v16, v10
	v_lshrrev_b32_e32 v10, 4, v119
	v_and_b32_e32 v10, 0xf0f0f0f, v10
	v_lshrrev_b32_e32 v2, 4, v2
	v_dot4c_i32_i8_e32 v17, v10, v11
	v_and_b32_e32 v2, 0xf0f0f0f, v2
	v_dot4c_i32_i8_e32 v17, v2, v12
	v_lshrrev_b32_e32 v2, 4, v3
	v_and_b32_e32 v2, 0xf0f0f0f, v2
	v_dot4c_i32_i8_e32 v17, v2, v13
	v_lshrrev_b32_e32 v2, 4, v18
	;; [unrolled: 3-line block ×5, first 2 shown]
	v_bfe_u32 v14, v108, 16, 8
	v_and_b32_e32 v2, 0xf0f0f0f, v2
	v_cvt_f32_f16_sdwa v3, v23 dst_sel:DWORD dst_unused:UNUSED_PAD src0_sel:WORD_1
	v_mul_lo_u32 v14, v24, v14
	v_dot4c_i32_i8_e32 v17, v2, v9
	v_cvt_f32_i32_e32 v14, v14
	v_mul_f32_e32 v8, v141, v3
	v_cvt_f32_ubyte2_e32 v15, v109
	v_mul_lo_u32 v2, v17, v152
	v_cvt_f32_i32_e32 v6, v2
	v_cvt_f32_f16_e32 v2, v23
	v_fma_mix_f32 v8, v140, v23, -v8 op_sel_hi:[0,1,0]
	v_cvt_f32_ubyte3_e32 v7, v109
	v_add_f32_e32 v10, v128, v8
	v_pk_fma_f32 v[8:9], v[112:113], v[14:15], 0 op_sel_hi:[1,1,0]
	s_nop 0
	v_pk_fma_f32 v[4:5], v[4:5], v[6:7], v[8:9]
	s_nop 0
	v_pk_mul_f32 v[2:3], v[4:5], v[2:3]
	s_nop 0
	v_sub_f32_e32 v2, v2, v3
	v_add_f32_e32 v128, v10, v2
.LBB212_5:                              ;   in Loop: Header=BB212_6 Depth=1
	s_add_i32 s26, s26, -1
	s_addk_i32 s4, 0x100
	v_add_u32_e32 v22, 8, v22
	v_add_u32_e32 v49, 8, v49
	v_add_u32_e32 v37, 8, v37
	v_lshl_add_u64 v[62:63], v[62:63], 0, s[20:21]
	v_lshl_add_u64 v[64:65], v[64:65], 0, s[20:21]
	;; [unrolled: 1-line block ×20, first 2 shown]
	s_cmp_eq_u32 s26, 0
	v_lshl_add_u64 v[102:103], v[102:103], 0, s[20:21]
	s_cbranch_scc1 .LBB212_20
.LBB212_6:                              ; =>This Inner Loop Header: Depth=1
	v_lshl_add_u64 v[2:3], v[62:63], 0, s[18:19]
	global_load_dword v4, v[2:3], off
	v_lshl_add_u64 v[2:3], v[64:65], 0, s[18:19]
	global_load_dword v5, v[2:3], off
	v_lshl_add_u64 v[2:3], v[66:67], 0, s[18:19]
	global_load_dword v6, v[2:3], off
	v_lshl_add_u64 v[2:3], v[68:69], 0, s[18:19]
	global_load_dword v7, v[2:3], off
	v_lshl_add_u64 v[2:3], v[70:71], 0, s[18:19]
	global_load_dword v8, v[2:3], off
	v_lshl_add_u64 v[2:3], v[72:73], 0, s[18:19]
	global_load_dword v9, v[2:3], off
	v_lshl_add_u64 v[2:3], v[74:75], 0, s[18:19]
	global_load_dword v10, v[2:3], off
	v_lshl_add_u64 v[2:3], v[76:77], 0, s[18:19]
	global_load_dword v11, v[2:3], off
	v_lshl_add_u64 v[2:3], v[78:79], 0, s[18:19]
	global_load_dword v12, v[2:3], off
	v_lshl_add_u64 v[2:3], v[80:81], 0, s[18:19]
	global_load_dword v13, v[2:3], off
	v_lshl_add_u64 v[2:3], v[82:83], 0, s[18:19]
	global_load_dword v14, v[2:3], off
	v_lshl_add_u64 v[2:3], v[84:85], 0, s[18:19]
	global_load_dword v15, v[2:3], off
	v_lshl_add_u64 v[2:3], v[86:87], 0, s[18:19]
	global_load_dword v16, v[2:3], off
	v_lshl_add_u64 v[2:3], v[88:89], 0, s[18:19]
	global_load_dword v17, v[2:3], off
	v_lshl_add_u64 v[2:3], v[90:91], 0, s[18:19]
	global_load_dword v18, v[2:3], off
	v_lshl_add_u64 v[2:3], v[92:93], 0, s[18:19]
	global_load_dword v19, v[2:3], off
	v_lshl_add_u64 v[2:3], v[94:95], 0, s[18:19]
	global_load_dword v20, v[2:3], off
	v_lshl_add_u64 v[2:3], v[96:97], 0, s[18:19]
	global_load_dword v21, v[2:3], off
	v_lshl_add_u64 v[2:3], v[98:99], 0, s[18:19]
	global_load_dword v23, v[2:3], off
	v_lshl_add_u64 v[2:3], v[100:101], 0, s[18:19]
	global_load_dword v24, v[2:3], off
	v_lshl_add_u64 v[2:3], v[102:103], 0, s[18:19]
	global_load_dword v2, v[2:3], off
	s_add_i32 s2, s4, 0xffffff80
	s_cmp_lt_i32 s2, s5
	s_waitcnt vmcnt(20)
	ds_write_b32 v26, v4
	s_waitcnt vmcnt(19)
	ds_write_b32 v28, v5
	s_waitcnt vmcnt(18)
	ds_write_b32 v30, v6
	s_waitcnt vmcnt(17)
	ds_write_b32 v32, v7
	s_waitcnt vmcnt(16)
	ds_write_b32 v34, v8
	s_waitcnt vmcnt(15)
	ds_write_b32 v36, v9
	s_waitcnt vmcnt(14)
	ds_write_b32 v38, v10
	s_waitcnt vmcnt(13)
	ds_write_b32 v40, v11
	s_waitcnt vmcnt(12)
	ds_write_b32 v42, v12
	s_waitcnt vmcnt(11)
	ds_write_b32 v44, v13
	s_waitcnt vmcnt(10)
	ds_write_b32 v46, v14
	s_waitcnt vmcnt(9)
	ds_write_b32 v48, v15
	s_waitcnt vmcnt(8)
	ds_write_b32 v50, v16
	s_waitcnt vmcnt(7)
	ds_write_b32 v52, v17
	s_waitcnt vmcnt(6)
	ds_write_b32 v54, v18
	s_waitcnt vmcnt(5)
	ds_write_b32 v56, v19
	s_waitcnt vmcnt(4)
	ds_write_b32 v27, v20
	s_waitcnt vmcnt(3)
	v_ashrrev_i32_e32 v3, v29, v21
	v_and_b32_e32 v3, 0xf0f0f0f, v3
	s_waitcnt vmcnt(2)
	v_ashrrev_i32_e32 v4, v31, v23
	v_and_or_b32 v3, v4, s6, v3
	s_waitcnt vmcnt(1)
	v_ashrrev_i32_e32 v5, v29, v24
	v_and_b32_e32 v5, 0xf0f0f0f, v5
	s_waitcnt vmcnt(0)
	v_ashrrev_i32_e32 v2, v31, v2
	v_and_or_b32 v2, v2, s6, v5
	ds_write_b32 v126, v3
	ds_write_b32 v127, v2
	s_cbranch_scc0 .LBB212_5
; %bb.7:                                ;   in Loop: Header=BB212_6 Depth=1
	v_cmp_gt_i32_e64 s[2:3], s8, v37
	s_and_b64 s[12:13], s[0:1], s[2:3]
	s_and_saveexec_b64 s[2:3], s[12:13]
	s_cbranch_execz .LBB212_9
; %bb.8:                                ;   in Loop: Header=BB212_6 Depth=1
	v_add_u32_e32 v2, v60, v37
	v_mad_i64_i32 v[2:3], s[12:13], v2, 36, v[58:59]
	global_load_dword v2, v[2:3], off offset:4
	s_waitcnt vmcnt(0)
	ds_write_b32 v33, v2
.LBB212_9:                              ;   in Loop: Header=BB212_6 Depth=1
	s_or_b64 exec, exec, s[2:3]
	s_and_saveexec_b64 s[12:13], vcc
	s_cbranch_execz .LBB212_12
; %bb.10:                               ;   in Loop: Header=BB212_6 Depth=1
	v_cmp_gt_i32_e64 s[2:3], s8, v22
	s_and_b64 s[2:3], s[0:1], s[2:3]
	s_and_b64 exec, exec, s[2:3]
	s_cbranch_execz .LBB212_12
; %bb.11:                               ;   in Loop: Header=BB212_6 Depth=1
	v_add_u32_e32 v2, v60, v22
	v_mad_i64_i32 v[2:3], s[2:3], v2, 36, s[14:15]
	global_load_dword v2, v[2:3], off
	s_waitcnt vmcnt(0)
	ds_write_b32 v35, v2
.LBB212_12:                             ;   in Loop: Header=BB212_6 Depth=1
	s_or_b64 exec, exec, s[12:13]
	s_waitcnt lgkmcnt(0)
	s_barrier
	ds_read_b128 v[2:5], v41 offset:20560
	ds_read2_b32 v[106:107], v45 offset1:1
	ds_read_b128 v[18:21], v39
	ds_read_b128 v[14:17], v39 offset:16
	ds_read_b128 v[10:13], v39 offset:32
	;; [unrolled: 1-line block ×3, first 2 shown]
	ds_read_b32 v23, v47
	ds_read2_b32 v[108:109], v45 offset0:2 offset1:3
	s_waitcnt lgkmcnt(6)
	v_and_b32_e32 v24, 0xf0f0f0f, v106
	v_mov_b32_e32 v129, 0
	s_waitcnt lgkmcnt(5)
	v_dot4c_i32_i8_e32 v129, v24, v18
	v_and_b32_e32 v24, 0xf0f0f0f, v107
	ds_read2_b32 v[110:111], v45 offset0:4 offset1:5
	ds_read2_b32 v[116:117], v45 offset0:6 offset1:7
	;; [unrolled: 1-line block ×3, first 2 shown]
	v_dot4c_i32_i8_e32 v129, v24, v19
	s_waitcnt lgkmcnt(3)
	v_and_b32_e32 v24, 0xf0f0f0f, v108
	v_dot4c_i32_i8_e32 v129, v24, v20
	v_and_b32_e32 v24, 0xf0f0f0f, v109
	v_dot4c_i32_i8_e32 v129, v24, v21
	s_waitcnt lgkmcnt(2)
	v_and_b32_e32 v24, 0xf0f0f0f, v110
	v_dot4c_i32_i8_e32 v129, v24, v14
	v_and_b32_e32 v24, 0xf0f0f0f, v111
	;; [unrolled: 5-line block ×3, first 2 shown]
	v_dot4c_i32_i8_e32 v129, v24, v17
	v_lshrrev_b32_e32 v24, 4, v106
	v_and_b32_e32 v24, 0xf0f0f0f, v24
	v_mov_b32_e32 v141, 0
	v_dot4c_i32_i8_e32 v141, v24, v10
	v_lshrrev_b32_e32 v24, 4, v107
	v_and_b32_e32 v24, 0xf0f0f0f, v24
	v_dot4c_i32_i8_e32 v141, v24, v11
	v_lshrrev_b32_e32 v24, 4, v108
	v_and_b32_e32 v24, 0xf0f0f0f, v24
	;; [unrolled: 3-line block ×3, first 2 shown]
	v_add_u32_e32 v106, 0x1080, v45
	ds_read2_b32 v[114:115], v43 offset1:2
	v_dot4c_i32_i8_e32 v141, v24, v13
	v_lshrrev_b32_e32 v24, 4, v110
	ds_read2_b32 v[118:119], v45 offset0:10 offset1:11
	ds_read2_b32 v[120:121], v45 offset0:12 offset1:13
	;; [unrolled: 1-line block ×3, first 2 shown]
	ds_read2_b32 v[106:107], v106 offset1:1
	v_and_b32_e32 v24, 0xf0f0f0f, v24
	v_dot4c_i32_i8_e32 v141, v24, v6
	v_lshrrev_b32_e32 v24, 4, v111
	v_and_b32_e32 v24, 0xf0f0f0f, v24
	v_dot4c_i32_i8_e32 v141, v24, v7
	v_lshrrev_b32_e32 v24, 4, v116
	v_and_b32_e32 v24, 0xf0f0f0f, v24
	s_waitcnt lgkmcnt(0)
	v_and_b32_e32 v108, 0xf0f0f0f, v106
	v_mov_b32_e32 v130, 0
	v_dot4c_i32_i8_e32 v141, v24, v8
	v_lshrrev_b32_e32 v24, 4, v117
	v_dot4c_i32_i8_e32 v130, v108, v18
	v_and_b32_e32 v108, 0xf0f0f0f, v107
	v_and_b32_e32 v24, 0xf0f0f0f, v24
	v_dot4c_i32_i8_e32 v130, v108, v19
	v_add_u32_e32 v108, 0x1088, v45
	v_dot4c_i32_i8_e32 v141, v24, v9
	v_cvt_f32_f16_e32 v24, v23
	v_cvt_f32_f16_sdwa v116, v23 dst_sel:DWORD dst_unused:UNUSED_PAD src0_sel:WORD_1
	ds_read_b32 v131, v53 offset:128
	ds_read_b32 v117, v57 offset:256
	;; [unrolled: 1-line block ×3, first 2 shown]
	ds_read2_b32 v[108:109], v108 offset1:1
	v_add_u32_e32 v110, 0x1090, v45
	v_add_u32_e32 v136, 0x2100, v45
	;; [unrolled: 1-line block ×3, first 2 shown]
	ds_read2_b32 v[132:133], v110 offset1:1
	ds_read2_b32 v[134:135], v111 offset1:1
	ds_read2_b32 v[136:137], v136 offset1:1
	s_waitcnt lgkmcnt(3)
	v_and_b32_e32 v110, 0xf0f0f0f, v108
	v_dot4c_i32_i8_e32 v130, v110, v20
	v_and_b32_e32 v110, 0xf0f0f0f, v109
	v_dot4c_i32_i8_e32 v130, v110, v21
	s_waitcnt lgkmcnt(2)
	v_and_b32_e32 v110, 0xf0f0f0f, v132
	v_dot4c_i32_i8_e32 v130, v110, v14
	v_and_b32_e32 v110, 0xf0f0f0f, v133
	v_dot4c_i32_i8_e32 v130, v110, v15
	ds_read2_b32 v[110:111], v51 offset1:2
	s_waitcnt lgkmcnt(2)
	v_and_b32_e32 v138, 0xf0f0f0f, v134
	v_dot4c_i32_i8_e32 v130, v138, v16
	v_and_b32_e32 v138, 0xf0f0f0f, v135
	v_dot4c_i32_i8_e32 v130, v138, v17
	s_waitcnt lgkmcnt(0)
	v_and_b32_e32 v138, 0xff, v110
	v_lshrrev_b32_e32 v106, 4, v106
	v_and_b32_e32 v106, 0xf0f0f0f, v106
	v_mul_lo_u32 v130, v130, v138
	v_cvt_f32_i32_e32 v143, v130
	v_mov_b32_e32 v130, 0
	v_dot4c_i32_i8_e32 v130, v106, v10
	v_lshrrev_b32_e32 v106, 4, v107
	v_and_b32_e32 v106, 0xf0f0f0f, v106
	v_dot4c_i32_i8_e32 v130, v106, v11
	v_lshrrev_b32_e32 v106, 4, v108
	v_and_b32_e32 v106, 0xf0f0f0f, v106
	;; [unrolled: 3-line block ×7, first 2 shown]
	v_dot4c_i32_i8_e32 v130, v106, v9
	v_bfe_u32 v106, v110, 8, 8
	v_mov_b32_e32 v147, 0
	v_mov_b32_e32 v149, 0
	v_mul_lo_u32 v106, v130, v106
	v_cvt_f32_i32_e32 v145, v106
	v_and_b32_e32 v106, 0xf0f0f0f, v136
	v_dot4c_i32_i8_e32 v147, v106, v18
	v_and_b32_e32 v106, 0xf0f0f0f, v137
	v_dot4c_i32_i8_e32 v147, v106, v19
	v_add_u32_e32 v106, 0x2108, v45
	ds_read2_b32 v[108:109], v106 offset1:1
	v_lshrrev_b32_e32 v136, 4, v136
	v_and_b32_e32 v136, 0xf0f0f0f, v136
	v_add_u32_e32 v107, 0x2110, v45
	v_add_u32_e32 v106, 0x3180, v45
	v_dot4c_i32_i8_e32 v149, v136, v10
	v_lshrrev_b32_e32 v136, 4, v137
	v_add_u32_e32 v130, 0x2118, v45
	ds_read2_b32 v[132:133], v107 offset1:1
	ds_read2_b32 v[134:135], v130 offset1:1
	ds_read2_b32 v[138:139], v106 offset1:1
	s_waitcnt lgkmcnt(3)
	v_and_b32_e32 v106, 0xf0f0f0f, v108
	v_and_b32_e32 v136, 0xf0f0f0f, v136
	v_lshrrev_b32_e32 v108, 4, v108
	v_dot4c_i32_i8_e32 v149, v136, v11
	v_and_b32_e32 v108, 0xf0f0f0f, v108
	v_dot4c_i32_i8_e32 v149, v108, v12
	v_lshrrev_b32_e32 v108, 4, v109
	v_and_b32_e32 v108, 0xf0f0f0f, v108
	v_dot4c_i32_i8_e32 v147, v106, v20
	v_and_b32_e32 v106, 0xf0f0f0f, v109
	v_dot4c_i32_i8_e32 v149, v108, v13
	s_waitcnt lgkmcnt(2)
	v_lshrrev_b32_e32 v108, 4, v132
	v_dot4c_i32_i8_e32 v147, v106, v21
	v_and_b32_e32 v106, 0xf0f0f0f, v132
	v_and_b32_e32 v108, 0xf0f0f0f, v108
	v_dot4c_i32_i8_e32 v147, v106, v14
	v_and_b32_e32 v106, 0xf0f0f0f, v133
	v_dot4c_i32_i8_e32 v149, v108, v6
	v_lshrrev_b32_e32 v108, 4, v133
	v_dot4c_i32_i8_e32 v147, v106, v15
	ds_read2_b32 v[106:107], v55 offset1:2
	v_and_b32_e32 v108, 0xf0f0f0f, v108
	v_dot4c_i32_i8_e32 v149, v108, v7
	s_waitcnt lgkmcnt(2)
	v_lshrrev_b32_e32 v108, 4, v134
	v_and_b32_e32 v108, 0xf0f0f0f, v108
	v_dot4c_i32_i8_e32 v149, v108, v8
	v_lshrrev_b32_e32 v108, 4, v135
	v_and_b32_e32 v108, 0xf0f0f0f, v108
	v_dot4c_i32_i8_e32 v149, v108, v9
	s_waitcnt lgkmcnt(0)
	v_bfe_u32 v108, v106, 8, 8
	v_mov_b32_e32 v151, 0
	v_and_b32_e32 v130, 0xf0f0f0f, v134
	v_mul_lo_u32 v108, v149, v108
	v_cvt_f32_i32_e32 v149, v108
	v_and_b32_e32 v108, 0xf0f0f0f, v138
	v_dot4c_i32_i8_e32 v151, v108, v18
	v_and_b32_e32 v18, 0xf0f0f0f, v139
	v_dot4c_i32_i8_e32 v151, v18, v19
	v_add_u32_e32 v18, 0x3188, v45
	ds_read2_b32 v[18:19], v18 offset1:1
	v_add_u32_e32 v108, 0x3190, v45
	v_add_u32_e32 v136, 0x10a0, v45
	v_dot4c_i32_i8_e32 v147, v130, v16
	v_and_b32_e32 v130, 0xf0f0f0f, v135
	v_add_u32_e32 v109, 0x3198, v45
	ds_read2_b32 v[132:133], v108 offset1:1
	ds_read2_b32 v[134:135], v109 offset1:1
	;; [unrolled: 1-line block ×3, first 2 shown]
	s_waitcnt lgkmcnt(3)
	v_and_b32_e32 v108, 0xf0f0f0f, v18
	v_dot4c_i32_i8_e32 v151, v108, v20
	v_and_b32_e32 v20, 0xf0f0f0f, v19
	ds_read2_b32 v[108:109], v124 offset1:2
	v_dot4c_i32_i8_e32 v151, v20, v21
	s_waitcnt lgkmcnt(3)
	v_and_b32_e32 v20, 0xf0f0f0f, v132
	v_dot4c_i32_i8_e32 v151, v20, v14
	v_and_b32_e32 v14, 0xf0f0f0f, v133
	v_dot4c_i32_i8_e32 v151, v14, v15
	s_waitcnt lgkmcnt(2)
	v_and_b32_e32 v14, 0xf0f0f0f, v134
	v_dot4c_i32_i8_e32 v151, v14, v16
	v_and_b32_e32 v14, 0xf0f0f0f, v135
	v_dot4c_i32_i8_e32 v151, v14, v17
	s_waitcnt lgkmcnt(0)
	v_and_b32_e32 v14, 0xff, v108
	v_mov_b32_e32 v15, 0
	v_dot4c_i32_i8_e32 v147, v130, v17
	v_mul_lo_u32 v14, v151, v14
	v_cvt_f32_i32_e32 v151, v14
	v_lshrrev_b32_e32 v14, 4, v138
	v_and_b32_e32 v14, 0xf0f0f0f, v14
	v_dot4c_i32_i8_e32 v15, v14, v10
	v_lshrrev_b32_e32 v10, 4, v139
	v_and_b32_e32 v10, 0xf0f0f0f, v10
	v_dot4c_i32_i8_e32 v15, v10, v11
	v_lshrrev_b32_e32 v10, 4, v18
	v_and_b32_e32 v10, 0xf0f0f0f, v10
	v_dot4c_i32_i8_e32 v15, v10, v12
	v_lshrrev_b32_e32 v10, 4, v19
	v_and_b32_e32 v10, 0xf0f0f0f, v10
	v_dot4c_i32_i8_e32 v15, v10, v13
	v_lshrrev_b32_e32 v10, 4, v132
	v_and_b32_e32 v10, 0xf0f0f0f, v10
	v_dot4c_i32_i8_e32 v15, v10, v6
	v_lshrrev_b32_e32 v6, 4, v133
	v_and_b32_e32 v6, 0xf0f0f0f, v6
	v_dot4c_i32_i8_e32 v15, v6, v7
	v_lshrrev_b32_e32 v6, 4, v134
	v_and_b32_e32 v6, 0xf0f0f0f, v6
	v_dot4c_i32_i8_e32 v15, v6, v8
	v_lshrrev_b32_e32 v6, 4, v135
	v_and_b32_e32 v6, 0xf0f0f0f, v6
	v_dot4c_i32_i8_e32 v15, v6, v9
	v_bfe_u32 v6, v108, 8, 8
	v_and_b32_e32 v132, 0xf0f0f0f, v112
	v_mov_b32_e32 v133, 0
	v_mul_lo_u32 v6, v15, v6
	v_cvt_f32_i32_e32 v138, v6
	ds_read_b128 v[18:21], v39 offset:64
	ds_read_b128 v[14:17], v39 offset:80
	;; [unrolled: 1-line block ×4, first 2 shown]
	v_lshrrev_b32_e32 v112, 4, v112
	s_waitcnt lgkmcnt(3)
	v_dot4c_i32_i8_e32 v133, v132, v18
	v_and_b32_e32 v132, 0xf0f0f0f, v113
	v_dot4c_i32_i8_e32 v133, v132, v19
	v_and_b32_e32 v132, 0xf0f0f0f, v118
	;; [unrolled: 2-line block ×4, first 2 shown]
	s_waitcnt lgkmcnt(2)
	v_dot4c_i32_i8_e32 v133, v132, v14
	v_and_b32_e32 v132, 0xf0f0f0f, v121
	v_dot4c_i32_i8_e32 v133, v132, v15
	v_and_b32_e32 v132, 0xf0f0f0f, v122
	;; [unrolled: 2-line block ×4, first 2 shown]
	v_mov_b32_e32 v132, 0
	s_waitcnt lgkmcnt(1)
	v_dot4c_i32_i8_e32 v132, v112, v10
	v_lshrrev_b32_e32 v112, 4, v113
	v_and_b32_e32 v112, 0xf0f0f0f, v112
	v_dot4c_i32_i8_e32 v132, v112, v11
	v_lshrrev_b32_e32 v112, 4, v118
	v_and_b32_e32 v112, 0xf0f0f0f, v112
	;; [unrolled: 3-line block ×4, first 2 shown]
	s_waitcnt lgkmcnt(0)
	v_dot4c_i32_i8_e32 v132, v112, v6
	v_lshrrev_b32_e32 v112, 4, v121
	v_and_b32_e32 v112, 0xf0f0f0f, v112
	v_dot4c_i32_i8_e32 v132, v112, v7
	v_lshrrev_b32_e32 v112, 4, v122
	v_cvt_f32_f16_e32 v119, v4
	v_cvt_f32_f16_sdwa v113, v4 dst_sel:DWORD dst_unused:UNUSED_PAD src0_sel:WORD_1
	v_and_b32_e32 v4, 0xff, v114
	v_bfe_u32 v120, v114, 16, 8
	v_and_b32_e32 v112, 0xf0f0f0f, v112
	v_mul_lo_u32 v4, v129, v4
	v_mul_lo_u32 v120, v133, v120
	v_dot4c_i32_i8_e32 v132, v112, v8
	v_lshrrev_b32_e32 v112, 4, v123
	v_cvt_f32_f16_e32 v118, v2
	v_cvt_f32_i32_e32 v123, v120
	v_cvt_f32_i32_e32 v122, v4
	v_and_b32_e32 v112, 0xf0f0f0f, v112
	v_lshrrev_b32_e32 v140, 24, v114
	v_dot4c_i32_i8_e32 v132, v112, v9
	v_bfe_u32 v114, v114, 8, 8
	v_pk_fma_f32 v[122:123], v[118:119], v[122:123], 0 op_sel_hi:[1,1,0]
	v_mul_lo_u32 v114, v141, v114
	v_mul_lo_u32 v118, v132, v140
	v_and_b32_e32 v148, 0xff, v106
	v_cvt_f32_f16_sdwa v112, v2 dst_sel:DWORD dst_unused:UNUSED_PAD src0_sel:WORD_1
	v_cvt_f32_f16_e32 v121, v5
	v_cvt_f32_f16_e32 v120, v3
	v_cvt_f32_i32_e32 v133, v118
	v_cvt_f32_i32_e32 v132, v114
	v_mul_lo_u32 v147, v147, v148
	v_cvt_f32_f16_sdwa v5, v5 dst_sel:DWORD dst_unused:UNUSED_PAD src0_sel:WORD_1
	v_cvt_f32_f16_sdwa v4, v3 dst_sel:DWORD dst_unused:UNUSED_PAD src0_sel:WORD_1
	v_cvt_f32_i32_e32 v147, v147
	v_cvt_f32_ubyte2_e32 v135, v115
	v_cvt_f32_ubyte0_e32 v134, v115
	v_pk_fma_f32 v[134:135], v[112:113], v[134:135], 0 op_sel_hi:[1,1,0]
	v_pk_fma_f32 v[122:123], v[120:121], v[132:133], v[122:123]
	v_cvt_f32_ubyte3_e32 v133, v115
	v_cvt_f32_ubyte1_e32 v132, v115
	v_pk_fma_f32 v[114:115], v[4:5], v[132:133], v[134:135]
	v_cvt_f32_ubyte0_e32 v144, v111
	v_cvt_f32_ubyte0_e32 v148, v107
	v_cvt_f32_ubyte0_e32 v153, v109
	v_pk_mul_f32 v[114:115], v[114:115], v[116:117] op_sel_hi:[1,0]
	v_fma_mix_f32 v112, v2, v147, 0 op_sel_hi:[1,0,0]
	v_cvt_f32_ubyte1_e32 v139, v109
	v_pk_fma_f32 v[114:115], v[122:123], v[24:25], v[114:115] op_sel_hi:[1,0,1] neg_lo:[0,0,1] neg_hi:[0,0,1]
	v_fma_mix_f32 v4, v2, v143, 0 op_sel_hi:[1,0,0]
	v_fma_mix_f32 v24, v2, v144, 0 op_sel:[1,0,0] op_sel_hi:[1,0,0]
	v_fma_mix_f32 v116, v2, v148, 0 op_sel:[1,0,0] op_sel_hi:[1,0,0]
	v_fma_mix_f32 v129, v3, v149, v112 op_sel_hi:[1,0,0]
	v_fma_mix_f32 v112, v2, v151, 0 op_sel_hi:[1,0,0]
	v_fma_mix_f32 v2, v2, v153, 0 op_sel:[1,0,0] op_sel_hi:[1,0,0]
	v_fma_mix_f32 v140, v3, v138, v112 op_sel_hi:[1,0,0]
	v_fma_mix_f32 v141, v3, v139, v2 op_sel:[1,0,0] op_sel_hi:[1,0,0]
	v_and_b32_e32 v2, 0xf0f0f0f, v136
	v_mov_b32_e32 v112, 0
	v_dot4c_i32_i8_e32 v112, v2, v18
	v_and_b32_e32 v2, 0xf0f0f0f, v137
	v_cvt_f32_ubyte1_e32 v146, v111
	v_cvt_f32_ubyte1_e32 v150, v107
	v_dot4c_i32_i8_e32 v112, v2, v19
	v_add_u32_e32 v2, 0x10a8, v45
	v_fma_mix_f32 v4, v3, v145, v4 op_sel_hi:[1,0,0]
	v_fma_mix_f32 v24, v3, v146, v24 op_sel:[1,0,0] op_sel_hi:[1,0,0]
	v_fma_mix_f32 v116, v3, v150, v116 op_sel:[1,0,0] op_sel_hi:[1,0,0]
	ds_read2_b32 v[2:3], v2 offset1:1
	v_add_u32_e32 v118, 0x10b0, v45
	v_add_u32_e32 v134, 0x2120, v45
	;; [unrolled: 1-line block ×3, first 2 shown]
	ds_read2_b32 v[122:123], v118 offset1:1
	ds_read2_b32 v[132:133], v120 offset1:1
	;; [unrolled: 1-line block ×3, first 2 shown]
	s_waitcnt lgkmcnt(3)
	v_and_b32_e32 v118, 0xf0f0f0f, v2
	v_dot4c_i32_i8_e32 v112, v118, v20
	v_and_b32_e32 v118, 0xf0f0f0f, v3
	v_dot4c_i32_i8_e32 v112, v118, v21
	s_waitcnt lgkmcnt(2)
	v_and_b32_e32 v118, 0xf0f0f0f, v122
	v_dot4c_i32_i8_e32 v112, v118, v14
	v_and_b32_e32 v118, 0xf0f0f0f, v123
	v_dot4c_i32_i8_e32 v112, v118, v15
	s_waitcnt lgkmcnt(1)
	v_and_b32_e32 v118, 0xf0f0f0f, v132
	v_dot4c_i32_i8_e32 v112, v118, v16
	v_and_b32_e32 v118, 0xf0f0f0f, v133
	v_lshrrev_b32_e32 v142, 24, v110
	v_dot4c_i32_i8_e32 v112, v118, v17
	v_bfe_u32 v110, v110, 16, 8
	v_lshrrev_b32_e32 v2, 4, v2
	v_and_b32_e32 v2, 0xf0f0f0f, v2
	v_mul_lo_u32 v110, v112, v110
	v_cvt_f32_i32_e32 v138, v110
	v_lshrrev_b32_e32 v110, 4, v136
	v_and_b32_e32 v110, 0xf0f0f0f, v110
	v_mov_b32_e32 v112, 0
	v_dot4c_i32_i8_e32 v112, v110, v10
	v_lshrrev_b32_e32 v110, 4, v137
	v_and_b32_e32 v110, 0xf0f0f0f, v110
	v_dot4c_i32_i8_e32 v112, v110, v11
	v_dot4c_i32_i8_e32 v112, v2, v12
	v_lshrrev_b32_e32 v2, 4, v3
	v_and_b32_e32 v2, 0xf0f0f0f, v2
	v_dot4c_i32_i8_e32 v112, v2, v13
	v_lshrrev_b32_e32 v2, 4, v122
	v_and_b32_e32 v2, 0xf0f0f0f, v2
	v_dot4c_i32_i8_e32 v112, v2, v6
	v_lshrrev_b32_e32 v2, 4, v123
	v_and_b32_e32 v2, 0xf0f0f0f, v2
	v_dot4c_i32_i8_e32 v112, v2, v7
	v_lshrrev_b32_e32 v2, 4, v132
	v_and_b32_e32 v2, 0xf0f0f0f, v2
	v_dot4c_i32_i8_e32 v112, v2, v8
	v_lshrrev_b32_e32 v2, 4, v133
	v_and_b32_e32 v2, 0xf0f0f0f, v2
	v_dot4c_i32_i8_e32 v112, v2, v9
	v_cvt_f32_f16_sdwa v3, v131 dst_sel:DWORD dst_unused:UNUSED_PAD src0_sel:WORD_1
	v_cvt_f32_ubyte2_e32 v139, v111
	v_cvt_f32_ubyte3_e32 v111, v111
	v_mul_lo_u32 v2, v112, v142
	v_cvt_f32_i32_e32 v110, v2
	v_cvt_f32_f16_e32 v2, v131
	v_mul_f32_e32 v24, v24, v3
	v_mov_b32_e32 v112, v119
	v_fma_mix_f32 v123, v4, v131, -v24 op_sel_hi:[0,1,0]
	v_pk_fma_f32 v[118:119], v[112:113], v[138:139], 0 op_sel_hi:[1,1,0]
	v_mov_b32_e32 v4, v121
	v_pk_fma_f32 v[110:111], v[4:5], v[110:111], v[118:119]
	v_mov_b32_e32 v122, v114
	v_pk_mul_f32 v[118:119], v[110:111], v[2:3]
	v_pk_add_f32 v[104:105], v[104:105], v[122:123]
	v_mov_b32_e32 v119, v118
	v_pk_fma_f32 v[2:3], v[110:111], v[2:3], v[118:119] neg_lo:[1,0,0] neg_hi:[1,0,0]
	v_mov_b32_e32 v24, 0
	v_mov_b32_e32 v2, v115
	v_pk_add_f32 v[104:105], v[104:105], v[2:3]
	s_waitcnt lgkmcnt(0)
	v_and_b32_e32 v2, 0xf0f0f0f, v134
	v_dot4c_i32_i8_e32 v24, v2, v18
	v_and_b32_e32 v2, 0xf0f0f0f, v135
	v_dot4c_i32_i8_e32 v24, v2, v19
	v_add_u32_e32 v2, 0x2128, v45
	ds_read2_b32 v[2:3], v2 offset1:1
	v_add_u32_e32 v110, 0x2130, v45
	v_add_u32_e32 v114, 0x2138, v45
	;; [unrolled: 1-line block ×3, first 2 shown]
	ds_read2_b32 v[110:111], v110 offset1:1
	ds_read2_b32 v[114:115], v114 offset1:1
	;; [unrolled: 1-line block ×3, first 2 shown]
	s_waitcnt lgkmcnt(3)
	v_and_b32_e32 v120, 0xf0f0f0f, v2
	v_dot4c_i32_i8_e32 v24, v120, v20
	v_and_b32_e32 v120, 0xf0f0f0f, v3
	v_dot4c_i32_i8_e32 v24, v120, v21
	s_waitcnt lgkmcnt(2)
	v_and_b32_e32 v120, 0xf0f0f0f, v110
	v_dot4c_i32_i8_e32 v24, v120, v14
	v_and_b32_e32 v120, 0xf0f0f0f, v111
	v_dot4c_i32_i8_e32 v24, v120, v15
	s_waitcnt lgkmcnt(1)
	v_and_b32_e32 v120, 0xf0f0f0f, v114
	v_dot4c_i32_i8_e32 v24, v120, v16
	v_and_b32_e32 v120, 0xf0f0f0f, v115
	v_lshrrev_b32_e32 v130, 24, v106
	v_dot4c_i32_i8_e32 v24, v120, v17
	v_bfe_u32 v106, v106, 16, 8
	v_lshrrev_b32_e32 v2, 4, v2
	v_and_b32_e32 v2, 0xf0f0f0f, v2
	v_mul_lo_u32 v24, v24, v106
	v_cvt_f32_i32_e32 v120, v24
	v_lshrrev_b32_e32 v24, 4, v134
	v_and_b32_e32 v24, 0xf0f0f0f, v24
	v_mov_b32_e32 v106, 0
	v_dot4c_i32_i8_e32 v106, v24, v10
	v_lshrrev_b32_e32 v24, 4, v135
	v_and_b32_e32 v24, 0xf0f0f0f, v24
	v_dot4c_i32_i8_e32 v106, v24, v11
	v_dot4c_i32_i8_e32 v106, v2, v12
	v_lshrrev_b32_e32 v2, 4, v3
	v_and_b32_e32 v2, 0xf0f0f0f, v2
	v_dot4c_i32_i8_e32 v106, v2, v13
	v_lshrrev_b32_e32 v2, 4, v110
	v_and_b32_e32 v2, 0xf0f0f0f, v2
	v_dot4c_i32_i8_e32 v106, v2, v6
	v_lshrrev_b32_e32 v2, 4, v111
	v_and_b32_e32 v2, 0xf0f0f0f, v2
	v_dot4c_i32_i8_e32 v106, v2, v7
	v_lshrrev_b32_e32 v2, 4, v114
	v_and_b32_e32 v2, 0xf0f0f0f, v2
	v_dot4c_i32_i8_e32 v106, v2, v8
	v_lshrrev_b32_e32 v2, 4, v115
	v_and_b32_e32 v2, 0xf0f0f0f, v2
	v_cvt_f32_f16_sdwa v3, v117 dst_sel:DWORD dst_unused:UNUSED_PAD src0_sel:WORD_1
	v_dot4c_i32_i8_e32 v106, v2, v9
	v_cvt_f32_ubyte2_e32 v121, v107
	v_cvt_f32_ubyte3_e32 v107, v107
	v_mul_f32_e32 v24, v116, v3
	v_mul_lo_u32 v2, v106, v130
	v_cvt_f32_i32_e32 v106, v2
	v_cvt_f32_f16_e32 v2, v117
	v_fma_mix_f32 v24, v129, v117, -v24 op_sel_hi:[0,1,0]
	v_add_f32_e32 v110, v25, v24
	v_pk_fma_f32 v[24:25], v[112:113], v[120:121], 0 op_sel_hi:[1,1,0]
	v_lshrrev_b32_e32 v152, 24, v108
	v_pk_fma_f32 v[24:25], v[4:5], v[106:107], v[24:25]
	v_add_u32_e32 v106, 0x31b8, v45
	v_pk_mul_f32 v[2:3], v[24:25], v[2:3]
	v_mov_b32_e32 v24, 0
	v_sub_f32_e32 v2, v2, v3
	v_add_f32_e32 v25, v110, v2
	s_waitcnt lgkmcnt(0)
	v_and_b32_e32 v2, 0xf0f0f0f, v118
	v_dot4c_i32_i8_e32 v24, v2, v18
	v_and_b32_e32 v2, 0xf0f0f0f, v119
	v_dot4c_i32_i8_e32 v24, v2, v19
	v_add_u32_e32 v2, 0x31a8, v45
	ds_read2_b32 v[2:3], v2 offset1:1
	v_add_u32_e32 v18, 0x31b0, v45
	ds_read2_b32 v[18:19], v18 offset1:1
	ds_read2_b32 v[106:107], v106 offset1:1
	s_cmp_ge_i32 s4, s5
	s_waitcnt lgkmcnt(0)
	v_and_b32_e32 v110, 0xf0f0f0f, v2
	v_dot4c_i32_i8_e32 v24, v110, v20
	v_and_b32_e32 v20, 0xf0f0f0f, v3
	v_dot4c_i32_i8_e32 v24, v20, v21
	;; [unrolled: 2-line block ×5, first 2 shown]
	v_and_b32_e32 v14, 0xf0f0f0f, v107
	v_lshrrev_b32_e32 v16, 4, v118
	v_dot4c_i32_i8_e32 v24, v14, v17
	v_and_b32_e32 v16, 0xf0f0f0f, v16
	v_mov_b32_e32 v17, 0
	v_dot4c_i32_i8_e32 v17, v16, v10
	v_lshrrev_b32_e32 v10, 4, v119
	v_and_b32_e32 v10, 0xf0f0f0f, v10
	v_lshrrev_b32_e32 v2, 4, v2
	v_dot4c_i32_i8_e32 v17, v10, v11
	v_and_b32_e32 v2, 0xf0f0f0f, v2
	v_dot4c_i32_i8_e32 v17, v2, v12
	v_lshrrev_b32_e32 v2, 4, v3
	v_and_b32_e32 v2, 0xf0f0f0f, v2
	v_dot4c_i32_i8_e32 v17, v2, v13
	v_lshrrev_b32_e32 v2, 4, v18
	;; [unrolled: 3-line block ×5, first 2 shown]
	v_bfe_u32 v14, v108, 16, 8
	v_and_b32_e32 v2, 0xf0f0f0f, v2
	v_cvt_f32_f16_sdwa v3, v23 dst_sel:DWORD dst_unused:UNUSED_PAD src0_sel:WORD_1
	v_mul_lo_u32 v14, v24, v14
	v_dot4c_i32_i8_e32 v17, v2, v9
	v_cvt_f32_i32_e32 v14, v14
	v_mul_f32_e32 v8, v141, v3
	v_cvt_f32_ubyte2_e32 v15, v109
	v_mul_lo_u32 v2, v17, v152
	v_cvt_f32_i32_e32 v6, v2
	v_cvt_f32_f16_e32 v2, v23
	v_fma_mix_f32 v8, v140, v23, -v8 op_sel_hi:[0,1,0]
	v_cvt_f32_ubyte3_e32 v7, v109
	v_add_f32_e32 v10, v128, v8
	v_pk_fma_f32 v[8:9], v[112:113], v[14:15], 0 op_sel_hi:[1,1,0]
	s_barrier
	v_pk_fma_f32 v[4:5], v[4:5], v[6:7], v[8:9]
	s_nop 0
	v_pk_mul_f32 v[2:3], v[4:5], v[2:3]
	s_nop 0
	v_sub_f32_e32 v2, v2, v3
	v_add_f32_e32 v128, v10, v2
	s_cbranch_scc1 .LBB212_5
; %bb.13:                               ;   in Loop: Header=BB212_6 Depth=1
	v_cmp_gt_i32_e64 s[2:3], s8, v49
	s_and_b64 s[12:13], s[0:1], s[2:3]
	s_and_saveexec_b64 s[2:3], s[12:13]
	s_cbranch_execz .LBB212_15
; %bb.14:                               ;   in Loop: Header=BB212_6 Depth=1
	v_add_u32_e32 v2, v60, v49
	v_mad_i64_i32 v[2:3], s[12:13], v2, 36, v[58:59]
	global_load_dword v2, v[2:3], off offset:4
	s_waitcnt vmcnt(0)
	ds_write_b32 v33, v2
.LBB212_15:                             ;   in Loop: Header=BB212_6 Depth=1
	s_or_b64 exec, exec, s[2:3]
	s_and_saveexec_b64 s[12:13], vcc
	s_cbranch_execz .LBB212_4
; %bb.16:                               ;   in Loop: Header=BB212_6 Depth=1
	v_add_u32_e32 v2, 4, v22
	v_cmp_gt_i32_e64 s[2:3], s8, v2
	s_and_b64 s[2:3], s[0:1], s[2:3]
	s_and_b64 exec, exec, s[2:3]
	s_cbranch_execz .LBB212_4
; %bb.17:                               ;   in Loop: Header=BB212_6 Depth=1
	v_ashrrev_i32_e32 v23, 31, v22
	v_lshl_add_u64 v[2:3], v[60:61], 0, v[22:23]
	v_mad_u64_u32 v[4:5], s[2:3], v2, 36, s[22:23]
	v_mad_i32_i24 v5, v3, 36, v5
	global_load_dword v2, v[4:5], off
	s_waitcnt vmcnt(0)
	ds_write_b32 v35, v2
	s_branch .LBB212_4
.LBB212_18:
	v_mov_b32_e32 v2, 0
	v_mov_b32_e32 v4, 0
	;; [unrolled: 1-line block ×3, first 2 shown]
	s_mul_i32 s0, s10, s7
	s_waitcnt vmcnt(0)
	v_cmp_gt_i32_e32 vcc, s0, v1
	s_and_saveexec_b64 s[0:1], vcc
	s_cbranch_execnz .LBB212_21
.LBB212_19:
	s_endpgm
.LBB212_20:
	v_cvt_f16_f32_e32 v6, v104
	v_cvt_f16_f32_e32 v4, v105
	;; [unrolled: 1-line block ×4, first 2 shown]
	s_mul_i32 s0, s10, s7
	v_cmp_gt_i32_e32 vcc, s0, v1
	s_and_saveexec_b64 s[0:1], vcc
	s_cbranch_execz .LBB212_19
.LBB212_21:
	v_and_b32_e32 v0, 0x3ff, v0
	v_add_u32_e32 v5, s11, v0
	v_mul_lo_u32 v0, v1, s9
	v_cmp_gt_u32_e32 vcc, s9, v5
	s_and_saveexec_b64 s[0:1], vcc
	s_cbranch_execz .LBB212_23
; %bb.22:
	v_add_u32_e32 v8, v0, v5
	v_mov_b32_e32 v9, 0
	v_lshl_add_u64 v[8:9], v[8:9], 1, s[16:17]
	global_store_short v[8:9], v6, off
.LBB212_23:
	s_or_b64 exec, exec, s[0:1]
	v_add_u32_e32 v1, 32, v5
	v_cmp_gt_u32_e32 vcc, s9, v1
	s_and_saveexec_b64 s[0:1], vcc
	s_cbranch_execz .LBB212_25
; %bb.24:
	v_add_u32_e32 v6, v0, v1
	v_mov_b32_e32 v7, 0
	v_lshl_add_u64 v[6:7], v[6:7], 1, s[16:17]
	global_store_short v[6:7], v4, off
.LBB212_25:
	s_or_b64 exec, exec, s[0:1]
	v_add_u32_e32 v1, 64, v5
	v_cmp_gt_u32_e32 vcc, s9, v1
	s_and_saveexec_b64 s[0:1], vcc
	s_cbranch_execz .LBB212_27
; %bb.26:
	v_add_u32_e32 v6, v0, v1
	v_mov_b32_e32 v7, 0
	v_lshl_add_u64 v[6:7], v[6:7], 1, s[16:17]
	global_store_short v[6:7], v2, off
.LBB212_27:
	s_or_b64 exec, exec, s[0:1]
	v_add_u32_e32 v1, 0x60, v5
	v_cmp_gt_u32_e32 vcc, s9, v1
	s_and_b64 exec, exec, vcc
	s_cbranch_execz .LBB212_19
; %bb.28:
	v_add_u32_e32 v0, v0, v1
	v_mov_b32_e32 v1, 0
	v_lshl_add_u64 v[0:1], v[0:1], 1, s[16:17]
	global_store_short v[0:1], v3, off
	s_endpgm
	.section	.rodata,"a",@progbits
	.p2align	6, 0x0
	.amdhsa_kernel _ZL8moe_q4_KIN3c104HalfELb1EEvPKvS3_PT_PKiS7_S7_iiiiiii
		.amdhsa_group_segment_fixed_size 20688
		.amdhsa_private_segment_fixed_size 0
		.amdhsa_kernarg_size 76
		.amdhsa_user_sgpr_count 2
		.amdhsa_user_sgpr_dispatch_ptr 0
		.amdhsa_user_sgpr_queue_ptr 0
		.amdhsa_user_sgpr_kernarg_segment_ptr 1
		.amdhsa_user_sgpr_dispatch_id 0
		.amdhsa_user_sgpr_kernarg_preload_length 0
		.amdhsa_user_sgpr_kernarg_preload_offset 0
		.amdhsa_user_sgpr_private_segment_size 0
		.amdhsa_uses_dynamic_stack 0
		.amdhsa_enable_private_segment 0
		.amdhsa_system_sgpr_workgroup_id_x 1
		.amdhsa_system_sgpr_workgroup_id_y 1
		.amdhsa_system_sgpr_workgroup_id_z 0
		.amdhsa_system_sgpr_workgroup_info 0
		.amdhsa_system_vgpr_workitem_id 1
		.amdhsa_next_free_vgpr 154
		.amdhsa_next_free_sgpr 32
		.amdhsa_accum_offset 156
		.amdhsa_reserve_vcc 1
		.amdhsa_float_round_mode_32 0
		.amdhsa_float_round_mode_16_64 0
		.amdhsa_float_denorm_mode_32 3
		.amdhsa_float_denorm_mode_16_64 3
		.amdhsa_dx10_clamp 1
		.amdhsa_ieee_mode 1
		.amdhsa_fp16_overflow 0
		.amdhsa_tg_split 0
		.amdhsa_exception_fp_ieee_invalid_op 0
		.amdhsa_exception_fp_denorm_src 0
		.amdhsa_exception_fp_ieee_div_zero 0
		.amdhsa_exception_fp_ieee_overflow 0
		.amdhsa_exception_fp_ieee_underflow 0
		.amdhsa_exception_fp_ieee_inexact 0
		.amdhsa_exception_int_div_zero 0
	.end_amdhsa_kernel
	.section	.text._ZL8moe_q4_KIN3c104HalfELb1EEvPKvS3_PT_PKiS7_S7_iiiiiii,"axG",@progbits,_ZL8moe_q4_KIN3c104HalfELb1EEvPKvS3_PT_PKiS7_S7_iiiiiii,comdat
.Lfunc_end212:
	.size	_ZL8moe_q4_KIN3c104HalfELb1EEvPKvS3_PT_PKiS7_S7_iiiiiii, .Lfunc_end212-_ZL8moe_q4_KIN3c104HalfELb1EEvPKvS3_PT_PKiS7_S7_iiiiiii
                                        ; -- End function
	.section	.AMDGPU.csdata,"",@progbits
; Kernel info:
; codeLenInByte = 10192
; NumSgprs: 38
; NumVgprs: 154
; NumAgprs: 0
; TotalNumVgprs: 154
; ScratchSize: 0
; MemoryBound: 0
; FloatMode: 240
; IeeeMode: 1
; LDSByteSize: 20688 bytes/workgroup (compile time only)
; SGPRBlocks: 4
; VGPRBlocks: 19
; NumSGPRsForWavesPerEU: 38
; NumVGPRsForWavesPerEU: 154
; AccumOffset: 156
; Occupancy: 3
; WaveLimiterHint : 1
; COMPUTE_PGM_RSRC2:SCRATCH_EN: 0
; COMPUTE_PGM_RSRC2:USER_SGPR: 2
; COMPUTE_PGM_RSRC2:TRAP_HANDLER: 0
; COMPUTE_PGM_RSRC2:TGID_X_EN: 1
; COMPUTE_PGM_RSRC2:TGID_Y_EN: 1
; COMPUTE_PGM_RSRC2:TGID_Z_EN: 0
; COMPUTE_PGM_RSRC2:TIDIG_COMP_CNT: 1
; COMPUTE_PGM_RSRC3_GFX90A:ACCUM_OFFSET: 38
; COMPUTE_PGM_RSRC3_GFX90A:TG_SPLIT: 0
	.section	.text._ZL8moe_q5_KIN3c104HalfELb0EEvPKvS3_PT_PKiS7_S7_iiiiiii,"axG",@progbits,_ZL8moe_q5_KIN3c104HalfELb0EEvPKvS3_PT_PKiS7_S7_iiiiiii,comdat
	.globl	_ZL8moe_q5_KIN3c104HalfELb0EEvPKvS3_PT_PKiS7_S7_iiiiiii ; -- Begin function _ZL8moe_q5_KIN3c104HalfELb0EEvPKvS3_PT_PKiS7_S7_iiiiiii
	.p2align	8
	.type	_ZL8moe_q5_KIN3c104HalfELb0EEvPKvS3_PT_PKiS7_S7_iiiiiii,@function
_ZL8moe_q5_KIN3c104HalfELb0EEvPKvS3_PT_PKiS7_S7_iiiiiii: ; @_ZL8moe_q5_KIN3c104HalfELb0EEvPKvS3_PT_PKiS7_S7_iiiiiii
; %bb.0:
	s_load_dwordx4 s[4:7], s[0:1], 0x18
	s_mov_b32 s8, s3
	s_mov_b32 s9, 0
	s_lshl_b64 s[10:11], s[8:9], 2
	s_waitcnt lgkmcnt(0)
	s_add_u32 s6, s6, s10
	s_addc_u32 s7, s7, s11
	s_load_dword s3, s[6:7], 0x0
	s_waitcnt lgkmcnt(0)
	s_cmpk_gt_u32 s3, 0xff
	s_cbranch_scc1 .LBB213_19
; %bb.1:
	s_load_dwordx2 s[6:7], s[0:1], 0x28
	s_waitcnt lgkmcnt(0)
	s_load_dword s7, s[6:7], 0x0
	s_lshl_b32 s6, s8, 3
	s_waitcnt lgkmcnt(0)
	s_cmp_gt_u32 s6, s7
	s_cbranch_scc1 .LBB213_19
; %bb.2:
	v_bfe_u32 v4, v0, 10, 10
	v_mov_b32_e32 v6, s4
	v_mov_b32_e32 v7, s5
	v_add_u32_e32 v2, s6, v4
	v_mov_b32_e32 v3, 0
	v_lshl_add_u64 v[6:7], v[2:3], 2, v[6:7]
	global_load_dword v1, v[6:7], off
	s_load_dwordx2 s[14:15], s[0:1], 0x30
	s_load_dwordx2 s[12:13], s[0:1], 0x10
	s_load_dwordx4 s[4:7], s[0:1], 0x3c
	s_lshl_b32 s24, s2, 7
	s_mov_b32 s20, 0
	s_waitcnt lgkmcnt(0)
	s_cmpk_lt_i32 s15, 0x100
	s_cbranch_scc1 .LBB213_18
; %bb.3:
	s_load_dwordx4 s[8:11], s[0:1], 0x0
	s_ashr_i32 s0, s15, 31
	s_lshr_b32 s0, s0, 24
	s_add_i32 s0, s15, s0
	s_ashr_i32 s25, s0, 8
	s_ashr_i32 s0, s5, 31
	s_lshr_b32 s0, s0, 27
	v_and_b32_e32 v22, 0x3ff, v0
	s_add_i32 s0, s5, s0
	v_lshlrev_b32_e32 v6, 1, v22
	v_and_b32_e32 v9, 7, v22
	s_ashr_i32 s5, s0, 5
	v_and_or_b32 v6, v6, 48, v9
	v_mul_u32_u24_e32 v10, 0x41, v4
	s_lshl_b32 s0, s25, 3
	v_add_lshl_u32 v118, v6, v10, 2
	v_mov_b32_e32 v6, s0
	v_mad_i32_i24 v12, s25, v4, v6
	v_add_u32_e32 v13, s0, v12
	v_add_u32_e32 v14, s0, v13
	;; [unrolled: 1-line block ×10, first 2 shown]
	v_lshlrev_b32_e32 v6, 5, v4
	v_add_u32_e32 v78, s0, v23
	v_add_u32_e32 v10, v6, v22
	;; [unrolled: 1-line block ×3, first 2 shown]
	v_and_b32_e32 v11, 0x7f, v10
	v_lshrrev_b32_e32 v26, 3, v10
	v_add_u32_e32 v86, s0, v82
	v_mul_i32_i24_e32 v94, s25, v11
	v_and_b32_e32 v26, 12, v26
	v_lshlrev_b32_e32 v11, 2, v11
	s_mov_b32 s0, 0x8e40
	v_and_b32_e32 v27, 3, v22
	v_lshrrev_b32_e32 v8, 2, v22
	v_add3_u32 v134, v11, v26, s0
	v_lshlrev_b32_e32 v11, 3, v4
	v_add_u32_e32 v28, 0xfe, v27
	v_cmp_gt_u32_e32 vcc, 2, v27
	v_and_b32_e32 v116, 6, v8
	v_add_u32_e32 v26, v8, v11
	v_cndmask_b32_e32 v28, v28, v27, vcc
	v_add_u16_e32 v8, v8, v11
	s_mul_i32 s16, s3, s14
	v_and_b32_e32 v28, 0xff, v28
	v_cmp_ne_u32_e32 vcc, 0, v27
	v_cmp_lt_u32_e64 s[2:3], 1, v27
	v_and_b32_e32 v26, 0x7f, v26
	v_lshlrev_b32_e32 v27, 2, v27
	v_lshrrev_b16_e32 v8, 1, v8
	v_addc_co_u32_e32 v96, vcc, 0, v28, vcc
	v_lshlrev_b32_e32 v136, 1, v28
	v_lshl_or_b32 v28, v26, 4, v27
	v_and_b32_e32 v8, 60, v8
	s_mov_b32 s1, 0x8200
	v_add3_u32 v137, v28, v8, s1
	v_xor_b32_e32 v8, 64, v26
	v_mul_i32_i24_e32 v100, s25, v8
	v_lshl_or_b32 v11, v8, 4, v27
	v_lshrrev_b32_e32 v8, 1, v8
	v_and_b32_e32 v8, 60, v8
	v_add3_u32 v138, v11, v8, s1
	v_and_or_b32 v6, v22, 31, v6
	v_mov_b32_e32 v8, 0x8a40
	s_movk_i32 s1, 0xffe4
	v_lshlrev_b32_e32 v7, 2, v22
	v_lshl_add_u32 v139, v6, 2, v8
	v_mad_i32_i24 v6, v4, s1, v10
	v_mov_b32_e32 v10, 0x9050
	v_lshrrev_b32_e32 v141, 3, v22
	v_lshrrev_b32_e32 v5, 5, v22
	v_lshl_add_u32 v140, v6, 2, v10
	v_lshl_add_u32 v142, v4, 7, v8
	v_add_u32_e32 v6, v141, v7
	v_mov_b32_e32 v8, 0x8200
	v_lshl_add_u32 v144, v6, 2, v8
	v_lshlrev_b32_e32 v6, 2, v5
	v_add3_u32 v146, v6, v7, s0
	v_add_u32_e32 v6, 32, v22
	v_lshrrev_b32_e32 v147, 3, v6
	v_lshl_add_u32 v6, v6, 2, v147
	v_lshl_add_u32 v148, v6, 2, v8
	v_and_b32_e32 v6, 60, v147
	v_add3_u32 v149, v7, v6, s0
	v_add_u32_e32 v6, 64, v22
	v_lshrrev_b32_e32 v10, 3, v6
	v_lshl_add_u32 v6, v6, 2, v10
	s_abs_i32 s18, s7
	v_lshl_add_u32 v150, v6, 2, v8
	v_and_b32_e32 v6, 60, v10
	v_cvt_f32_u32_e32 v11, s18
	v_add3_u32 v151, v7, v6, s0
	v_add_u32_e32 v6, 0x60, v22
	v_lshrrev_b32_e32 v10, 3, v6
	v_lshl_add_u32 v6, v6, 2, v10
	v_lshl_add_u32 v152, v6, 2, v8
	v_rcp_iflag_f32_e32 v8, v11
	v_and_b32_e32 v6, 60, v10
	v_and_b32_e32 v24, 0x7c, v7
	;; [unrolled: 1-line block ×4, first 2 shown]
	v_add3_u32 v153, v7, v6, s0
	v_mul_f32_e32 v7, 0x4f7ffffe, v8
	v_cvt_u32_f32_e32 v7, v7
	s_sub_i32 s0, 0, s18
	s_waitcnt vmcnt(0)
	v_sub_u32_e32 v8, 0, v1
	v_max_i32_e32 v8, v1, v8
	v_mul_lo_u32 v10, s0, v7
	v_mul_hi_u32 v10, v7, v10
	v_add_u32_e32 v7, v7, v10
	v_mul_hi_u32 v7, v8, v7
	v_mul_lo_u32 v10, v7, s18
	v_sub_u32_e32 v8, v8, v10
	v_add_u32_e32 v10, 1, v7
	v_cmp_le_u32_e64 s[0:1], s18, v8
	v_xor_b32_e32 v6, s7, v1
	v_ashrrev_i32_e32 v6, 31, v6
	v_cndmask_b32_e64 v7, v7, v10, s[0:1]
	v_subrev_u32_e32 v10, s18, v8
	v_cndmask_b32_e64 v8, v8, v10, s[0:1]
	v_add_u32_e32 v10, 1, v7
	v_cmp_le_u32_e64 s[0:1], s18, v8
	s_mul_i32 s14, s25, s24
	s_mul_hi_i32 s23, s14, 0xb0
	v_cndmask_b32_e64 v7, v7, v10, s[0:1]
	v_xor_b32_e32 v7, v7, v6
	v_sub_u32_e32 v6, v7, v6
	s_mul_i32 s22, s14, 0xb0
	v_cmp_gt_i32_e64 s[0:1], s4, v6
	v_mul_lo_u32 v28, v6, s5
	s_movk_i32 s21, 0xb0
	v_mov_b64_e32 v[6:7], s[22:23]
	v_mov_b32_e32 v25, 0
	v_mul_i32_i24_e32 v9, s25, v4
	v_mad_u64_u32 v[6:7], s[26:27], v5, s21, v[6:7]
	v_mov_b32_e32 v3, v25
	v_mad_u64_u32 v[8:9], s[26:27], v9, s21, v[6:7]
	v_lshl_add_u64 v[10:11], v[8:9], 0, v[2:3]
	v_lshl_add_u64 v[8:9], v[8:9], 0, v[24:25]
	s_waitcnt lgkmcnt(0)
	v_lshl_add_u64 v[8:9], v[8:9], 0, s[8:9]
	v_lshl_add_u64 v[10:11], v[10:11], 0, s[8:9]
	v_lshl_add_u64 v[32:33], v[8:9], 0, 48
	v_mad_u64_u32 v[8:9], s[26:27], v12, s21, v[6:7]
	v_lshl_add_u64 v[30:31], v[10:11], 0, 16
	v_lshl_add_u64 v[10:11], v[8:9], 0, v[2:3]
	v_lshl_add_u64 v[8:9], v[8:9], 0, v[24:25]
	v_lshl_add_u64 v[8:9], v[8:9], 0, s[8:9]
	v_lshl_add_u64 v[10:11], v[10:11], 0, s[8:9]
	v_lshl_add_u64 v[36:37], v[8:9], 0, 48
	v_mad_u64_u32 v[8:9], s[26:27], v13, s21, v[6:7]
	v_lshl_add_u64 v[34:35], v[10:11], 0, 16
	v_lshl_add_u64 v[10:11], v[8:9], 0, v[2:3]
	v_lshl_add_u64 v[8:9], v[8:9], 0, v[24:25]
	;; [unrolled: 7-line block ×13, first 2 shown]
	v_lshl_add_u64 v[8:9], v[8:9], 0, s[8:9]
	v_lshl_add_u64 v[84:85], v[8:9], 0, 48
	v_mad_u64_u32 v[8:9], s[26:27], v86, s21, v[6:7]
	s_mul_i32 s26, s25, 0x78
	s_nop 0
	v_mov_b32_e32 v5, s26
	v_lshlrev_b32_e32 v143, 4, v4
	v_mad_i32_i24 v4, s25, v4, v5
	s_ashr_i32 s17, s16, 31
	v_lshl_add_u64 v[10:11], v[10:11], 0, s[8:9]
	v_mad_u64_u32 v[4:5], s[26:27], v4, s21, v[6:7]
	v_mul_i32_i24_e32 v97, s25, v26
	v_lshl_add_u64 v[26:27], s[10:11], 0, v[2:3]
	s_add_u32 s18, s10, 0x90
	v_lshl_add_u64 v[82:83], v[10:11], 0, 16
	v_lshl_add_u64 v[10:11], v[8:9], 0, v[2:3]
	;; [unrolled: 1-line block ×3, first 2 shown]
	s_addc_u32 s19, s11, 0
	v_lshl_add_u64 v[2:3], v[2:3], 0, s[8:9]
	v_lshl_add_u64 v[90:91], v[2:3], 0, 16
	;; [unrolled: 1-line block ×3, first 2 shown]
	s_add_u32 s22, s8, s22
	v_lshl_add_u64 v[2:3], v[2:3], 0, s[8:9]
	s_addc_u32 s23, s9, s23
	v_lshl_add_u64 v[92:93], v[2:3], 0, 48
	v_mov_b64_e32 v[2:3], s[22:23]
	v_mad_u64_u32 v[94:95], s[22:23], v94, s21, v[2:3]
	v_mad_u64_u32 v[2:3], s[22:23], v97, s21, 0
	v_mov_b32_e32 v6, 0xb0
	v_lshl_add_u64 v[8:9], v[8:9], 0, v[24:25]
	v_mad_i64_i32 v[2:3], s[22:23], s14, v6, v[2:3]
	v_lshlrev_b32_e32 v24, 2, v96
	v_lshl_add_u64 v[4:5], v[2:3], 0, v[24:25]
	v_lshl_add_u64 v[4:5], v[4:5], 0, s[8:9]
	;; [unrolled: 1-line block ×3, first 2 shown]
	v_cndmask_b32_e64 v4, 0, 1, s[2:3]
	v_lshlrev_b32_e32 v7, 2, v4
	v_or_b32_e32 v2, v2, v7
	v_lshl_add_u64 v[2:3], v[2:3], 0, s[8:9]
	v_cndmask_b32_e64 v135, 0, v29, s[2:3]
	v_lshl_add_u64 v[98:99], v[2:3], 0, 4
	v_mad_u64_u32 v[2:3], s[2:3], v100, s21, 0
	v_mad_i64_i32 v[2:3], s[2:3], s14, v6, v[2:3]
	v_lshl_add_u64 v[4:5], v[2:3], 0, v[24:25]
	v_or_b32_e32 v2, v2, v7
	v_lshl_add_u64 v[10:11], v[10:11], 0, s[8:9]
	v_lshl_add_u64 v[8:9], v[8:9], 0, s[8:9]
	;; [unrolled: 1-line block ×4, first 2 shown]
	s_mov_b32 s21, s20
	v_or_b32_e32 v117, 1, v116
	v_add_u32_e32 v119, 0x820, v118
	v_add_u32_e32 v120, 0x1040, v118
	;; [unrolled: 1-line block ×15, first 2 shown]
	v_cmp_gt_u32_e32 vcc, 4, v22
	v_mul_u32_u24_e32 v145, 0x104, v22
	v_ashrrev_i32_e32 v29, 31, v28
	v_lshl_add_u64 v[86:87], v[10:11], 0, 16
	v_lshl_add_u64 v[88:89], v[8:9], 0, 48
	;; [unrolled: 1-line block ×4, first 2 shown]
	s_movk_i32 s14, 0x80
	v_mov_b64_e32 v[104:105], s[20:21]
	s_mov_b32 s22, 0x10101010
	s_mov_b32 s23, 0x30303030
	s_mov_b64 s[8:9], 0xb0
	v_mov_b32_e32 v24, v25
	s_branch .LBB213_6
.LBB213_4:                              ;   in Loop: Header=BB213_6 Depth=1
	s_or_b64 exec, exec, s[20:21]
	s_waitcnt lgkmcnt(0)
	s_barrier
	ds_read_b128 v[18:21], v142
	ds_read_b128 v[14:17], v142 offset:16
	ds_read_b128 v[2:5], v143 offset:36944
	ds_read2_b32 v[106:107], v145 offset0:32 offset1:33
	ds_read_b128 v[10:13], v142 offset:32
	ds_read_b128 v[6:9], v142 offset:48
	ds_read_b32 v23, v146
	ds_read2_b32 v[108:109], v145 offset0:34 offset1:35
	v_mov_b32_e32 v161, 0
	s_waitcnt lgkmcnt(4)
	v_dot4c_i32_i8_e32 v161, v106, v18
	v_dot4c_i32_i8_e32 v161, v107, v19
	ds_read2_b32 v[110:111], v145 offset0:36 offset1:37
	ds_read2_b32 v[112:113], v145 offset0:38 offset1:39
	;; [unrolled: 1-line block ×3, first 2 shown]
	s_waitcnt lgkmcnt(3)
	v_dot4c_i32_i8_e32 v161, v108, v20
	v_dot4c_i32_i8_e32 v161, v109, v21
	ds_read2_b32 v[108:109], v145 offset0:42 offset1:43
	v_mov_b32_e32 v172, 0
	s_waitcnt lgkmcnt(3)
	v_dot4c_i32_i8_e32 v161, v110, v14
	s_waitcnt lgkmcnt(1)
	v_dot4c_i32_i8_e32 v172, v114, v10
	v_dot4c_i32_i8_e32 v161, v111, v15
	;; [unrolled: 1-line block ×4, first 2 shown]
	s_waitcnt lgkmcnt(0)
	v_dot4c_i32_i8_e32 v172, v108, v12
	v_cvt_f32_f16_e32 v160, v23
	v_cvt_f32_f16_sdwa v162, v23 dst_sel:DWORD dst_unused:UNUSED_PAD src0_sel:WORD_1
	v_add_u32_e32 v23, 0x2100, v145
	ds_read2_b32 v[106:107], v144 offset0:1 offset1:3
	v_dot4c_i32_i8_e32 v161, v113, v17
	ds_read2_b32 v[110:111], v145 offset0:44 offset1:45
	ds_read2_b32 v[112:113], v145 offset0:46 offset1:47
	;; [unrolled: 1-line block ×3, first 2 shown]
	v_dot4c_i32_i8_e32 v172, v109, v13
	ds_read2_b32 v[154:155], v145 offset0:58 offset1:59
	ds_read2_b32 v[156:157], v145 offset0:60 offset1:61
	;; [unrolled: 1-line block ×3, first 2 shown]
	ds_read2_b32 v[108:109], v23 offset1:1
	v_mov_b32_e32 v168, 0
	ds_read_b32 v173, v149 offset:128
	ds_read_b32 v174, v151 offset:256
	;; [unrolled: 1-line block ×3, first 2 shown]
	s_waitcnt lgkmcnt(9)
	v_dot4c_i32_i8_e32 v172, v110, v6
	v_dot4c_i32_i8_e32 v172, v111, v7
	s_waitcnt lgkmcnt(3)
	v_dot4c_i32_i8_e32 v168, v108, v18
	v_add_u32_e32 v108, 0x2108, v145
	v_dot4c_i32_i8_e32 v168, v109, v19
	ds_read2_b32 v[108:109], v108 offset1:1
	v_dot4c_i32_i8_e32 v172, v112, v8
	v_add_u32_e32 v110, 0x2110, v145
	v_dot4c_i32_i8_e32 v172, v113, v9
	v_add_u32_e32 v112, 0x2118, v145
	v_add_u32_e32 v113, 0x2120, v145
	ds_read2_b32 v[110:111], v110 offset1:1
	ds_read2_b32 v[164:165], v112 offset1:1
	;; [unrolled: 1-line block ×3, first 2 shown]
	s_waitcnt lgkmcnt(3)
	v_dot4c_i32_i8_e32 v168, v108, v20
	ds_read2_b32 v[112:113], v148 offset0:1 offset1:3
	v_dot4c_i32_i8_e32 v168, v109, v21
	s_waitcnt lgkmcnt(3)
	v_dot4c_i32_i8_e32 v168, v110, v14
	v_dot4c_i32_i8_e32 v168, v111, v15
	s_waitcnt lgkmcnt(2)
	v_dot4c_i32_i8_e32 v168, v164, v16
	v_dot4c_i32_i8_e32 v168, v165, v17
	s_waitcnt lgkmcnt(0)
	v_and_b32_e32 v108, 0xff, v112
	v_add_u32_e32 v110, 0x2130, v145
	v_add_u32_e32 v164, 0x2138, v145
	v_mul_lo_u32 v108, v168, v108
	v_cvt_f32_i32_e32 v176, v108
	v_add_u32_e32 v108, 0x2128, v145
	ds_read2_b32 v[108:109], v108 offset1:1
	v_mov_b32_e32 v168, 0
	v_dot4c_i32_i8_e32 v168, v166, v10
	v_add_u32_e32 v166, 0x4180, v145
	v_dot4c_i32_i8_e32 v168, v167, v11
	ds_read2_b32 v[110:111], v110 offset1:1
	ds_read2_b32 v[164:165], v164 offset1:1
	;; [unrolled: 1-line block ×3, first 2 shown]
	s_waitcnt lgkmcnt(3)
	v_dot4c_i32_i8_e32 v168, v108, v12
	v_dot4c_i32_i8_e32 v168, v109, v13
	s_waitcnt lgkmcnt(2)
	v_dot4c_i32_i8_e32 v168, v110, v6
	v_dot4c_i32_i8_e32 v168, v111, v7
	;; [unrolled: 3-line block ×3, first 2 shown]
	v_bfe_u32 v108, v112, 8, 8
	v_mov_b32_e32 v170, 0
	s_waitcnt lgkmcnt(0)
	v_dot4c_i32_i8_e32 v170, v166, v18
	v_mul_lo_u32 v108, v168, v108
	v_cvt_f32_i32_e32 v178, v108
	v_add_u32_e32 v108, 0x4188, v145
	ds_read2_b32 v[108:109], v108 offset1:1
	v_add_u32_e32 v110, 0x4190, v145
	v_add_u32_e32 v168, 0x41a0, v145
	v_dot4c_i32_i8_e32 v170, v167, v19
	v_add_u32_e32 v111, 0x4198, v145
	ds_read2_b32 v[164:165], v110 offset1:1
	ds_read2_b32 v[166:167], v111 offset1:1
	;; [unrolled: 1-line block ×3, first 2 shown]
	s_waitcnt lgkmcnt(3)
	v_dot4c_i32_i8_e32 v170, v108, v20
	ds_read2_b32 v[110:111], v150 offset0:1 offset1:3
	v_dot4c_i32_i8_e32 v170, v109, v21
	s_waitcnt lgkmcnt(3)
	v_dot4c_i32_i8_e32 v170, v164, v14
	v_dot4c_i32_i8_e32 v170, v165, v15
	s_waitcnt lgkmcnt(2)
	v_dot4c_i32_i8_e32 v170, v166, v16
	v_dot4c_i32_i8_e32 v170, v167, v17
	s_waitcnt lgkmcnt(0)
	v_and_b32_e32 v108, 0xff, v110
	v_add_u32_e32 v164, 0x41b0, v145
	v_add_u32_e32 v166, 0x41b8, v145
	v_mul_lo_u32 v108, v170, v108
	v_cvt_f32_i32_e32 v181, v108
	v_add_u32_e32 v108, 0x41a8, v145
	ds_read2_b32 v[108:109], v108 offset1:1
	v_mov_b32_e32 v170, 0
	v_dot4c_i32_i8_e32 v170, v168, v10
	v_add_u32_e32 v168, 0x6200, v145
	v_dot4c_i32_i8_e32 v170, v169, v11
	ds_read2_b32 v[164:165], v164 offset1:1
	ds_read2_b32 v[166:167], v166 offset1:1
	;; [unrolled: 1-line block ×3, first 2 shown]
	s_waitcnt lgkmcnt(3)
	v_dot4c_i32_i8_e32 v170, v108, v12
	v_dot4c_i32_i8_e32 v170, v109, v13
	s_waitcnt lgkmcnt(2)
	v_dot4c_i32_i8_e32 v170, v164, v6
	v_dot4c_i32_i8_e32 v170, v165, v7
	;; [unrolled: 3-line block ×3, first 2 shown]
	v_bfe_u32 v108, v110, 8, 8
	v_add_u32_e32 v109, 0x6218, v145
	v_mov_b32_e32 v190, 0
	v_mul_lo_u32 v108, v170, v108
	v_mov_b32_e32 v170, 0
	s_waitcnt lgkmcnt(0)
	v_dot4c_i32_i8_e32 v170, v168, v18
	v_add_u32_e32 v18, 0x6208, v145
	v_dot4c_i32_i8_e32 v170, v169, v19
	ds_read2_b32 v[18:19], v18 offset1:1
	v_cvt_f32_i32_e32 v183, v108
	v_add_u32_e32 v108, 0x6210, v145
	v_add_u32_e32 v168, 0x6220, v145
	ds_read2_b32 v[164:165], v108 offset1:1
	ds_read2_b32 v[166:167], v109 offset1:1
	;; [unrolled: 1-line block ×3, first 2 shown]
	s_waitcnt lgkmcnt(3)
	v_dot4c_i32_i8_e32 v170, v18, v20
	ds_read2_b32 v[108:109], v152 offset0:1 offset1:3
	v_dot4c_i32_i8_e32 v170, v19, v21
	s_waitcnt lgkmcnt(3)
	v_dot4c_i32_i8_e32 v170, v164, v14
	v_mov_b32_e32 v18, 0
	v_dot4c_i32_i8_e32 v170, v165, v15
	s_waitcnt lgkmcnt(1)
	v_dot4c_i32_i8_e32 v18, v168, v10
	v_add_u32_e32 v10, 0x6228, v145
	v_dot4c_i32_i8_e32 v170, v166, v16
	v_dot4c_i32_i8_e32 v18, v169, v11
	ds_read2_b32 v[10:11], v10 offset1:1
	v_dot4c_i32_i8_e32 v170, v167, v17
	s_waitcnt lgkmcnt(1)
	v_and_b32_e32 v14, 0xff, v108
	v_add_u32_e32 v16, 0x6238, v145
	v_add_u32_e32 v19, 0x2140, v145
	v_mul_lo_u32 v14, v170, v14
	v_cvt_f32_i32_e32 v186, v14
	v_add_u32_e32 v14, 0x6230, v145
	ds_read2_b32 v[14:15], v14 offset1:1
	ds_read2_b32 v[16:17], v16 offset1:1
	;; [unrolled: 1-line block ×3, first 2 shown]
	s_waitcnt lgkmcnt(3)
	v_dot4c_i32_i8_e32 v18, v10, v12
	v_dot4c_i32_i8_e32 v18, v11, v13
	s_waitcnt lgkmcnt(2)
	v_dot4c_i32_i8_e32 v18, v14, v6
	v_dot4c_i32_i8_e32 v18, v15, v7
	;; [unrolled: 3-line block ×3, first 2 shown]
	v_bfe_u32 v6, v108, 8, 8
	v_lshrrev_b32_e32 v163, 24, v106
	v_cvt_f32_ubyte0_e32 v177, v113
	v_mul_lo_u32 v6, v18, v6
	v_cvt_f32_i32_e32 v188, v6
	ds_read_b128 v[18:21], v142 offset:64
	ds_read_b128 v[14:17], v142 offset:80
	;; [unrolled: 1-line block ×4, first 2 shown]
	ds_read2_b32 v[166:167], v145 offset0:50 offset1:51
	s_waitcnt lgkmcnt(4)
	v_dot4c_i32_i8_e32 v190, v114, v18
	v_dot4c_i32_i8_e32 v190, v115, v19
	ds_read2_b32 v[114:115], v145 offset0:52 offset1:53
	ds_read2_b32 v[168:169], v145 offset0:54 offset1:55
	;; [unrolled: 1-line block ×3, first 2 shown]
	v_cvt_f32_ubyte0_e32 v182, v111
	s_waitcnt lgkmcnt(3)
	v_dot4c_i32_i8_e32 v190, v166, v20
	v_mov_b32_e32 v166, 0
	v_dot4c_i32_i8_e32 v190, v167, v21
	s_waitcnt lgkmcnt(0)
	v_dot4c_i32_i8_e32 v166, v170, v10
	v_dot4c_i32_i8_e32 v166, v171, v11
	;; [unrolled: 1-line block ×10, first 2 shown]
	v_cvt_f32_f16_e32 v155, v4
	v_cvt_f32_f16_sdwa v115, v4 dst_sel:DWORD dst_unused:UNUSED_PAD src0_sel:WORD_1
	v_and_b32_e32 v4, 0xff, v106
	v_bfe_u32 v156, v106, 16, 8
	v_dot4c_i32_i8_e32 v166, v158, v8
	v_mul_lo_u32 v4, v161, v4
	v_mul_lo_u32 v156, v190, v156
	v_dot4c_i32_i8_e32 v166, v159, v9
	v_cvt_f32_f16_e32 v154, v2
	v_cvt_f32_i32_e32 v159, v156
	v_cvt_f32_i32_e32 v158, v4
	v_bfe_u32 v106, v106, 8, 8
	v_mul_lo_u32 v106, v172, v106
	v_cvt_f32_f16_sdwa v114, v2 dst_sel:DWORD dst_unused:UNUSED_PAD src0_sel:WORD_1
	v_pk_fma_f32 v[158:159], v[154:155], v[158:159], 0 op_sel_hi:[1,1,0]
	v_mul_lo_u32 v154, v166, v163
	v_cvt_f32_f16_e32 v157, v5
	v_cvt_f32_f16_e32 v156, v3
	v_cvt_f32_i32_e32 v167, v154
	v_cvt_f32_i32_e32 v166, v106
	v_cvt_f32_f16_sdwa v5, v5 dst_sel:DWORD dst_unused:UNUSED_PAD src0_sel:WORD_1
	v_cvt_f32_f16_sdwa v4, v3 dst_sel:DWORD dst_unused:UNUSED_PAD src0_sel:WORD_1
	v_cvt_f32_ubyte2_e32 v169, v107
	v_cvt_f32_ubyte0_e32 v168, v107
	v_cvt_f32_ubyte0_e32 v187, v109
	v_pk_fma_f32 v[168:169], v[114:115], v[168:169], 0 op_sel_hi:[1,1,0]
	v_pk_fma_f32 v[158:159], v[156:157], v[166:167], v[158:159]
	v_cvt_f32_ubyte3_e32 v167, v107
	v_cvt_f32_ubyte1_e32 v166, v107
	v_fma_mix_f32 v154, v2, v181, 0 op_sel_hi:[1,0,0]
	v_cvt_f32_ubyte1_e32 v189, v109
	v_pk_fma_f32 v[106:107], v[4:5], v[166:167], v[168:169]
	v_fma_mix_f32 v4, v2, v176, 0 op_sel_hi:[1,0,0]
	v_fma_mix_f32 v114, v2, v177, 0 op_sel:[1,0,0] op_sel_hi:[1,0,0]
	v_fma_mix_f32 v156, v2, v182, 0 op_sel:[1,0,0] op_sel_hi:[1,0,0]
	v_fma_mix_f32 v166, v3, v183, v154 op_sel_hi:[1,0,0]
	v_fma_mix_f32 v154, v2, v186, 0 op_sel_hi:[1,0,0]
	v_fma_mix_f32 v2, v2, v187, 0 op_sel:[1,0,0] op_sel_hi:[1,0,0]
	v_cvt_f32_ubyte1_e32 v179, v113
	v_cvt_f32_ubyte1_e32 v184, v111
	v_fma_mix_f32 v169, v3, v189, v2 op_sel:[1,0,0] op_sel_hi:[1,0,0]
	v_add_u32_e32 v2, 0x2148, v145
	v_fma_mix_f32 v4, v3, v178, v4 op_sel_hi:[1,0,0]
	v_fma_mix_f32 v114, v3, v179, v114 op_sel:[1,0,0] op_sel_hi:[1,0,0]
	v_fma_mix_f32 v167, v3, v184, v156 op_sel:[1,0,0] op_sel_hi:[1,0,0]
	v_fma_mix_f32 v168, v3, v188, v154 op_sel_hi:[1,0,0]
	ds_read2_b32 v[2:3], v2 offset1:1
	v_pk_mul_f32 v[106:107], v[106:107], v[162:163] op_sel_hi:[1,0]
	v_mov_b32_e32 v154, 0
	v_pk_fma_f32 v[106:107], v[158:159], v[160:161], v[106:107] op_sel_hi:[1,0,1] neg_lo:[0,0,1] neg_hi:[0,0,1]
	v_dot4c_i32_i8_e32 v154, v164, v18
	v_add_u32_e32 v156, 0x2150, v145
	v_add_u32_e32 v160, 0x2158, v145
	;; [unrolled: 1-line block ×3, first 2 shown]
	v_dot4c_i32_i8_e32 v154, v165, v19
	ds_read2_b32 v[158:159], v156 offset1:1
	ds_read2_b32 v[160:161], v160 offset1:1
	;; [unrolled: 1-line block ×3, first 2 shown]
	s_waitcnt lgkmcnt(3)
	v_dot4c_i32_i8_e32 v154, v2, v20
	v_dot4c_i32_i8_e32 v154, v3, v21
	s_waitcnt lgkmcnt(2)
	v_dot4c_i32_i8_e32 v154, v158, v14
	v_dot4c_i32_i8_e32 v154, v159, v15
	;; [unrolled: 3-line block ×3, first 2 shown]
	v_bfe_u32 v2, v112, 16, 8
	v_lshrrev_b32_e32 v175, 24, v112
	v_mov_b32_e32 v112, 0
	v_mul_lo_u32 v2, v154, v2
	v_add_u32_e32 v154, 0x2168, v145
	ds_read2_b32 v[158:159], v154 offset1:1
	s_waitcnt lgkmcnt(1)
	v_dot4c_i32_i8_e32 v112, v162, v10
	v_add_u32_e32 v156, 0x2170, v145
	v_add_u32_e32 v162, 0x2178, v145
	v_dot4c_i32_i8_e32 v112, v163, v11
	v_add_u32_e32 v154, 0x41c0, v145
	ds_read2_b32 v[160:161], v156 offset1:1
	ds_read2_b32 v[162:163], v162 offset1:1
	;; [unrolled: 1-line block ×3, first 2 shown]
	s_waitcnt lgkmcnt(3)
	v_dot4c_i32_i8_e32 v112, v158, v12
	v_dot4c_i32_i8_e32 v112, v159, v13
	s_waitcnt lgkmcnt(2)
	v_dot4c_i32_i8_e32 v112, v160, v6
	v_dot4c_i32_i8_e32 v112, v161, v7
	s_waitcnt lgkmcnt(1)
	v_dot4c_i32_i8_e32 v112, v162, v8
	v_cvt_f32_f16_sdwa v159, v173 dst_sel:DWORD dst_unused:UNUSED_PAD src0_sel:WORD_1
	v_dot4c_i32_i8_e32 v112, v163, v9
	v_cvt_f32_i32_e32 v2, v2
	v_cvt_f32_f16_e32 v158, v173
	v_mul_f32_e32 v114, v114, v159
	v_mul_lo_u32 v112, v112, v175
	v_cvt_f32_i32_e32 v112, v112
	v_cvt_f32_ubyte2_e32 v3, v113
	v_fma_mix_f32 v161, v4, v173, -v114 op_sel_hi:[0,1,0]
	v_mov_b32_e32 v114, v155
	v_cvt_f32_ubyte3_e32 v113, v113
	v_pk_fma_f32 v[2:3], v[114:115], v[2:3], 0 op_sel_hi:[1,1,0]
	v_mov_b32_e32 v4, v157
	v_pk_fma_f32 v[2:3], v[4:5], v[112:113], v[2:3]
	v_mov_b32_e32 v160, v106
	v_pk_mul_f32 v[112:113], v[2:3], v[158:159]
	v_pk_add_f32 v[104:105], v[104:105], v[160:161]
	v_mov_b32_e32 v113, v112
	v_pk_fma_f32 v[2:3], v[2:3], v[158:159], v[112:113] neg_lo:[1,0,0] neg_hi:[1,0,0]
	v_mov_b32_e32 v156, 0
	v_mov_b32_e32 v2, v107
	v_pk_add_f32 v[104:105], v[104:105], v[2:3]
	v_add_u32_e32 v2, 0x41c8, v145
	ds_read2_b32 v[2:3], v2 offset1:1
	s_waitcnt lgkmcnt(1)
	v_dot4c_i32_i8_e32 v156, v164, v18
	v_add_u32_e32 v106, 0x41d0, v145
	v_add_u32_e32 v112, 0x41d8, v145
	;; [unrolled: 1-line block ×3, first 2 shown]
	v_dot4c_i32_i8_e32 v156, v165, v19
	ds_read2_b32 v[106:107], v106 offset1:1
	ds_read2_b32 v[112:113], v112 offset1:1
	;; [unrolled: 1-line block ×3, first 2 shown]
	s_waitcnt lgkmcnt(3)
	v_dot4c_i32_i8_e32 v156, v2, v20
	v_dot4c_i32_i8_e32 v156, v3, v21
	s_waitcnt lgkmcnt(2)
	v_dot4c_i32_i8_e32 v156, v106, v14
	v_add_u32_e32 v106, 0x41e8, v145
	v_dot4c_i32_i8_e32 v156, v107, v15
	ds_read2_b32 v[106:107], v106 offset1:1
	s_waitcnt lgkmcnt(2)
	v_dot4c_i32_i8_e32 v156, v112, v16
	v_lshrrev_b32_e32 v180, 24, v110
	v_dot4c_i32_i8_e32 v156, v113, v17
	v_bfe_u32 v2, v110, 16, 8
	v_mov_b32_e32 v110, 0
	s_waitcnt lgkmcnt(1)
	v_dot4c_i32_i8_e32 v110, v154, v10
	v_mul_lo_u32 v2, v156, v2
	v_add_u32_e32 v112, 0x41f0, v145
	v_add_u32_e32 v154, 0x41f8, v145
	;; [unrolled: 1-line block ×3, first 2 shown]
	v_dot4c_i32_i8_e32 v110, v155, v11
	ds_read2_b32 v[112:113], v112 offset1:1
	ds_read2_b32 v[154:155], v154 offset1:1
	;; [unrolled: 1-line block ×3, first 2 shown]
	s_waitcnt lgkmcnt(3)
	v_dot4c_i32_i8_e32 v110, v106, v12
	v_dot4c_i32_i8_e32 v110, v107, v13
	s_waitcnt lgkmcnt(2)
	v_dot4c_i32_i8_e32 v110, v112, v6
	v_dot4c_i32_i8_e32 v110, v113, v7
	;; [unrolled: 3-line block ×3, first 2 shown]
	v_cvt_f32_i32_e32 v2, v2
	v_cvt_f32_f16_sdwa v107, v174 dst_sel:DWORD dst_unused:UNUSED_PAD src0_sel:WORD_1
	v_cvt_f32_ubyte2_e32 v3, v111
	v_mul_lo_u32 v106, v110, v180
	v_cvt_f32_i32_e32 v110, v106
	v_cvt_f32_f16_e32 v106, v174
	v_cvt_f32_ubyte3_e32 v111, v111
	v_pk_fma_f32 v[2:3], v[114:115], v[2:3], 0 op_sel_hi:[1,1,0]
	v_mul_f32_e32 v112, v167, v107
	v_pk_fma_f32 v[2:3], v[4:5], v[110:111], v[2:3]
	v_fma_mix_f32 v112, v166, v174, -v112 op_sel_hi:[0,1,0]
	v_pk_mul_f32 v[2:3], v[2:3], v[106:107]
	v_add_f32_e32 v25, v25, v112
	v_sub_f32_e32 v2, v2, v3
	v_add_f32_e32 v25, v25, v2
	v_add_u32_e32 v2, 0x6248, v145
	ds_read2_b32 v[2:3], v2 offset1:1
	v_mov_b32_e32 v112, 0
	s_waitcnt lgkmcnt(1)
	v_dot4c_i32_i8_e32 v112, v156, v18
	v_add_u32_e32 v18, 0x6250, v145
	v_add_u32_e32 v106, 0x6258, v145
	;; [unrolled: 1-line block ×3, first 2 shown]
	v_dot4c_i32_i8_e32 v112, v157, v19
	ds_read2_b32 v[18:19], v18 offset1:1
	ds_read2_b32 v[106:107], v106 offset1:1
	;; [unrolled: 1-line block ×3, first 2 shown]
	s_waitcnt lgkmcnt(3)
	v_dot4c_i32_i8_e32 v112, v2, v20
	v_dot4c_i32_i8_e32 v112, v3, v21
	s_waitcnt lgkmcnt(2)
	v_dot4c_i32_i8_e32 v112, v18, v14
	v_mov_b32_e32 v18, 0
	s_waitcnt lgkmcnt(0)
	v_dot4c_i32_i8_e32 v18, v110, v10
	v_add_u32_e32 v10, 0x6268, v145
	v_dot4c_i32_i8_e32 v18, v111, v11
	ds_read2_b32 v[10:11], v10 offset1:1
	v_add_u32_e32 v14, 0x6270, v145
	v_dot4c_i32_i8_e32 v112, v19, v15
	ds_read2_b32 v[14:15], v14 offset1:1
	v_dot4c_i32_i8_e32 v112, v106, v16
	v_add_u32_e32 v16, 0x6278, v145
	v_dot4c_i32_i8_e32 v112, v107, v17
	ds_read2_b32 v[16:17], v16 offset1:1
	s_waitcnt lgkmcnt(2)
	v_dot4c_i32_i8_e32 v18, v10, v12
	v_dot4c_i32_i8_e32 v18, v11, v13
	s_waitcnt lgkmcnt(1)
	v_dot4c_i32_i8_e32 v18, v14, v6
	v_dot4c_i32_i8_e32 v18, v15, v7
	v_bfe_u32 v2, v108, 16, 8
	s_waitcnt lgkmcnt(0)
	v_dot4c_i32_i8_e32 v18, v16, v8
	v_lshrrev_b32_e32 v185, 24, v108
	v_mul_lo_u32 v2, v112, v2
	v_dot4c_i32_i8_e32 v18, v17, v9
	v_cvt_f32_i32_e32 v2, v2
	v_cvt_f32_f16_sdwa v7, v23 dst_sel:DWORD dst_unused:UNUSED_PAD src0_sel:WORD_1
	v_cvt_f32_ubyte2_e32 v3, v109
	v_mul_lo_u32 v6, v18, v185
	v_cvt_f32_i32_e32 v8, v6
	v_cvt_f32_f16_e32 v6, v23
	v_cvt_f32_ubyte3_e32 v9, v109
	v_pk_fma_f32 v[2:3], v[114:115], v[2:3], 0 op_sel_hi:[1,1,0]
	v_mul_f32_e32 v10, v169, v7
	v_pk_fma_f32 v[2:3], v[4:5], v[8:9], v[2:3]
	v_fma_mix_f32 v10, v168, v23, -v10 op_sel_hi:[0,1,0]
	v_pk_mul_f32 v[2:3], v[2:3], v[6:7]
	v_add_f32_e32 v10, v24, v10
	v_sub_f32_e32 v2, v2, v3
	v_add_f32_e32 v24, v10, v2
	s_barrier
.LBB213_5:                              ;   in Loop: Header=BB213_6 Depth=1
	s_add_i32 s25, s25, -1
	s_addk_i32 s14, 0x100
	v_add_u32_e32 v22, 8, v22
	v_add_u32_e32 v147, 8, v147
	;; [unrolled: 1-line block ×3, first 2 shown]
	v_lshl_add_u64 v[30:31], v[30:31], 0, s[8:9]
	v_lshl_add_u64 v[32:33], v[32:33], 0, s[8:9]
	;; [unrolled: 1-line block ×36, first 2 shown]
	s_cmp_eq_u32 s25, 0
	v_lshl_add_u64 v[102:103], v[102:103], 0, s[8:9]
	s_cbranch_scc1 .LBB213_20
.LBB213_6:                              ; =>This Inner Loop Header: Depth=1
	v_lshl_add_u64 v[2:3], v[32:33], 0, s[16:17]
	global_load_dword v12, v[2:3], off
	v_lshl_add_u64 v[2:3], v[30:31], 0, s[16:17]
	global_load_dword v13, v[2:3], off
	;; [unrolled: 2-line block ×12, first 2 shown]
	v_lshl_add_u64 v[2:3], v[56:57], 0, s[16:17]
	v_lshl_add_u64 v[4:5], v[54:55], 0, s[16:17]
	global_load_dword v107, v[2:3], off
	global_load_dword v108, v[4:5], off
	v_lshl_add_u64 v[6:7], v[60:61], 0, s[16:17]
	v_lshl_add_u64 v[8:9], v[58:59], 0, s[16:17]
	;; [unrolled: 1-line block ×5, first 2 shown]
	global_load_dword v6, v[6:7], off
	s_nop 0
	global_load_dword v7, v[8:9], off
	s_nop 0
	global_load_dword v8, v[2:3], off
	global_load_dword v9, v[10:11], off
	s_nop 0
	global_load_dword v4, v[4:5], off
	s_add_i32 s2, s14, 0xffffff80
	s_cmp_lt_i32 s2, s15
	s_waitcnt vmcnt(18)
	v_lshrrev_b32_e32 v3, 4, v12
	v_and_b32_e32 v2, 0xf0f0f0f, v12
	s_waitcnt vmcnt(17)
	v_ashrrev_i32_e32 v5, v116, v13
	v_ashrrev_i32_e32 v10, v117, v13
	s_waitcnt vmcnt(16)
	v_and_b32_e32 v11, 0xf0f0f0f, v14
	v_lshrrev_b32_e32 v12, 4, v14
	s_waitcnt vmcnt(15)
	v_ashrrev_i32_e32 v13, v116, v15
	v_ashrrev_i32_e32 v14, v117, v15
	s_waitcnt vmcnt(14)
	v_and_b32_e32 v15, 0xf0f0f0f, v16
	v_lshrrev_b32_e32 v16, 4, v16
	;; [unrolled: 6-line block ×3, first 2 shown]
	s_waitcnt vmcnt(11)
	v_ashrrev_i32_e32 v111, v116, v19
	v_ashrrev_i32_e32 v19, v117, v19
	v_and_b32_e32 v3, 0xf0f0f0f, v3
	v_lshlrev_b32_e32 v5, 4, v5
	v_lshlrev_b32_e32 v10, 4, v10
	s_waitcnt vmcnt(10)
	v_and_b32_e32 v112, 0xf0f0f0f, v20
	v_lshrrev_b32_e32 v20, 4, v20
	s_waitcnt vmcnt(9)
	v_ashrrev_i32_e32 v113, v116, v21
	v_ashrrev_i32_e32 v21, v117, v21
	v_and_b32_e32 v12, 0xf0f0f0f, v12
	v_lshlrev_b32_e32 v13, 4, v13
	v_lshlrev_b32_e32 v14, 4, v14
	v_and_b32_e32 v16, 0xf0f0f0f, v16
	v_lshlrev_b32_e32 v109, 4, v109
	v_lshlrev_b32_e32 v17, 4, v17
	;; [unrolled: 3-line block ×3, first 2 shown]
	v_and_or_b32 v2, v5, s22, v2
	v_and_or_b32 v3, v10, s22, v3
	v_and_b32_e32 v20, 0xf0f0f0f, v20
	v_lshlrev_b32_e32 v113, 4, v113
	v_lshlrev_b32_e32 v21, 4, v21
	v_and_or_b32 v5, v13, s22, v11
	v_and_or_b32 v10, v14, s22, v12
	;; [unrolled: 1-line block ×6, first 2 shown]
	ds_write2_b32 v118, v2, v3 offset1:8
	ds_write2_b32 v119, v5, v10 offset1:8
	;; [unrolled: 1-line block ×4, first 2 shown]
	v_lshl_add_u64 v[2:3], v[66:67], 0, s[16:17]
	v_and_or_b32 v5, v113, s22, v112
	global_load_dword v10, v[2:3], off
	v_and_or_b32 v2, v21, s22, v20
	ds_write2_b32 v122, v5, v2 offset1:8
	s_waitcnt vmcnt(9)
	v_lshrrev_b32_e32 v2, 4, v23
	v_and_b32_e32 v11, 0xf0f0f0f, v2
	v_lshl_add_u64 v[2:3], v[72:73], 0, s[16:17]
	global_load_dword v12, v[2:3], off
	v_lshl_add_u64 v[2:3], v[70:71], 0, s[16:17]
	s_waitcnt vmcnt(9)
	v_ashrrev_i32_e32 v13, v116, v106
	global_load_dword v14, v[2:3], off
	v_ashrrev_i32_e32 v3, v117, v106
	v_and_b32_e32 v5, 0xf0f0f0f, v23
	v_lshlrev_b32_e32 v2, 4, v13
	v_lshlrev_b32_e32 v3, 4, v3
	v_and_or_b32 v5, v2, s22, v5
	v_and_or_b32 v11, v3, s22, v11
	v_lshl_add_u64 v[2:3], v[76:77], 0, s[16:17]
	global_load_dword v13, v[2:3], off
	v_lshl_add_u64 v[2:3], v[74:75], 0, s[16:17]
	ds_write2_b32 v123, v5, v11 offset1:8
	global_load_dword v5, v[2:3], off
	s_waitcnt vmcnt(11)
	v_lshrrev_b32_e32 v2, 4, v107
	v_and_b32_e32 v15, 0xf0f0f0f, v2
	s_waitcnt vmcnt(10)
	v_ashrrev_i32_e32 v2, v116, v108
	v_lshlrev_b32_e32 v16, 4, v2
	v_lshl_add_u64 v[2:3], v[80:81], 0, s[16:17]
	global_load_dword v17, v[2:3], off
	v_ashrrev_i32_e32 v18, v117, v108
	v_lshl_add_u64 v[2:3], v[78:79], 0, s[16:17]
	v_and_b32_e32 v11, 0xf0f0f0f, v107
	global_load_dword v19, v[2:3], off
	v_lshlrev_b32_e32 v2, 4, v18
	v_and_or_b32 v3, v16, s22, v11
	v_and_or_b32 v2, v2, s22, v15
	ds_write2_b32 v124, v3, v2 offset1:8
	v_lshl_add_u64 v[2:3], v[84:85], 0, s[16:17]
	global_load_dword v15, v[2:3], off
	v_lshl_add_u64 v[2:3], v[82:83], 0, s[16:17]
	global_load_dword v16, v[2:3], off
	s_waitcnt vmcnt(12)
	v_ashrrev_i32_e32 v2, v116, v7
	v_lshlrev_b32_e32 v18, 4, v2
	v_ashrrev_i32_e32 v2, v117, v7
	v_and_b32_e32 v11, 0xf0f0f0f, v6
	v_lshrrev_b32_e32 v6, 4, v6
	v_lshlrev_b32_e32 v7, 4, v2
	v_lshl_add_u64 v[2:3], v[88:89], 0, s[16:17]
	v_and_b32_e32 v6, 0xf0f0f0f, v6
	global_load_dword v20, v[2:3], off
	v_lshl_add_u64 v[2:3], v[86:87], 0, s[16:17]
	v_and_or_b32 v11, v18, s22, v11
	global_load_dword v18, v[2:3], off
	v_and_or_b32 v2, v7, s22, v6
	ds_write2_b32 v125, v11, v2 offset1:8
	s_waitcnt vmcnt(13)
	v_lshrrev_b32_e32 v2, 4, v8
	v_and_b32_e32 v7, 0xf0f0f0f, v2
	v_lshl_add_u64 v[2:3], v[92:93], 0, s[16:17]
	v_and_b32_e32 v6, 0xf0f0f0f, v8
	global_load_dword v8, v[2:3], off
	s_waitcnt vmcnt(13)
	v_ashrrev_i32_e32 v11, v116, v9
	v_lshl_add_u64 v[2:3], v[90:91], 0, s[16:17]
	global_load_dword v21, v[2:3], off
	v_lshlrev_b32_e32 v2, 4, v11
	v_ashrrev_i32_e32 v3, v117, v9
	v_lshlrev_b32_e32 v9, 4, v3
	v_and_or_b32 v6, v2, s22, v6
	v_lshl_add_u64 v[2:3], v[94:95], 0, s[16:17]
	global_load_dword v11, v[2:3], off
	v_lshl_add_u64 v[2:3], v[96:97], 0, s[16:17]
	global_load_dword v23, v[2:3], off
	;; [unrolled: 2-line block ×3, first 2 shown]
	v_lshl_add_u64 v[2:3], v[100:101], 0, s[16:17]
	v_and_or_b32 v7, v9, s22, v7
	global_load_dword v9, v[2:3], off
	v_lshl_add_u64 v[2:3], v[102:103], 0, s[16:17]
	global_load_dword v2, v[2:3], off
	ds_write2_b32 v126, v6, v7 offset1:8
	s_waitcnt vmcnt(18)
	v_and_b32_e32 v3, 0xf0f0f0f, v4
	v_lshrrev_b32_e32 v4, 4, v4
	v_and_b32_e32 v4, 0xf0f0f0f, v4
	s_waitcnt vmcnt(17)
	v_ashrrev_i32_e32 v6, v116, v10
	v_ashrrev_i32_e32 v7, v117, v10
	v_lshlrev_b32_e32 v6, 4, v6
	v_lshlrev_b32_e32 v7, 4, v7
	v_and_or_b32 v3, v6, s22, v3
	v_and_or_b32 v4, v7, s22, v4
	ds_write2_b32 v127, v3, v4 offset1:8
	s_waitcnt vmcnt(16)
	v_lshrrev_b32_e32 v4, 4, v12
	v_and_b32_e32 v3, 0xf0f0f0f, v12
	s_waitcnt vmcnt(15)
	v_ashrrev_i32_e32 v6, v116, v14
	v_ashrrev_i32_e32 v7, v117, v14
	v_and_b32_e32 v4, 0xf0f0f0f, v4
	v_lshlrev_b32_e32 v6, 4, v6
	v_lshlrev_b32_e32 v7, 4, v7
	v_and_or_b32 v3, v6, s22, v3
	v_and_or_b32 v4, v7, s22, v4
	ds_write2_b32 v128, v3, v4 offset1:8
	s_waitcnt vmcnt(14)
	v_lshrrev_b32_e32 v4, 4, v13
	v_and_b32_e32 v3, 0xf0f0f0f, v13
	v_and_b32_e32 v4, 0xf0f0f0f, v4
	s_waitcnt vmcnt(13)
	v_ashrrev_i32_e32 v6, v116, v5
	v_ashrrev_i32_e32 v5, v117, v5
	v_lshlrev_b32_e32 v6, 4, v6
	v_lshlrev_b32_e32 v5, 4, v5
	v_and_or_b32 v3, v6, s22, v3
	v_and_or_b32 v4, v5, s22, v4
	ds_write2_b32 v129, v3, v4 offset1:8
	s_waitcnt vmcnt(12)
	v_lshrrev_b32_e32 v4, 4, v17
	v_and_b32_e32 v3, 0xf0f0f0f, v17
	v_and_b32_e32 v4, 0xf0f0f0f, v4
	s_waitcnt vmcnt(11)
	v_ashrrev_i32_e32 v5, v116, v19
	v_ashrrev_i32_e32 v6, v117, v19
	v_lshlrev_b32_e32 v5, 4, v5
	v_lshlrev_b32_e32 v6, 4, v6
	v_and_or_b32 v3, v5, s22, v3
	v_and_or_b32 v4, v6, s22, v4
	ds_write2_b32 v130, v3, v4 offset1:8
	s_waitcnt vmcnt(10)
	v_lshrrev_b32_e32 v4, 4, v15
	s_waitcnt vmcnt(9)
	v_ashrrev_i32_e32 v5, v116, v16
	v_ashrrev_i32_e32 v6, v117, v16
	v_and_b32_e32 v3, 0xf0f0f0f, v15
	v_and_b32_e32 v4, 0xf0f0f0f, v4
	v_lshlrev_b32_e32 v5, 4, v5
	v_lshlrev_b32_e32 v6, 4, v6
	v_and_or_b32 v3, v5, s22, v3
	v_and_or_b32 v4, v6, s22, v4
	ds_write2_b32 v131, v3, v4 offset1:8
	s_waitcnt vmcnt(8)
	v_lshrrev_b32_e32 v4, 4, v20
	v_and_b32_e32 v3, 0xf0f0f0f, v20
	v_and_b32_e32 v4, 0xf0f0f0f, v4
	s_waitcnt vmcnt(7)
	v_ashrrev_i32_e32 v5, v116, v18
	v_ashrrev_i32_e32 v6, v117, v18
	v_lshlrev_b32_e32 v5, 4, v5
	v_lshlrev_b32_e32 v6, 4, v6
	v_and_or_b32 v3, v5, s22, v3
	v_and_or_b32 v4, v6, s22, v4
	ds_write2_b32 v132, v3, v4 offset1:8
	s_waitcnt vmcnt(6)
	v_lshrrev_b32_e32 v4, 4, v8
	v_and_b32_e32 v3, 0xf0f0f0f, v8
	v_and_b32_e32 v4, 0xf0f0f0f, v4
	s_waitcnt vmcnt(5)
	v_ashrrev_i32_e32 v5, v116, v21
	v_ashrrev_i32_e32 v6, v117, v21
	v_lshlrev_b32_e32 v5, 4, v5
	v_lshlrev_b32_e32 v6, 4, v6
	v_and_or_b32 v3, v5, s22, v3
	v_and_or_b32 v4, v6, s22, v4
	ds_write2_b32 v133, v3, v4 offset1:8
	s_waitcnt vmcnt(4)
	ds_write_b32 v134, v11
	s_waitcnt vmcnt(3)
	v_ashrrev_i32_e32 v3, v135, v23
	v_and_b32_e32 v3, 0xf0f0f0f, v3
	s_waitcnt vmcnt(2)
	v_ashrrev_i32_e32 v4, v136, v106
	v_and_or_b32 v3, v4, s23, v3
	ds_write_b32 v137, v3
	s_waitcnt vmcnt(1)
	v_ashrrev_i32_e32 v3, v135, v9
	v_and_b32_e32 v3, 0xf0f0f0f, v3
	s_waitcnt vmcnt(0)
	v_ashrrev_i32_e32 v2, v136, v2
	v_and_or_b32 v2, v2, s23, v3
	ds_write_b32 v138, v2
	s_cbranch_scc0 .LBB213_5
; %bb.7:                                ;   in Loop: Header=BB213_6 Depth=1
	v_cmp_gt_i32_e64 s[2:3], s5, v141
	s_and_b64 s[20:21], s[0:1], s[2:3]
	s_and_saveexec_b64 s[2:3], s[20:21]
	s_cbranch_execz .LBB213_9
; %bb.8:                                ;   in Loop: Header=BB213_6 Depth=1
	v_add_u32_e32 v2, v28, v141
	v_mad_i64_i32 v[2:3], s[20:21], v2, 36, v[26:27]
	global_load_dword v2, v[2:3], off offset:4
	s_waitcnt vmcnt(0)
	ds_write_b32 v139, v2
.LBB213_9:                              ;   in Loop: Header=BB213_6 Depth=1
	s_or_b64 exec, exec, s[2:3]
	s_and_saveexec_b64 s[20:21], vcc
	s_cbranch_execz .LBB213_12
; %bb.10:                               ;   in Loop: Header=BB213_6 Depth=1
	v_cmp_gt_i32_e64 s[2:3], s5, v22
	s_and_b64 s[2:3], s[0:1], s[2:3]
	s_and_b64 exec, exec, s[2:3]
	s_cbranch_execz .LBB213_12
; %bb.11:                               ;   in Loop: Header=BB213_6 Depth=1
	v_add_u32_e32 v2, v28, v22
	v_mad_i64_i32 v[2:3], s[2:3], v2, 36, s[10:11]
	global_load_dword v2, v[2:3], off
	s_waitcnt vmcnt(0)
	ds_write_b32 v140, v2
.LBB213_12:                             ;   in Loop: Header=BB213_6 Depth=1
	s_or_b64 exec, exec, s[20:21]
	s_waitcnt lgkmcnt(0)
	s_barrier
	ds_read_b128 v[18:21], v142
	ds_read_b128 v[14:17], v142 offset:16
	ds_read_b128 v[2:5], v143 offset:36944
	ds_read2_b32 v[106:107], v145 offset1:1
	ds_read_b128 v[10:13], v142 offset:32
	ds_read_b128 v[6:9], v142 offset:48
	ds_read_b32 v23, v146
	ds_read2_b32 v[108:109], v145 offset0:2 offset1:3
	v_mov_b32_e32 v161, 0
	s_waitcnt lgkmcnt(4)
	v_dot4c_i32_i8_e32 v161, v106, v18
	v_dot4c_i32_i8_e32 v161, v107, v19
	ds_read2_b32 v[110:111], v145 offset0:4 offset1:5
	ds_read2_b32 v[112:113], v145 offset0:6 offset1:7
	;; [unrolled: 1-line block ×3, first 2 shown]
	s_waitcnt lgkmcnt(3)
	v_dot4c_i32_i8_e32 v161, v108, v20
	v_dot4c_i32_i8_e32 v161, v109, v21
	ds_read2_b32 v[108:109], v145 offset0:10 offset1:11
	v_mov_b32_e32 v172, 0
	s_waitcnt lgkmcnt(3)
	v_dot4c_i32_i8_e32 v161, v110, v14
	s_waitcnt lgkmcnt(1)
	v_dot4c_i32_i8_e32 v172, v114, v10
	v_dot4c_i32_i8_e32 v161, v111, v15
	;; [unrolled: 1-line block ×4, first 2 shown]
	s_waitcnt lgkmcnt(0)
	v_dot4c_i32_i8_e32 v172, v108, v12
	v_cvt_f32_f16_e32 v160, v23
	v_cvt_f32_f16_sdwa v162, v23 dst_sel:DWORD dst_unused:UNUSED_PAD src0_sel:WORD_1
	v_add_u32_e32 v23, 0x2080, v145
	ds_read2_b32 v[106:107], v144 offset1:2
	v_dot4c_i32_i8_e32 v161, v113, v17
	ds_read2_b32 v[110:111], v145 offset0:12 offset1:13
	ds_read2_b32 v[112:113], v145 offset0:14 offset1:15
	;; [unrolled: 1-line block ×3, first 2 shown]
	v_dot4c_i32_i8_e32 v172, v109, v13
	ds_read2_b32 v[154:155], v145 offset0:26 offset1:27
	ds_read2_b32 v[156:157], v145 offset0:28 offset1:29
	;; [unrolled: 1-line block ×3, first 2 shown]
	ds_read2_b32 v[108:109], v23 offset1:1
	v_mov_b32_e32 v168, 0
	ds_read_b32 v173, v149 offset:128
	ds_read_b32 v174, v151 offset:256
	;; [unrolled: 1-line block ×3, first 2 shown]
	s_waitcnt lgkmcnt(9)
	v_dot4c_i32_i8_e32 v172, v110, v6
	v_dot4c_i32_i8_e32 v172, v111, v7
	s_waitcnt lgkmcnt(3)
	v_dot4c_i32_i8_e32 v168, v108, v18
	v_add_u32_e32 v108, 0x2088, v145
	v_dot4c_i32_i8_e32 v168, v109, v19
	ds_read2_b32 v[108:109], v108 offset1:1
	v_dot4c_i32_i8_e32 v172, v112, v8
	v_add_u32_e32 v110, 0x2090, v145
	v_dot4c_i32_i8_e32 v172, v113, v9
	v_add_u32_e32 v112, 0x2098, v145
	v_add_u32_e32 v113, 0x20a0, v145
	ds_read2_b32 v[110:111], v110 offset1:1
	ds_read2_b32 v[164:165], v112 offset1:1
	ds_read2_b32 v[166:167], v113 offset1:1
	s_waitcnt lgkmcnt(3)
	v_dot4c_i32_i8_e32 v168, v108, v20
	ds_read2_b32 v[112:113], v148 offset1:2
	v_dot4c_i32_i8_e32 v168, v109, v21
	s_waitcnt lgkmcnt(3)
	v_dot4c_i32_i8_e32 v168, v110, v14
	v_dot4c_i32_i8_e32 v168, v111, v15
	s_waitcnt lgkmcnt(2)
	v_dot4c_i32_i8_e32 v168, v164, v16
	v_dot4c_i32_i8_e32 v168, v165, v17
	s_waitcnt lgkmcnt(0)
	v_and_b32_e32 v108, 0xff, v112
	v_add_u32_e32 v110, 0x20b0, v145
	v_add_u32_e32 v164, 0x20b8, v145
	v_mul_lo_u32 v108, v168, v108
	v_cvt_f32_i32_e32 v176, v108
	v_add_u32_e32 v108, 0x20a8, v145
	ds_read2_b32 v[108:109], v108 offset1:1
	v_mov_b32_e32 v168, 0
	v_dot4c_i32_i8_e32 v168, v166, v10
	v_add_u32_e32 v166, 0x4100, v145
	v_dot4c_i32_i8_e32 v168, v167, v11
	ds_read2_b32 v[110:111], v110 offset1:1
	ds_read2_b32 v[164:165], v164 offset1:1
	;; [unrolled: 1-line block ×3, first 2 shown]
	s_waitcnt lgkmcnt(3)
	v_dot4c_i32_i8_e32 v168, v108, v12
	v_dot4c_i32_i8_e32 v168, v109, v13
	s_waitcnt lgkmcnt(2)
	v_dot4c_i32_i8_e32 v168, v110, v6
	v_dot4c_i32_i8_e32 v168, v111, v7
	;; [unrolled: 3-line block ×3, first 2 shown]
	v_bfe_u32 v108, v112, 8, 8
	v_mov_b32_e32 v170, 0
	s_waitcnt lgkmcnt(0)
	v_dot4c_i32_i8_e32 v170, v166, v18
	v_mul_lo_u32 v108, v168, v108
	v_cvt_f32_i32_e32 v178, v108
	v_add_u32_e32 v108, 0x4108, v145
	ds_read2_b32 v[108:109], v108 offset1:1
	v_add_u32_e32 v110, 0x4110, v145
	v_add_u32_e32 v168, 0x4120, v145
	v_dot4c_i32_i8_e32 v170, v167, v19
	v_add_u32_e32 v111, 0x4118, v145
	ds_read2_b32 v[164:165], v110 offset1:1
	ds_read2_b32 v[166:167], v111 offset1:1
	;; [unrolled: 1-line block ×3, first 2 shown]
	s_waitcnt lgkmcnt(3)
	v_dot4c_i32_i8_e32 v170, v108, v20
	ds_read2_b32 v[110:111], v150 offset1:2
	v_dot4c_i32_i8_e32 v170, v109, v21
	s_waitcnt lgkmcnt(3)
	v_dot4c_i32_i8_e32 v170, v164, v14
	v_dot4c_i32_i8_e32 v170, v165, v15
	s_waitcnt lgkmcnt(2)
	v_dot4c_i32_i8_e32 v170, v166, v16
	v_dot4c_i32_i8_e32 v170, v167, v17
	s_waitcnt lgkmcnt(0)
	v_and_b32_e32 v108, 0xff, v110
	v_add_u32_e32 v164, 0x4130, v145
	v_add_u32_e32 v166, 0x4138, v145
	v_mul_lo_u32 v108, v170, v108
	v_cvt_f32_i32_e32 v181, v108
	v_add_u32_e32 v108, 0x4128, v145
	ds_read2_b32 v[108:109], v108 offset1:1
	v_mov_b32_e32 v170, 0
	v_dot4c_i32_i8_e32 v170, v168, v10
	v_add_u32_e32 v168, 0x6180, v145
	v_dot4c_i32_i8_e32 v170, v169, v11
	ds_read2_b32 v[164:165], v164 offset1:1
	ds_read2_b32 v[166:167], v166 offset1:1
	;; [unrolled: 1-line block ×3, first 2 shown]
	s_waitcnt lgkmcnt(3)
	v_dot4c_i32_i8_e32 v170, v108, v12
	v_dot4c_i32_i8_e32 v170, v109, v13
	s_waitcnt lgkmcnt(2)
	v_dot4c_i32_i8_e32 v170, v164, v6
	v_dot4c_i32_i8_e32 v170, v165, v7
	;; [unrolled: 3-line block ×3, first 2 shown]
	v_bfe_u32 v108, v110, 8, 8
	v_add_u32_e32 v109, 0x6198, v145
	v_mov_b32_e32 v190, 0
	v_mul_lo_u32 v108, v170, v108
	v_mov_b32_e32 v170, 0
	s_waitcnt lgkmcnt(0)
	v_dot4c_i32_i8_e32 v170, v168, v18
	v_add_u32_e32 v18, 0x6188, v145
	v_dot4c_i32_i8_e32 v170, v169, v19
	ds_read2_b32 v[18:19], v18 offset1:1
	v_cvt_f32_i32_e32 v183, v108
	v_add_u32_e32 v108, 0x6190, v145
	v_add_u32_e32 v168, 0x61a0, v145
	ds_read2_b32 v[164:165], v108 offset1:1
	ds_read2_b32 v[166:167], v109 offset1:1
	;; [unrolled: 1-line block ×3, first 2 shown]
	s_waitcnt lgkmcnt(3)
	v_dot4c_i32_i8_e32 v170, v18, v20
	ds_read2_b32 v[108:109], v152 offset1:2
	v_dot4c_i32_i8_e32 v170, v19, v21
	s_waitcnt lgkmcnt(3)
	v_dot4c_i32_i8_e32 v170, v164, v14
	v_mov_b32_e32 v18, 0
	v_dot4c_i32_i8_e32 v170, v165, v15
	s_waitcnt lgkmcnt(1)
	v_dot4c_i32_i8_e32 v18, v168, v10
	v_add_u32_e32 v10, 0x61a8, v145
	v_dot4c_i32_i8_e32 v170, v166, v16
	v_dot4c_i32_i8_e32 v18, v169, v11
	ds_read2_b32 v[10:11], v10 offset1:1
	v_dot4c_i32_i8_e32 v170, v167, v17
	s_waitcnt lgkmcnt(1)
	v_and_b32_e32 v14, 0xff, v108
	v_add_u32_e32 v16, 0x61b8, v145
	v_add_u32_e32 v19, 0x20c0, v145
	v_mul_lo_u32 v14, v170, v14
	v_cvt_f32_i32_e32 v186, v14
	v_add_u32_e32 v14, 0x61b0, v145
	ds_read2_b32 v[14:15], v14 offset1:1
	ds_read2_b32 v[16:17], v16 offset1:1
	;; [unrolled: 1-line block ×3, first 2 shown]
	s_waitcnt lgkmcnt(3)
	v_dot4c_i32_i8_e32 v18, v10, v12
	v_dot4c_i32_i8_e32 v18, v11, v13
	s_waitcnt lgkmcnt(2)
	v_dot4c_i32_i8_e32 v18, v14, v6
	v_dot4c_i32_i8_e32 v18, v15, v7
	s_waitcnt lgkmcnt(1)
	v_dot4c_i32_i8_e32 v18, v16, v8
	v_dot4c_i32_i8_e32 v18, v17, v9
	v_bfe_u32 v6, v108, 8, 8
	v_lshrrev_b32_e32 v163, 24, v106
	v_cvt_f32_ubyte0_e32 v177, v113
	v_mul_lo_u32 v6, v18, v6
	v_cvt_f32_i32_e32 v188, v6
	ds_read_b128 v[18:21], v142 offset:64
	ds_read_b128 v[14:17], v142 offset:80
	;; [unrolled: 1-line block ×4, first 2 shown]
	ds_read2_b32 v[166:167], v145 offset0:18 offset1:19
	s_waitcnt lgkmcnt(4)
	v_dot4c_i32_i8_e32 v190, v114, v18
	v_dot4c_i32_i8_e32 v190, v115, v19
	ds_read2_b32 v[114:115], v145 offset0:20 offset1:21
	ds_read2_b32 v[168:169], v145 offset0:22 offset1:23
	ds_read2_b32 v[170:171], v145 offset0:24 offset1:25
	v_cvt_f32_ubyte0_e32 v182, v111
	s_waitcnt lgkmcnt(3)
	v_dot4c_i32_i8_e32 v190, v166, v20
	v_mov_b32_e32 v166, 0
	v_dot4c_i32_i8_e32 v190, v167, v21
	s_waitcnt lgkmcnt(0)
	v_dot4c_i32_i8_e32 v166, v170, v10
	v_dot4c_i32_i8_e32 v166, v171, v11
	;; [unrolled: 1-line block ×10, first 2 shown]
	v_cvt_f32_f16_e32 v155, v4
	v_cvt_f32_f16_sdwa v115, v4 dst_sel:DWORD dst_unused:UNUSED_PAD src0_sel:WORD_1
	v_and_b32_e32 v4, 0xff, v106
	v_bfe_u32 v156, v106, 16, 8
	v_dot4c_i32_i8_e32 v166, v158, v8
	v_mul_lo_u32 v4, v161, v4
	v_mul_lo_u32 v156, v190, v156
	v_dot4c_i32_i8_e32 v166, v159, v9
	v_cvt_f32_f16_e32 v154, v2
	v_cvt_f32_i32_e32 v159, v156
	v_cvt_f32_i32_e32 v158, v4
	v_bfe_u32 v106, v106, 8, 8
	v_mul_lo_u32 v106, v172, v106
	v_cvt_f32_f16_sdwa v114, v2 dst_sel:DWORD dst_unused:UNUSED_PAD src0_sel:WORD_1
	v_pk_fma_f32 v[158:159], v[154:155], v[158:159], 0 op_sel_hi:[1,1,0]
	v_mul_lo_u32 v154, v166, v163
	v_cvt_f32_f16_e32 v157, v5
	v_cvt_f32_f16_e32 v156, v3
	v_cvt_f32_i32_e32 v167, v154
	v_cvt_f32_i32_e32 v166, v106
	v_cvt_f32_f16_sdwa v5, v5 dst_sel:DWORD dst_unused:UNUSED_PAD src0_sel:WORD_1
	v_cvt_f32_f16_sdwa v4, v3 dst_sel:DWORD dst_unused:UNUSED_PAD src0_sel:WORD_1
	v_cvt_f32_ubyte2_e32 v169, v107
	v_cvt_f32_ubyte0_e32 v168, v107
	v_cvt_f32_ubyte0_e32 v187, v109
	v_pk_fma_f32 v[168:169], v[114:115], v[168:169], 0 op_sel_hi:[1,1,0]
	v_pk_fma_f32 v[158:159], v[156:157], v[166:167], v[158:159]
	v_cvt_f32_ubyte3_e32 v167, v107
	v_cvt_f32_ubyte1_e32 v166, v107
	v_fma_mix_f32 v154, v2, v181, 0 op_sel_hi:[1,0,0]
	v_cvt_f32_ubyte1_e32 v189, v109
	v_pk_fma_f32 v[106:107], v[4:5], v[166:167], v[168:169]
	v_fma_mix_f32 v4, v2, v176, 0 op_sel_hi:[1,0,0]
	v_fma_mix_f32 v114, v2, v177, 0 op_sel:[1,0,0] op_sel_hi:[1,0,0]
	v_fma_mix_f32 v156, v2, v182, 0 op_sel:[1,0,0] op_sel_hi:[1,0,0]
	v_fma_mix_f32 v166, v3, v183, v154 op_sel_hi:[1,0,0]
	v_fma_mix_f32 v154, v2, v186, 0 op_sel_hi:[1,0,0]
	v_fma_mix_f32 v2, v2, v187, 0 op_sel:[1,0,0] op_sel_hi:[1,0,0]
	v_cvt_f32_ubyte1_e32 v179, v113
	v_cvt_f32_ubyte1_e32 v184, v111
	v_fma_mix_f32 v169, v3, v189, v2 op_sel:[1,0,0] op_sel_hi:[1,0,0]
	v_add_u32_e32 v2, 0x20c8, v145
	v_fma_mix_f32 v4, v3, v178, v4 op_sel_hi:[1,0,0]
	v_fma_mix_f32 v114, v3, v179, v114 op_sel:[1,0,0] op_sel_hi:[1,0,0]
	v_fma_mix_f32 v167, v3, v184, v156 op_sel:[1,0,0] op_sel_hi:[1,0,0]
	v_fma_mix_f32 v168, v3, v188, v154 op_sel_hi:[1,0,0]
	ds_read2_b32 v[2:3], v2 offset1:1
	v_pk_mul_f32 v[106:107], v[106:107], v[162:163] op_sel_hi:[1,0]
	v_mov_b32_e32 v154, 0
	v_pk_fma_f32 v[106:107], v[158:159], v[160:161], v[106:107] op_sel_hi:[1,0,1] neg_lo:[0,0,1] neg_hi:[0,0,1]
	v_dot4c_i32_i8_e32 v154, v164, v18
	v_add_u32_e32 v156, 0x20d0, v145
	v_add_u32_e32 v160, 0x20d8, v145
	;; [unrolled: 1-line block ×3, first 2 shown]
	v_dot4c_i32_i8_e32 v154, v165, v19
	ds_read2_b32 v[158:159], v156 offset1:1
	ds_read2_b32 v[160:161], v160 offset1:1
	;; [unrolled: 1-line block ×3, first 2 shown]
	s_waitcnt lgkmcnt(3)
	v_dot4c_i32_i8_e32 v154, v2, v20
	v_dot4c_i32_i8_e32 v154, v3, v21
	s_waitcnt lgkmcnt(2)
	v_dot4c_i32_i8_e32 v154, v158, v14
	v_dot4c_i32_i8_e32 v154, v159, v15
	;; [unrolled: 3-line block ×3, first 2 shown]
	v_bfe_u32 v2, v112, 16, 8
	v_lshrrev_b32_e32 v175, 24, v112
	v_mov_b32_e32 v112, 0
	v_mul_lo_u32 v2, v154, v2
	v_add_u32_e32 v154, 0x20e8, v145
	ds_read2_b32 v[158:159], v154 offset1:1
	s_waitcnt lgkmcnt(1)
	v_dot4c_i32_i8_e32 v112, v162, v10
	v_add_u32_e32 v156, 0x20f0, v145
	v_add_u32_e32 v162, 0x20f8, v145
	v_dot4c_i32_i8_e32 v112, v163, v11
	v_add_u32_e32 v154, 0x4140, v145
	ds_read2_b32 v[160:161], v156 offset1:1
	ds_read2_b32 v[162:163], v162 offset1:1
	;; [unrolled: 1-line block ×3, first 2 shown]
	s_waitcnt lgkmcnt(3)
	v_dot4c_i32_i8_e32 v112, v158, v12
	v_dot4c_i32_i8_e32 v112, v159, v13
	s_waitcnt lgkmcnt(2)
	v_dot4c_i32_i8_e32 v112, v160, v6
	v_dot4c_i32_i8_e32 v112, v161, v7
	s_waitcnt lgkmcnt(1)
	v_dot4c_i32_i8_e32 v112, v162, v8
	v_cvt_f32_f16_sdwa v159, v173 dst_sel:DWORD dst_unused:UNUSED_PAD src0_sel:WORD_1
	v_dot4c_i32_i8_e32 v112, v163, v9
	v_cvt_f32_i32_e32 v2, v2
	v_cvt_f32_f16_e32 v158, v173
	v_mul_f32_e32 v114, v114, v159
	v_mul_lo_u32 v112, v112, v175
	v_cvt_f32_i32_e32 v112, v112
	v_cvt_f32_ubyte2_e32 v3, v113
	v_fma_mix_f32 v161, v4, v173, -v114 op_sel_hi:[0,1,0]
	v_mov_b32_e32 v114, v155
	v_cvt_f32_ubyte3_e32 v113, v113
	v_pk_fma_f32 v[2:3], v[114:115], v[2:3], 0 op_sel_hi:[1,1,0]
	v_mov_b32_e32 v4, v157
	v_pk_fma_f32 v[2:3], v[4:5], v[112:113], v[2:3]
	v_mov_b32_e32 v160, v106
	v_pk_mul_f32 v[112:113], v[2:3], v[158:159]
	v_pk_add_f32 v[104:105], v[104:105], v[160:161]
	v_mov_b32_e32 v113, v112
	v_pk_fma_f32 v[2:3], v[2:3], v[158:159], v[112:113] neg_lo:[1,0,0] neg_hi:[1,0,0]
	v_mov_b32_e32 v156, 0
	v_mov_b32_e32 v2, v107
	v_pk_add_f32 v[104:105], v[104:105], v[2:3]
	v_add_u32_e32 v2, 0x4148, v145
	ds_read2_b32 v[2:3], v2 offset1:1
	s_waitcnt lgkmcnt(1)
	v_dot4c_i32_i8_e32 v156, v164, v18
	v_add_u32_e32 v106, 0x4150, v145
	v_add_u32_e32 v112, 0x4158, v145
	;; [unrolled: 1-line block ×3, first 2 shown]
	v_dot4c_i32_i8_e32 v156, v165, v19
	ds_read2_b32 v[106:107], v106 offset1:1
	ds_read2_b32 v[112:113], v112 offset1:1
	;; [unrolled: 1-line block ×3, first 2 shown]
	s_waitcnt lgkmcnt(3)
	v_dot4c_i32_i8_e32 v156, v2, v20
	v_dot4c_i32_i8_e32 v156, v3, v21
	s_waitcnt lgkmcnt(2)
	v_dot4c_i32_i8_e32 v156, v106, v14
	v_add_u32_e32 v106, 0x4168, v145
	v_dot4c_i32_i8_e32 v156, v107, v15
	ds_read2_b32 v[106:107], v106 offset1:1
	s_waitcnt lgkmcnt(2)
	v_dot4c_i32_i8_e32 v156, v112, v16
	v_lshrrev_b32_e32 v180, 24, v110
	v_dot4c_i32_i8_e32 v156, v113, v17
	v_bfe_u32 v2, v110, 16, 8
	v_mov_b32_e32 v110, 0
	s_waitcnt lgkmcnt(1)
	v_dot4c_i32_i8_e32 v110, v154, v10
	v_mul_lo_u32 v2, v156, v2
	v_add_u32_e32 v112, 0x4170, v145
	v_add_u32_e32 v154, 0x4178, v145
	;; [unrolled: 1-line block ×3, first 2 shown]
	v_dot4c_i32_i8_e32 v110, v155, v11
	ds_read2_b32 v[112:113], v112 offset1:1
	ds_read2_b32 v[154:155], v154 offset1:1
	;; [unrolled: 1-line block ×3, first 2 shown]
	s_waitcnt lgkmcnt(3)
	v_dot4c_i32_i8_e32 v110, v106, v12
	v_dot4c_i32_i8_e32 v110, v107, v13
	s_waitcnt lgkmcnt(2)
	v_dot4c_i32_i8_e32 v110, v112, v6
	v_dot4c_i32_i8_e32 v110, v113, v7
	;; [unrolled: 3-line block ×3, first 2 shown]
	v_cvt_f32_i32_e32 v2, v2
	v_cvt_f32_f16_sdwa v107, v174 dst_sel:DWORD dst_unused:UNUSED_PAD src0_sel:WORD_1
	v_cvt_f32_ubyte2_e32 v3, v111
	v_mul_lo_u32 v106, v110, v180
	v_cvt_f32_i32_e32 v110, v106
	v_cvt_f32_f16_e32 v106, v174
	v_cvt_f32_ubyte3_e32 v111, v111
	v_pk_fma_f32 v[2:3], v[114:115], v[2:3], 0 op_sel_hi:[1,1,0]
	v_mul_f32_e32 v112, v167, v107
	v_pk_fma_f32 v[2:3], v[4:5], v[110:111], v[2:3]
	v_fma_mix_f32 v112, v166, v174, -v112 op_sel_hi:[0,1,0]
	v_pk_mul_f32 v[2:3], v[2:3], v[106:107]
	v_add_f32_e32 v25, v25, v112
	v_sub_f32_e32 v2, v2, v3
	v_add_f32_e32 v25, v25, v2
	v_add_u32_e32 v2, 0x61c8, v145
	ds_read2_b32 v[2:3], v2 offset1:1
	v_mov_b32_e32 v112, 0
	s_waitcnt lgkmcnt(1)
	v_dot4c_i32_i8_e32 v112, v156, v18
	v_add_u32_e32 v18, 0x61d0, v145
	v_add_u32_e32 v106, 0x61d8, v145
	;; [unrolled: 1-line block ×3, first 2 shown]
	v_dot4c_i32_i8_e32 v112, v157, v19
	ds_read2_b32 v[18:19], v18 offset1:1
	ds_read2_b32 v[106:107], v106 offset1:1
	;; [unrolled: 1-line block ×3, first 2 shown]
	s_waitcnt lgkmcnt(3)
	v_dot4c_i32_i8_e32 v112, v2, v20
	v_dot4c_i32_i8_e32 v112, v3, v21
	s_waitcnt lgkmcnt(2)
	v_dot4c_i32_i8_e32 v112, v18, v14
	v_mov_b32_e32 v18, 0
	s_waitcnt lgkmcnt(0)
	v_dot4c_i32_i8_e32 v18, v110, v10
	v_add_u32_e32 v10, 0x61e8, v145
	v_dot4c_i32_i8_e32 v18, v111, v11
	ds_read2_b32 v[10:11], v10 offset1:1
	v_add_u32_e32 v14, 0x61f0, v145
	v_dot4c_i32_i8_e32 v112, v19, v15
	ds_read2_b32 v[14:15], v14 offset1:1
	v_dot4c_i32_i8_e32 v112, v106, v16
	v_add_u32_e32 v16, 0x61f8, v145
	v_dot4c_i32_i8_e32 v112, v107, v17
	ds_read2_b32 v[16:17], v16 offset1:1
	s_waitcnt lgkmcnt(2)
	v_dot4c_i32_i8_e32 v18, v10, v12
	v_dot4c_i32_i8_e32 v18, v11, v13
	s_waitcnt lgkmcnt(1)
	v_dot4c_i32_i8_e32 v18, v14, v6
	v_dot4c_i32_i8_e32 v18, v15, v7
	v_bfe_u32 v2, v108, 16, 8
	s_waitcnt lgkmcnt(0)
	v_dot4c_i32_i8_e32 v18, v16, v8
	v_lshrrev_b32_e32 v185, 24, v108
	v_mul_lo_u32 v2, v112, v2
	v_dot4c_i32_i8_e32 v18, v17, v9
	v_cvt_f32_i32_e32 v2, v2
	v_cvt_f32_f16_sdwa v7, v23 dst_sel:DWORD dst_unused:UNUSED_PAD src0_sel:WORD_1
	v_cvt_f32_ubyte2_e32 v3, v109
	v_mul_lo_u32 v6, v18, v185
	v_cvt_f32_i32_e32 v8, v6
	v_cvt_f32_f16_e32 v6, v23
	v_cvt_f32_ubyte3_e32 v9, v109
	v_pk_fma_f32 v[2:3], v[114:115], v[2:3], 0 op_sel_hi:[1,1,0]
	v_mul_f32_e32 v10, v169, v7
	v_pk_fma_f32 v[2:3], v[4:5], v[8:9], v[2:3]
	v_fma_mix_f32 v10, v168, v23, -v10 op_sel_hi:[0,1,0]
	v_pk_mul_f32 v[2:3], v[2:3], v[6:7]
	v_add_f32_e32 v10, v24, v10
	v_sub_f32_e32 v2, v2, v3
	v_add_f32_e32 v24, v10, v2
	s_cmp_ge_i32 s14, s15
	s_barrier
	s_cbranch_scc1 .LBB213_5
; %bb.13:                               ;   in Loop: Header=BB213_6 Depth=1
	v_cmp_gt_i32_e64 s[2:3], s5, v147
	s_and_b64 s[20:21], s[0:1], s[2:3]
	s_and_saveexec_b64 s[2:3], s[20:21]
	s_cbranch_execz .LBB213_15
; %bb.14:                               ;   in Loop: Header=BB213_6 Depth=1
	v_add_u32_e32 v2, v28, v147
	v_mad_i64_i32 v[2:3], s[20:21], v2, 36, v[26:27]
	global_load_dword v2, v[2:3], off offset:4
	s_waitcnt vmcnt(0)
	ds_write_b32 v139, v2
.LBB213_15:                             ;   in Loop: Header=BB213_6 Depth=1
	s_or_b64 exec, exec, s[2:3]
	s_and_saveexec_b64 s[20:21], vcc
	s_cbranch_execz .LBB213_4
; %bb.16:                               ;   in Loop: Header=BB213_6 Depth=1
	v_add_u32_e32 v2, 4, v22
	v_cmp_gt_i32_e64 s[2:3], s5, v2
	s_and_b64 s[2:3], s[0:1], s[2:3]
	s_and_b64 exec, exec, s[2:3]
	s_cbranch_execz .LBB213_4
; %bb.17:                               ;   in Loop: Header=BB213_6 Depth=1
	v_ashrrev_i32_e32 v23, 31, v22
	v_lshl_add_u64 v[2:3], v[28:29], 0, v[22:23]
	v_mad_u64_u32 v[4:5], s[2:3], v2, 36, s[18:19]
	v_mad_i32_i24 v5, v3, 36, v5
	global_load_dword v2, v[4:5], off
	s_waitcnt vmcnt(0)
	ds_write_b32 v140, v2
	s_branch .LBB213_4
.LBB213_18:
	v_mov_b32_e32 v2, 0
	v_mov_b32_e32 v4, 0
	;; [unrolled: 1-line block ×3, first 2 shown]
	s_mul_i32 s0, s7, s4
	s_waitcnt vmcnt(0)
	v_cmp_gt_i32_e32 vcc, s0, v1
	s_and_saveexec_b64 s[0:1], vcc
	s_cbranch_execnz .LBB213_21
.LBB213_19:
	s_endpgm
.LBB213_20:
	v_cvt_f16_f32_e32 v6, v104
	v_cvt_f16_f32_e32 v4, v105
	v_cvt_f16_f32_e32 v2, v25
	v_cvt_f16_f32_e32 v3, v24
	s_mul_i32 s0, s7, s4
	v_cmp_gt_i32_e32 vcc, s0, v1
	s_and_saveexec_b64 s[0:1], vcc
	s_cbranch_execz .LBB213_19
.LBB213_21:
	v_and_b32_e32 v0, 0x3ff, v0
	v_add_u32_e32 v5, s24, v0
	v_mul_lo_u32 v0, v1, s6
	v_cmp_gt_u32_e32 vcc, s6, v5
	s_and_saveexec_b64 s[0:1], vcc
	s_cbranch_execz .LBB213_23
; %bb.22:
	v_add_u32_e32 v8, v0, v5
	v_mov_b32_e32 v9, 0
	v_lshl_add_u64 v[8:9], v[8:9], 1, s[12:13]
	global_store_short v[8:9], v6, off
.LBB213_23:
	s_or_b64 exec, exec, s[0:1]
	v_add_u32_e32 v1, 32, v5
	v_cmp_gt_u32_e32 vcc, s6, v1
	s_and_saveexec_b64 s[0:1], vcc
	s_cbranch_execz .LBB213_25
; %bb.24:
	v_add_u32_e32 v6, v0, v1
	v_mov_b32_e32 v7, 0
	v_lshl_add_u64 v[6:7], v[6:7], 1, s[12:13]
	global_store_short v[6:7], v4, off
.LBB213_25:
	s_or_b64 exec, exec, s[0:1]
	v_add_u32_e32 v1, 64, v5
	;; [unrolled: 11-line block ×3, first 2 shown]
	v_cmp_gt_u32_e32 vcc, s6, v1
	s_and_b64 exec, exec, vcc
	s_cbranch_execz .LBB213_19
; %bb.28:
	v_add_u32_e32 v0, v0, v1
	v_mov_b32_e32 v1, 0
	v_lshl_add_u64 v[0:1], v[0:1], 1, s[12:13]
	global_store_short v[0:1], v3, off
	s_endpgm
	.section	.rodata,"a",@progbits
	.p2align	6, 0x0
	.amdhsa_kernel _ZL8moe_q5_KIN3c104HalfELb0EEvPKvS3_PT_PKiS7_S7_iiiiiii
		.amdhsa_group_segment_fixed_size 37072
		.amdhsa_private_segment_fixed_size 0
		.amdhsa_kernarg_size 76
		.amdhsa_user_sgpr_count 2
		.amdhsa_user_sgpr_dispatch_ptr 0
		.amdhsa_user_sgpr_queue_ptr 0
		.amdhsa_user_sgpr_kernarg_segment_ptr 1
		.amdhsa_user_sgpr_dispatch_id 0
		.amdhsa_user_sgpr_kernarg_preload_length 0
		.amdhsa_user_sgpr_kernarg_preload_offset 0
		.amdhsa_user_sgpr_private_segment_size 0
		.amdhsa_uses_dynamic_stack 0
		.amdhsa_enable_private_segment 0
		.amdhsa_system_sgpr_workgroup_id_x 1
		.amdhsa_system_sgpr_workgroup_id_y 1
		.amdhsa_system_sgpr_workgroup_id_z 0
		.amdhsa_system_sgpr_workgroup_info 0
		.amdhsa_system_vgpr_workitem_id 1
		.amdhsa_next_free_vgpr 191
		.amdhsa_next_free_sgpr 28
		.amdhsa_accum_offset 192
		.amdhsa_reserve_vcc 1
		.amdhsa_float_round_mode_32 0
		.amdhsa_float_round_mode_16_64 0
		.amdhsa_float_denorm_mode_32 3
		.amdhsa_float_denorm_mode_16_64 3
		.amdhsa_dx10_clamp 1
		.amdhsa_ieee_mode 1
		.amdhsa_fp16_overflow 0
		.amdhsa_tg_split 0
		.amdhsa_exception_fp_ieee_invalid_op 0
		.amdhsa_exception_fp_denorm_src 0
		.amdhsa_exception_fp_ieee_div_zero 0
		.amdhsa_exception_fp_ieee_overflow 0
		.amdhsa_exception_fp_ieee_underflow 0
		.amdhsa_exception_fp_ieee_inexact 0
		.amdhsa_exception_int_div_zero 0
	.end_amdhsa_kernel
	.section	.text._ZL8moe_q5_KIN3c104HalfELb0EEvPKvS3_PT_PKiS7_S7_iiiiiii,"axG",@progbits,_ZL8moe_q5_KIN3c104HalfELb0EEvPKvS3_PT_PKiS7_S7_iiiiiii,comdat
.Lfunc_end213:
	.size	_ZL8moe_q5_KIN3c104HalfELb0EEvPKvS3_PT_PKiS7_S7_iiiiiii, .Lfunc_end213-_ZL8moe_q5_KIN3c104HalfELb0EEvPKvS3_PT_PKiS7_S7_iiiiiii
                                        ; -- End function
	.section	.AMDGPU.csdata,"",@progbits
; Kernel info:
; codeLenInByte = 10176
; NumSgprs: 34
; NumVgprs: 191
; NumAgprs: 0
; TotalNumVgprs: 191
; ScratchSize: 0
; MemoryBound: 0
; FloatMode: 240
; IeeeMode: 1
; LDSByteSize: 37072 bytes/workgroup (compile time only)
; SGPRBlocks: 4
; VGPRBlocks: 23
; NumSGPRsForWavesPerEU: 34
; NumVGPRsForWavesPerEU: 191
; AccumOffset: 192
; Occupancy: 1
; WaveLimiterHint : 1
; COMPUTE_PGM_RSRC2:SCRATCH_EN: 0
; COMPUTE_PGM_RSRC2:USER_SGPR: 2
; COMPUTE_PGM_RSRC2:TRAP_HANDLER: 0
; COMPUTE_PGM_RSRC2:TGID_X_EN: 1
; COMPUTE_PGM_RSRC2:TGID_Y_EN: 1
; COMPUTE_PGM_RSRC2:TGID_Z_EN: 0
; COMPUTE_PGM_RSRC2:TIDIG_COMP_CNT: 1
; COMPUTE_PGM_RSRC3_GFX90A:ACCUM_OFFSET: 47
; COMPUTE_PGM_RSRC3_GFX90A:TG_SPLIT: 0
	.section	.text._ZL8moe_q5_KIN3c104HalfELb1EEvPKvS3_PT_PKiS7_S7_iiiiiii,"axG",@progbits,_ZL8moe_q5_KIN3c104HalfELb1EEvPKvS3_PT_PKiS7_S7_iiiiiii,comdat
	.globl	_ZL8moe_q5_KIN3c104HalfELb1EEvPKvS3_PT_PKiS7_S7_iiiiiii ; -- Begin function _ZL8moe_q5_KIN3c104HalfELb1EEvPKvS3_PT_PKiS7_S7_iiiiiii
	.p2align	8
	.type	_ZL8moe_q5_KIN3c104HalfELb1EEvPKvS3_PT_PKiS7_S7_iiiiiii,@function
_ZL8moe_q5_KIN3c104HalfELb1EEvPKvS3_PT_PKiS7_S7_iiiiiii: ; @_ZL8moe_q5_KIN3c104HalfELb1EEvPKvS3_PT_PKiS7_S7_iiiiiii
; %bb.0:
	s_load_dwordx4 s[4:7], s[0:1], 0x18
	s_mov_b32 s8, s3
	s_mov_b32 s9, 0
	s_lshl_b64 s[10:11], s[8:9], 2
	s_waitcnt lgkmcnt(0)
	s_add_u32 s6, s6, s10
	s_addc_u32 s7, s7, s11
	s_load_dword s3, s[6:7], 0x0
	s_waitcnt lgkmcnt(0)
	s_cmpk_gt_u32 s3, 0xff
	s_cbranch_scc1 .LBB214_19
; %bb.1:
	s_load_dwordx2 s[6:7], s[0:1], 0x28
	s_waitcnt lgkmcnt(0)
	s_load_dword s7, s[6:7], 0x0
	s_lshl_b32 s6, s8, 3
	s_waitcnt lgkmcnt(0)
	s_cmp_gt_u32 s6, s7
	s_cbranch_scc1 .LBB214_19
; %bb.2:
	v_bfe_u32 v4, v0, 10, 10
	v_mov_b32_e32 v6, s4
	v_mov_b32_e32 v7, s5
	v_add_u32_e32 v2, s6, v4
	v_mov_b32_e32 v3, 0
	v_lshl_add_u64 v[6:7], v[2:3], 2, v[6:7]
	global_load_dword v1, v[6:7], off
	s_load_dwordx8 s[4:11], s[0:1], 0x30
	s_load_dwordx2 s[16:17], s[0:1], 0x10
	s_waitcnt lgkmcnt(0)
	s_lshl_b32 s11, s2, 7
	s_mov_b32 s22, 0
	s_cmpk_lt_i32 s5, 0x100
	s_cbranch_scc1 .LBB214_18
; %bb.3:
	s_load_dwordx4 s[12:15], s[0:1], 0x0
	s_ashr_i32 s0, s5, 31
	s_lshr_b32 s0, s0, 24
	s_add_i32 s0, s5, s0
	s_ashr_i32 s26, s0, 8
	s_ashr_i32 s0, s8, 31
	s_lshr_b32 s0, s0, 27
	v_and_b32_e32 v22, 0x3ff, v0
	s_add_i32 s0, s8, s0
	v_lshlrev_b32_e32 v5, 1, v22
	v_and_b32_e32 v6, 7, v22
	s_ashr_i32 s8, s0, 5
	s_not_b32 s0, s11
	v_and_or_b32 v5, v5, 48, v6
	s_add_i32 s6, s0, s6
	v_lshlrev_b32_e32 v6, 2, v5
	v_add_u32_e32 v5, 8, v4
	v_lshrrev_b32_e32 v7, 5, v22
	v_min_i32_e32 v10, s6, v4
	s_movk_i32 s2, 0x104
	v_min_i32_e32 v5, s6, v5
	v_mul_lo_u32 v11, v10, s26
	v_mad_u64_u32 v[26:27], s[0:1], v10, s2, v[6:7]
	v_mul_lo_u32 v10, v5, s26
	v_mad_u64_u32 v[28:29], s[0:1], v5, s2, v[6:7]
	v_add_u32_e32 v5, 16, v4
	v_min_i32_e32 v5, s6, v5
	v_mul_lo_u32 v12, v5, s26
	v_mad_u64_u32 v[30:31], s[0:1], v5, s2, v[6:7]
	v_add_u32_e32 v5, 24, v4
	v_min_i32_e32 v5, s6, v5
	;; [unrolled: 4-line block ×14, first 2 shown]
	v_lshrrev_b32_e32 v9, 2, v22
	v_mul_lo_u32 v122, v5, s26
	v_mad_u64_u32 v[56:57], s[0:1], v5, s2, v[6:7]
	v_lshlrev_b32_e32 v5, 5, v4
	v_and_b32_e32 v148, 6, v9
	v_add_u32_e32 v6, v5, v22
	v_lshl_add_u32 v9, v4, 3, v9
	v_and_b32_e32 v27, 0x7f, v6
	v_and_b32_e32 v9, 0x7f, v9
	v_min_i32_e32 v27, s6, v27
	v_min_i32_e32 v35, s6, v9
	v_ashrrev_i32_e32 v29, 31, v27
	v_ashrrev_i32_e32 v37, 31, v35
	v_xor_b32_e32 v9, 64, v9
	v_lshrrev_b32_e32 v29, 27, v29
	v_lshrrev_b32_e32 v37, 29, v37
	v_min_i32_e32 v9, s6, v9
	v_add_u32_e32 v29, v27, v29
	v_mul_lo_u32 v129, v35, s26
	v_add_u32_e32 v37, v35, v37
	v_lshlrev_b32_e32 v139, 4, v35
	v_ashrrev_i32_e32 v35, 31, v9
	v_ashrrev_i32_e32 v29, 5, v29
	v_lshrrev_b32_e32 v35, 29, v35
	v_mul_lo_u32 v126, v27, s26
	v_lshlrev_b32_e32 v29, 2, v29
	v_lshlrev_b32_e32 v27, 2, v27
	s_mov_b32 s0, 0x8e40
	v_and_b32_e32 v33, 3, v22
	v_add_u32_e32 v35, v9, v35
	v_add3_u32 v27, v29, v27, s0
	v_add_u32_e32 v29, 0xfe, v33
	v_cmp_gt_u32_e32 vcc, 2, v33
	v_ashrrev_i32_e32 v37, 3, v37
	v_ashrrev_i32_e32 v35, 3, v35
	s_mul_i32 s18, s3, s4
	v_cndmask_b32_e32 v29, v29, v33, vcc
	v_cmp_ne_u32_e32 vcc, 0, v33
	v_cmp_lt_u32_e64 s[2:3], 1, v33
	v_lshlrev_b32_e32 v37, 2, v37
	v_lshlrev_b32_e32 v33, 2, v33
	s_mov_b32 s1, 0x8200
	v_lshlrev_b32_e32 v35, 2, v35
	v_add3_u32 v138, v37, v33, s1
	v_mul_lo_u32 v132, v9, s26
	v_add3_u32 v140, v35, v33, s1
	v_lshlrev_b32_e32 v141, 4, v9
	v_and_or_b32 v5, v22, 31, v5
	v_mov_b32_e32 v9, 0x8a40
	s_movk_i32 s1, 0xffe4
	v_lshlrev_b32_e32 v8, 2, v22
	v_lshl_add_u32 v33, v5, 2, v9
	v_mad_i32_i24 v5, v4, s1, v6
	v_mov_b32_e32 v6, 0x9050
	v_lshrrev_b32_e32 v37, 3, v22
	v_lshl_add_u32 v35, v5, 2, v6
	v_lshl_add_u32 v39, v4, 7, v9
	v_lshlrev_b32_e32 v41, 4, v4
	v_add_u32_e32 v4, v37, v8
	v_mov_b32_e32 v5, 0x8200
	v_lshl_add_u32 v43, v4, 2, v5
	v_lshlrev_b32_e32 v4, 2, v7
	v_add3_u32 v47, v4, v8, s0
	v_add_u32_e32 v4, 32, v22
	v_lshrrev_b32_e32 v49, 3, v4
	v_lshl_add_u32 v4, v4, 2, v49
	v_lshl_add_u32 v51, v4, 2, v5
	v_and_b32_e32 v4, 60, v49
	v_add3_u32 v53, v8, v4, s0
	v_add_u32_e32 v4, 64, v22
	v_lshrrev_b32_e32 v6, 3, v4
	v_lshl_add_u32 v4, v4, 2, v6
	s_abs_i32 s6, s10
	v_lshl_add_u32 v55, v4, 2, v5
	v_and_b32_e32 v4, 60, v6
	v_cvt_f32_u32_e32 v9, s6
	v_add3_u32 v57, v8, v4, s0
	v_add_u32_e32 v4, 0x60, v22
	v_lshrrev_b32_e32 v6, 3, v4
	v_lshl_add_u32 v4, v4, 2, v6
	v_lshl_add_u32 v150, v4, 2, v5
	v_rcp_iflag_f32_e32 v5, v9
	v_and_b32_e32 v4, 60, v6
	v_add3_u32 v151, v8, v4, s0
	s_sub_i32 s0, 0, s6
	v_mul_f32_e32 v5, 0x4f7ffffe, v5
	v_cvt_u32_f32_e32 v5, v5
	v_and_b32_e32 v24, 0x7c, v8
	v_and_b32_e32 v2, 28, v8
	v_and_b32_e32 v31, 0xff, v29
	v_and_b32_e32 v29, 4, v8
	v_mul_lo_u32 v8, s0, v5
	s_waitcnt vmcnt(0)
	v_sub_u32_e32 v6, 0, v1
	v_mul_hi_u32 v8, v5, v8
	v_max_i32_e32 v6, v1, v6
	v_add_u32_e32 v5, v5, v8
	v_mul_hi_u32 v5, v6, v5
	v_mul_lo_u32 v8, v5, s6
	v_sub_u32_e32 v6, v6, v8
	v_add_u32_e32 v8, 1, v5
	v_cmp_le_u32_e64 s[0:1], s6, v6
	v_xor_b32_e32 v4, s10, v1
	v_ashrrev_i32_e32 v4, 31, v4
	v_cndmask_b32_e64 v5, v5, v8, s[0:1]
	v_subrev_u32_e32 v8, s6, v6
	v_cndmask_b32_e64 v6, v6, v8, s[0:1]
	v_add_u32_e32 v8, 1, v5
	v_cmp_le_u32_e64 s[0:1], s6, v6
	s_mul_i32 s4, s26, s11
	s_mul_hi_i32 s25, s4, 0xb0
	v_cndmask_b32_e64 v5, v5, v8, s[0:1]
	v_xor_b32_e32 v5, v5, v4
	v_sub_u32_e32 v4, v5, v4
	s_mul_i32 s24, s4, 0xb0
	v_cmp_gt_i32_e64 s[0:1], s7, v4
	v_mul_lo_u32 v60, v4, s8
	s_movk_i32 s6, 0xb0
	v_mov_b64_e32 v[4:5], s[24:25]
	v_mov_b32_e32 v25, 0
	v_mad_u64_u32 v[4:5], s[28:29], v7, s6, v[4:5]
	v_mov_b32_e32 v3, v25
	v_mad_i64_i32 v[6:7], s[28:29], v11, s6, v[4:5]
	v_lshl_add_u64 v[8:9], v[6:7], 0, v[2:3]
	v_lshl_add_u64 v[6:7], v[6:7], 0, v[24:25]
	s_waitcnt lgkmcnt(0)
	v_lshl_add_u64 v[6:7], v[6:7], 0, s[12:13]
	v_lshl_add_u64 v[8:9], v[8:9], 0, s[12:13]
	v_lshl_add_u64 v[64:65], v[6:7], 0, 48
	v_mad_i64_i32 v[6:7], s[28:29], v10, s6, v[4:5]
	v_lshl_add_u64 v[62:63], v[8:9], 0, 16
	v_lshl_add_u64 v[8:9], v[6:7], 0, v[2:3]
	v_lshl_add_u64 v[6:7], v[6:7], 0, v[24:25]
	v_lshl_add_u64 v[6:7], v[6:7], 0, s[12:13]
	v_lshl_add_u64 v[8:9], v[8:9], 0, s[12:13]
	v_lshl_add_u64 v[68:69], v[6:7], 0, 48
	v_mad_i64_i32 v[6:7], s[28:29], v12, s6, v[4:5]
	v_lshl_add_u64 v[66:67], v[8:9], 0, 16
	v_lshl_add_u64 v[8:9], v[6:7], 0, v[2:3]
	v_lshl_add_u64 v[6:7], v[6:7], 0, v[24:25]
	;; [unrolled: 7-line block ×13, first 2 shown]
	v_lshl_add_u64 v[6:7], v[6:7], 0, s[12:13]
	s_ashr_i32 s19, s18, 31
	v_lshl_add_u64 v[8:9], v[8:9], 0, s[12:13]
	v_lshl_add_u64 v[116:117], v[6:7], 0, 48
	v_mad_i64_i32 v[6:7], s[28:29], v118, s6, v[4:5]
	v_mad_i64_i32 v[4:5], s[28:29], v122, s6, v[4:5]
	v_lshl_add_u64 v[58:59], s[14:15], 0, v[2:3]
	s_add_u32 s20, s14, 0x90
	v_lshl_add_u64 v[114:115], v[8:9], 0, 16
	v_lshl_add_u64 v[8:9], v[6:7], 0, v[2:3]
	;; [unrolled: 1-line block ×3, first 2 shown]
	s_addc_u32 s21, s15, 0
	v_lshl_add_u64 v[2:3], v[2:3], 0, s[12:13]
	v_lshl_add_u64 v[122:123], v[2:3], 0, 16
	v_lshl_add_u64 v[2:3], v[4:5], 0, v[24:25]
	s_add_u32 s24, s12, s24
	v_lshl_add_u64 v[6:7], v[6:7], 0, v[24:25]
	v_lshl_add_u64 v[2:3], v[2:3], 0, s[12:13]
	s_addc_u32 s25, s13, s25
	v_lshl_add_u64 v[6:7], v[6:7], 0, s[12:13]
	v_lshl_add_u64 v[124:125], v[2:3], 0, 48
	v_mov_b64_e32 v[2:3], s[24:25]
	v_addc_co_u32_e32 v128, vcc, 0, v31, vcc
	v_lshl_add_u64 v[120:121], v[6:7], 0, 48
	v_mad_i64_i32 v[126:127], s[24:25], v126, s6, v[2:3]
	v_mad_i64_i32 v[2:3], s[24:25], v129, s6, 0
	v_mov_b32_e32 v6, 0xb0
	v_mad_i64_i32 v[2:3], s[24:25], s4, v6, v[2:3]
	v_lshlrev_b32_e32 v24, 2, v128
	v_lshl_add_u64 v[4:5], v[2:3], 0, v[24:25]
	v_lshl_add_u64 v[4:5], v[4:5], 0, s[12:13]
	;; [unrolled: 1-line block ×3, first 2 shown]
	v_cndmask_b32_e64 v4, 0, 1, s[2:3]
	v_lshlrev_b32_e32 v7, 2, v4
	v_or_b32_e32 v2, v2, v7
	v_lshl_add_u64 v[2:3], v[2:3], 0, s[12:13]
	v_cndmask_b32_e64 v29, 0, v29, s[2:3]
	v_lshl_add_u64 v[130:131], v[2:3], 0, 4
	v_mad_i64_i32 v[2:3], s[2:3], v132, s6, 0
	v_mad_i64_i32 v[2:3], s[2:3], s4, v6, v[2:3]
	v_lshl_add_u64 v[4:5], v[2:3], 0, v[24:25]
	v_or_b32_e32 v2, v2, v7
	v_lshl_add_u64 v[8:9], v[8:9], 0, s[12:13]
	v_lshl_add_u64 v[4:5], v[4:5], 0, s[12:13]
	;; [unrolled: 1-line block ×3, first 2 shown]
	s_mov_b32 s23, s22
	v_or_b32_e32 v149, 1, v148
	v_lshlrev_b32_e32 v31, 1, v31
	v_cmp_gt_u32_e32 vcc, 4, v22
	v_mul_u32_u24_e32 v45, 0x104, v22
	v_ashrrev_i32_e32 v61, 31, v60
	v_lshl_add_u64 v[118:119], v[8:9], 0, 16
	v_lshl_add_u64 v[132:133], v[4:5], 0, 4
	;; [unrolled: 1-line block ×3, first 2 shown]
	s_movk_i32 s4, 0x80
	v_mov_b64_e32 v[136:137], s[22:23]
	s_mov_b32 s6, 0x10101010
	s_mov_b32 s24, 0x30303030
	v_add_u32_e32 v24, v138, v139
	v_add_u32_e32 v152, v140, v141
	s_mov_b64 s[12:13], 0xb0
	v_mov_b32_e32 v153, v25
	s_branch .LBB214_6
.LBB214_4:                              ;   in Loop: Header=BB214_6 Depth=1
	s_or_b64 exec, exec, s[22:23]
	s_waitcnt lgkmcnt(0)
	s_barrier
	ds_read_b128 v[18:21], v39
	ds_read_b128 v[14:17], v39 offset:16
	ds_read_b128 v[2:5], v41 offset:36944
	ds_read2_b32 v[138:139], v45 offset0:32 offset1:33
	ds_read_b128 v[10:13], v39 offset:32
	ds_read_b128 v[6:9], v39 offset:48
	ds_read_b32 v23, v47
	ds_read2_b32 v[140:141], v45 offset0:34 offset1:35
	v_mov_b32_e32 v161, 0
	s_waitcnt lgkmcnt(4)
	v_dot4c_i32_i8_e32 v161, v138, v18
	v_dot4c_i32_i8_e32 v161, v139, v19
	ds_read2_b32 v[142:143], v45 offset0:36 offset1:37
	ds_read2_b32 v[144:145], v45 offset0:38 offset1:39
	;; [unrolled: 1-line block ×3, first 2 shown]
	s_waitcnt lgkmcnt(3)
	v_dot4c_i32_i8_e32 v161, v140, v20
	v_dot4c_i32_i8_e32 v161, v141, v21
	ds_read2_b32 v[140:141], v45 offset0:42 offset1:43
	v_mov_b32_e32 v172, 0
	s_waitcnt lgkmcnt(3)
	v_dot4c_i32_i8_e32 v161, v142, v14
	s_waitcnt lgkmcnt(1)
	v_dot4c_i32_i8_e32 v172, v146, v10
	v_dot4c_i32_i8_e32 v161, v143, v15
	v_dot4c_i32_i8_e32 v172, v147, v11
	v_dot4c_i32_i8_e32 v161, v144, v16
	s_waitcnt lgkmcnt(0)
	v_dot4c_i32_i8_e32 v172, v140, v12
	v_cvt_f32_f16_e32 v160, v23
	v_cvt_f32_f16_sdwa v162, v23 dst_sel:DWORD dst_unused:UNUSED_PAD src0_sel:WORD_1
	v_add_u32_e32 v23, 0x2100, v45
	ds_read2_b32 v[138:139], v43 offset0:1 offset1:3
	v_dot4c_i32_i8_e32 v161, v145, v17
	ds_read2_b32 v[142:143], v45 offset0:44 offset1:45
	ds_read2_b32 v[144:145], v45 offset0:46 offset1:47
	;; [unrolled: 1-line block ×3, first 2 shown]
	v_dot4c_i32_i8_e32 v172, v141, v13
	ds_read2_b32 v[154:155], v45 offset0:58 offset1:59
	ds_read2_b32 v[156:157], v45 offset0:60 offset1:61
	;; [unrolled: 1-line block ×3, first 2 shown]
	ds_read2_b32 v[140:141], v23 offset1:1
	v_mov_b32_e32 v168, 0
	ds_read_b32 v173, v53 offset:128
	ds_read_b32 v174, v57 offset:256
	;; [unrolled: 1-line block ×3, first 2 shown]
	s_waitcnt lgkmcnt(9)
	v_dot4c_i32_i8_e32 v172, v142, v6
	v_dot4c_i32_i8_e32 v172, v143, v7
	s_waitcnt lgkmcnt(3)
	v_dot4c_i32_i8_e32 v168, v140, v18
	v_add_u32_e32 v140, 0x2108, v45
	v_dot4c_i32_i8_e32 v168, v141, v19
	ds_read2_b32 v[140:141], v140 offset1:1
	v_dot4c_i32_i8_e32 v172, v144, v8
	v_add_u32_e32 v142, 0x2110, v45
	v_dot4c_i32_i8_e32 v172, v145, v9
	v_add_u32_e32 v144, 0x2118, v45
	v_add_u32_e32 v145, 0x2120, v45
	ds_read2_b32 v[142:143], v142 offset1:1
	ds_read2_b32 v[164:165], v144 offset1:1
	;; [unrolled: 1-line block ×3, first 2 shown]
	s_waitcnt lgkmcnt(3)
	v_dot4c_i32_i8_e32 v168, v140, v20
	ds_read2_b32 v[144:145], v51 offset0:1 offset1:3
	v_dot4c_i32_i8_e32 v168, v141, v21
	s_waitcnt lgkmcnt(3)
	v_dot4c_i32_i8_e32 v168, v142, v14
	v_dot4c_i32_i8_e32 v168, v143, v15
	s_waitcnt lgkmcnt(2)
	v_dot4c_i32_i8_e32 v168, v164, v16
	v_dot4c_i32_i8_e32 v168, v165, v17
	s_waitcnt lgkmcnt(0)
	v_and_b32_e32 v140, 0xff, v144
	v_add_u32_e32 v142, 0x2130, v45
	v_add_u32_e32 v164, 0x2138, v45
	v_mul_lo_u32 v140, v168, v140
	v_cvt_f32_i32_e32 v176, v140
	v_add_u32_e32 v140, 0x2128, v45
	ds_read2_b32 v[140:141], v140 offset1:1
	v_mov_b32_e32 v168, 0
	v_dot4c_i32_i8_e32 v168, v166, v10
	v_add_u32_e32 v166, 0x4180, v45
	v_dot4c_i32_i8_e32 v168, v167, v11
	ds_read2_b32 v[142:143], v142 offset1:1
	ds_read2_b32 v[164:165], v164 offset1:1
	;; [unrolled: 1-line block ×3, first 2 shown]
	s_waitcnt lgkmcnt(3)
	v_dot4c_i32_i8_e32 v168, v140, v12
	v_dot4c_i32_i8_e32 v168, v141, v13
	s_waitcnt lgkmcnt(2)
	v_dot4c_i32_i8_e32 v168, v142, v6
	v_dot4c_i32_i8_e32 v168, v143, v7
	;; [unrolled: 3-line block ×3, first 2 shown]
	v_bfe_u32 v140, v144, 8, 8
	v_mov_b32_e32 v170, 0
	s_waitcnt lgkmcnt(0)
	v_dot4c_i32_i8_e32 v170, v166, v18
	v_mul_lo_u32 v140, v168, v140
	v_cvt_f32_i32_e32 v178, v140
	v_add_u32_e32 v140, 0x4188, v45
	ds_read2_b32 v[140:141], v140 offset1:1
	v_add_u32_e32 v142, 0x4190, v45
	v_add_u32_e32 v168, 0x41a0, v45
	v_dot4c_i32_i8_e32 v170, v167, v19
	v_add_u32_e32 v143, 0x4198, v45
	ds_read2_b32 v[164:165], v142 offset1:1
	ds_read2_b32 v[166:167], v143 offset1:1
	;; [unrolled: 1-line block ×3, first 2 shown]
	s_waitcnt lgkmcnt(3)
	v_dot4c_i32_i8_e32 v170, v140, v20
	ds_read2_b32 v[142:143], v55 offset0:1 offset1:3
	v_dot4c_i32_i8_e32 v170, v141, v21
	s_waitcnt lgkmcnt(3)
	v_dot4c_i32_i8_e32 v170, v164, v14
	v_dot4c_i32_i8_e32 v170, v165, v15
	s_waitcnt lgkmcnt(2)
	v_dot4c_i32_i8_e32 v170, v166, v16
	v_dot4c_i32_i8_e32 v170, v167, v17
	s_waitcnt lgkmcnt(0)
	v_and_b32_e32 v140, 0xff, v142
	v_add_u32_e32 v164, 0x41b0, v45
	v_add_u32_e32 v166, 0x41b8, v45
	v_mul_lo_u32 v140, v170, v140
	v_cvt_f32_i32_e32 v181, v140
	v_add_u32_e32 v140, 0x41a8, v45
	ds_read2_b32 v[140:141], v140 offset1:1
	v_mov_b32_e32 v170, 0
	v_dot4c_i32_i8_e32 v170, v168, v10
	v_add_u32_e32 v168, 0x6200, v45
	v_dot4c_i32_i8_e32 v170, v169, v11
	ds_read2_b32 v[164:165], v164 offset1:1
	ds_read2_b32 v[166:167], v166 offset1:1
	;; [unrolled: 1-line block ×3, first 2 shown]
	s_waitcnt lgkmcnt(3)
	v_dot4c_i32_i8_e32 v170, v140, v12
	v_dot4c_i32_i8_e32 v170, v141, v13
	s_waitcnt lgkmcnt(2)
	v_dot4c_i32_i8_e32 v170, v164, v6
	v_dot4c_i32_i8_e32 v170, v165, v7
	;; [unrolled: 3-line block ×3, first 2 shown]
	v_bfe_u32 v140, v142, 8, 8
	v_add_u32_e32 v141, 0x6218, v45
	v_mov_b32_e32 v190, 0
	v_mul_lo_u32 v140, v170, v140
	v_mov_b32_e32 v170, 0
	s_waitcnt lgkmcnt(0)
	v_dot4c_i32_i8_e32 v170, v168, v18
	v_add_u32_e32 v18, 0x6208, v45
	v_dot4c_i32_i8_e32 v170, v169, v19
	ds_read2_b32 v[18:19], v18 offset1:1
	v_cvt_f32_i32_e32 v183, v140
	v_add_u32_e32 v140, 0x6210, v45
	v_add_u32_e32 v168, 0x6220, v45
	ds_read2_b32 v[164:165], v140 offset1:1
	ds_read2_b32 v[166:167], v141 offset1:1
	;; [unrolled: 1-line block ×3, first 2 shown]
	s_waitcnt lgkmcnt(3)
	v_dot4c_i32_i8_e32 v170, v18, v20
	ds_read2_b32 v[140:141], v150 offset0:1 offset1:3
	v_dot4c_i32_i8_e32 v170, v19, v21
	s_waitcnt lgkmcnt(3)
	v_dot4c_i32_i8_e32 v170, v164, v14
	v_mov_b32_e32 v18, 0
	v_dot4c_i32_i8_e32 v170, v165, v15
	s_waitcnt lgkmcnt(1)
	v_dot4c_i32_i8_e32 v18, v168, v10
	v_add_u32_e32 v10, 0x6228, v45
	v_dot4c_i32_i8_e32 v170, v166, v16
	v_dot4c_i32_i8_e32 v18, v169, v11
	ds_read2_b32 v[10:11], v10 offset1:1
	v_dot4c_i32_i8_e32 v170, v167, v17
	s_waitcnt lgkmcnt(1)
	v_and_b32_e32 v14, 0xff, v140
	v_add_u32_e32 v16, 0x6238, v45
	v_add_u32_e32 v19, 0x2140, v45
	v_mul_lo_u32 v14, v170, v14
	v_cvt_f32_i32_e32 v186, v14
	v_add_u32_e32 v14, 0x6230, v45
	ds_read2_b32 v[14:15], v14 offset1:1
	ds_read2_b32 v[16:17], v16 offset1:1
	;; [unrolled: 1-line block ×3, first 2 shown]
	s_waitcnt lgkmcnt(3)
	v_dot4c_i32_i8_e32 v18, v10, v12
	v_dot4c_i32_i8_e32 v18, v11, v13
	s_waitcnt lgkmcnt(2)
	v_dot4c_i32_i8_e32 v18, v14, v6
	v_dot4c_i32_i8_e32 v18, v15, v7
	s_waitcnt lgkmcnt(1)
	v_dot4c_i32_i8_e32 v18, v16, v8
	v_dot4c_i32_i8_e32 v18, v17, v9
	v_bfe_u32 v6, v140, 8, 8
	v_lshrrev_b32_e32 v163, 24, v138
	v_cvt_f32_ubyte0_e32 v177, v145
	v_mul_lo_u32 v6, v18, v6
	v_cvt_f32_i32_e32 v188, v6
	ds_read_b128 v[18:21], v39 offset:64
	ds_read_b128 v[14:17], v39 offset:80
	;; [unrolled: 1-line block ×4, first 2 shown]
	ds_read2_b32 v[166:167], v45 offset0:50 offset1:51
	s_waitcnt lgkmcnt(4)
	v_dot4c_i32_i8_e32 v190, v146, v18
	v_dot4c_i32_i8_e32 v190, v147, v19
	ds_read2_b32 v[146:147], v45 offset0:52 offset1:53
	ds_read2_b32 v[168:169], v45 offset0:54 offset1:55
	;; [unrolled: 1-line block ×3, first 2 shown]
	v_cvt_f32_ubyte0_e32 v182, v143
	s_waitcnt lgkmcnt(3)
	v_dot4c_i32_i8_e32 v190, v166, v20
	v_mov_b32_e32 v166, 0
	v_dot4c_i32_i8_e32 v190, v167, v21
	s_waitcnt lgkmcnt(0)
	v_dot4c_i32_i8_e32 v166, v170, v10
	v_dot4c_i32_i8_e32 v166, v171, v11
	;; [unrolled: 1-line block ×10, first 2 shown]
	v_cvt_f32_f16_e32 v155, v4
	v_cvt_f32_f16_sdwa v147, v4 dst_sel:DWORD dst_unused:UNUSED_PAD src0_sel:WORD_1
	v_and_b32_e32 v4, 0xff, v138
	v_bfe_u32 v156, v138, 16, 8
	v_dot4c_i32_i8_e32 v166, v158, v8
	v_mul_lo_u32 v4, v161, v4
	v_mul_lo_u32 v156, v190, v156
	v_dot4c_i32_i8_e32 v166, v159, v9
	v_cvt_f32_f16_e32 v154, v2
	v_cvt_f32_i32_e32 v159, v156
	v_cvt_f32_i32_e32 v158, v4
	v_bfe_u32 v138, v138, 8, 8
	v_mul_lo_u32 v138, v172, v138
	v_cvt_f32_f16_sdwa v146, v2 dst_sel:DWORD dst_unused:UNUSED_PAD src0_sel:WORD_1
	v_pk_fma_f32 v[158:159], v[154:155], v[158:159], 0 op_sel_hi:[1,1,0]
	v_mul_lo_u32 v154, v166, v163
	v_cvt_f32_f16_e32 v157, v5
	v_cvt_f32_f16_e32 v156, v3
	v_cvt_f32_i32_e32 v167, v154
	v_cvt_f32_i32_e32 v166, v138
	v_cvt_f32_f16_sdwa v5, v5 dst_sel:DWORD dst_unused:UNUSED_PAD src0_sel:WORD_1
	v_cvt_f32_f16_sdwa v4, v3 dst_sel:DWORD dst_unused:UNUSED_PAD src0_sel:WORD_1
	v_cvt_f32_ubyte2_e32 v169, v139
	v_cvt_f32_ubyte0_e32 v168, v139
	v_cvt_f32_ubyte0_e32 v187, v141
	v_pk_fma_f32 v[168:169], v[146:147], v[168:169], 0 op_sel_hi:[1,1,0]
	v_pk_fma_f32 v[158:159], v[156:157], v[166:167], v[158:159]
	v_cvt_f32_ubyte3_e32 v167, v139
	v_cvt_f32_ubyte1_e32 v166, v139
	v_fma_mix_f32 v154, v2, v181, 0 op_sel_hi:[1,0,0]
	v_cvt_f32_ubyte1_e32 v189, v141
	v_pk_fma_f32 v[138:139], v[4:5], v[166:167], v[168:169]
	v_fma_mix_f32 v4, v2, v176, 0 op_sel_hi:[1,0,0]
	v_fma_mix_f32 v146, v2, v177, 0 op_sel:[1,0,0] op_sel_hi:[1,0,0]
	v_fma_mix_f32 v156, v2, v182, 0 op_sel:[1,0,0] op_sel_hi:[1,0,0]
	v_fma_mix_f32 v166, v3, v183, v154 op_sel_hi:[1,0,0]
	v_fma_mix_f32 v154, v2, v186, 0 op_sel_hi:[1,0,0]
	v_fma_mix_f32 v2, v2, v187, 0 op_sel:[1,0,0] op_sel_hi:[1,0,0]
	v_cvt_f32_ubyte1_e32 v179, v145
	v_cvt_f32_ubyte1_e32 v184, v143
	v_fma_mix_f32 v169, v3, v189, v2 op_sel:[1,0,0] op_sel_hi:[1,0,0]
	v_add_u32_e32 v2, 0x2148, v45
	v_fma_mix_f32 v4, v3, v178, v4 op_sel_hi:[1,0,0]
	v_fma_mix_f32 v146, v3, v179, v146 op_sel:[1,0,0] op_sel_hi:[1,0,0]
	v_fma_mix_f32 v167, v3, v184, v156 op_sel:[1,0,0] op_sel_hi:[1,0,0]
	v_fma_mix_f32 v168, v3, v188, v154 op_sel_hi:[1,0,0]
	ds_read2_b32 v[2:3], v2 offset1:1
	v_pk_mul_f32 v[138:139], v[138:139], v[162:163] op_sel_hi:[1,0]
	v_mov_b32_e32 v154, 0
	v_pk_fma_f32 v[138:139], v[158:159], v[160:161], v[138:139] op_sel_hi:[1,0,1] neg_lo:[0,0,1] neg_hi:[0,0,1]
	v_dot4c_i32_i8_e32 v154, v164, v18
	v_add_u32_e32 v156, 0x2150, v45
	v_add_u32_e32 v160, 0x2158, v45
	v_add_u32_e32 v162, 0x2160, v45
	v_dot4c_i32_i8_e32 v154, v165, v19
	ds_read2_b32 v[158:159], v156 offset1:1
	ds_read2_b32 v[160:161], v160 offset1:1
	;; [unrolled: 1-line block ×3, first 2 shown]
	s_waitcnt lgkmcnt(3)
	v_dot4c_i32_i8_e32 v154, v2, v20
	v_dot4c_i32_i8_e32 v154, v3, v21
	s_waitcnt lgkmcnt(2)
	v_dot4c_i32_i8_e32 v154, v158, v14
	v_dot4c_i32_i8_e32 v154, v159, v15
	;; [unrolled: 3-line block ×3, first 2 shown]
	v_bfe_u32 v2, v144, 16, 8
	v_lshrrev_b32_e32 v175, 24, v144
	v_mov_b32_e32 v144, 0
	v_mul_lo_u32 v2, v154, v2
	v_add_u32_e32 v154, 0x2168, v45
	ds_read2_b32 v[158:159], v154 offset1:1
	s_waitcnt lgkmcnt(1)
	v_dot4c_i32_i8_e32 v144, v162, v10
	v_add_u32_e32 v156, 0x2170, v45
	v_add_u32_e32 v162, 0x2178, v45
	v_dot4c_i32_i8_e32 v144, v163, v11
	v_add_u32_e32 v154, 0x41c0, v45
	ds_read2_b32 v[160:161], v156 offset1:1
	ds_read2_b32 v[162:163], v162 offset1:1
	;; [unrolled: 1-line block ×3, first 2 shown]
	s_waitcnt lgkmcnt(3)
	v_dot4c_i32_i8_e32 v144, v158, v12
	v_dot4c_i32_i8_e32 v144, v159, v13
	s_waitcnt lgkmcnt(2)
	v_dot4c_i32_i8_e32 v144, v160, v6
	v_dot4c_i32_i8_e32 v144, v161, v7
	s_waitcnt lgkmcnt(1)
	v_dot4c_i32_i8_e32 v144, v162, v8
	v_cvt_f32_f16_sdwa v159, v173 dst_sel:DWORD dst_unused:UNUSED_PAD src0_sel:WORD_1
	v_dot4c_i32_i8_e32 v144, v163, v9
	v_cvt_f32_i32_e32 v2, v2
	v_cvt_f32_f16_e32 v158, v173
	v_mul_f32_e32 v146, v146, v159
	v_mul_lo_u32 v144, v144, v175
	v_cvt_f32_i32_e32 v144, v144
	v_cvt_f32_ubyte2_e32 v3, v145
	v_fma_mix_f32 v161, v4, v173, -v146 op_sel_hi:[0,1,0]
	v_mov_b32_e32 v146, v155
	v_cvt_f32_ubyte3_e32 v145, v145
	v_pk_fma_f32 v[2:3], v[146:147], v[2:3], 0 op_sel_hi:[1,1,0]
	v_mov_b32_e32 v4, v157
	v_pk_fma_f32 v[2:3], v[4:5], v[144:145], v[2:3]
	v_mov_b32_e32 v160, v138
	v_pk_mul_f32 v[144:145], v[2:3], v[158:159]
	v_pk_add_f32 v[136:137], v[136:137], v[160:161]
	v_mov_b32_e32 v145, v144
	v_pk_fma_f32 v[2:3], v[2:3], v[158:159], v[144:145] neg_lo:[1,0,0] neg_hi:[1,0,0]
	v_mov_b32_e32 v156, 0
	v_mov_b32_e32 v2, v139
	v_pk_add_f32 v[136:137], v[136:137], v[2:3]
	v_add_u32_e32 v2, 0x41c8, v45
	ds_read2_b32 v[2:3], v2 offset1:1
	s_waitcnt lgkmcnt(1)
	v_dot4c_i32_i8_e32 v156, v164, v18
	v_add_u32_e32 v138, 0x41d0, v45
	v_add_u32_e32 v144, 0x41d8, v45
	;; [unrolled: 1-line block ×3, first 2 shown]
	v_dot4c_i32_i8_e32 v156, v165, v19
	ds_read2_b32 v[138:139], v138 offset1:1
	ds_read2_b32 v[144:145], v144 offset1:1
	;; [unrolled: 1-line block ×3, first 2 shown]
	s_waitcnt lgkmcnt(3)
	v_dot4c_i32_i8_e32 v156, v2, v20
	v_dot4c_i32_i8_e32 v156, v3, v21
	s_waitcnt lgkmcnt(2)
	v_dot4c_i32_i8_e32 v156, v138, v14
	v_add_u32_e32 v138, 0x41e8, v45
	v_dot4c_i32_i8_e32 v156, v139, v15
	ds_read2_b32 v[138:139], v138 offset1:1
	s_waitcnt lgkmcnt(2)
	v_dot4c_i32_i8_e32 v156, v144, v16
	v_lshrrev_b32_e32 v180, 24, v142
	v_dot4c_i32_i8_e32 v156, v145, v17
	v_bfe_u32 v2, v142, 16, 8
	v_mov_b32_e32 v142, 0
	s_waitcnt lgkmcnt(1)
	v_dot4c_i32_i8_e32 v142, v154, v10
	v_mul_lo_u32 v2, v156, v2
	v_add_u32_e32 v144, 0x41f0, v45
	v_add_u32_e32 v154, 0x41f8, v45
	;; [unrolled: 1-line block ×3, first 2 shown]
	v_dot4c_i32_i8_e32 v142, v155, v11
	ds_read2_b32 v[144:145], v144 offset1:1
	ds_read2_b32 v[154:155], v154 offset1:1
	;; [unrolled: 1-line block ×3, first 2 shown]
	s_waitcnt lgkmcnt(3)
	v_dot4c_i32_i8_e32 v142, v138, v12
	v_dot4c_i32_i8_e32 v142, v139, v13
	s_waitcnt lgkmcnt(2)
	v_dot4c_i32_i8_e32 v142, v144, v6
	v_dot4c_i32_i8_e32 v142, v145, v7
	;; [unrolled: 3-line block ×3, first 2 shown]
	v_cvt_f32_i32_e32 v2, v2
	v_cvt_f32_f16_sdwa v139, v174 dst_sel:DWORD dst_unused:UNUSED_PAD src0_sel:WORD_1
	v_cvt_f32_ubyte2_e32 v3, v143
	v_mul_lo_u32 v138, v142, v180
	v_cvt_f32_i32_e32 v142, v138
	v_cvt_f32_f16_e32 v138, v174
	v_cvt_f32_ubyte3_e32 v143, v143
	v_pk_fma_f32 v[2:3], v[146:147], v[2:3], 0 op_sel_hi:[1,1,0]
	v_mul_f32_e32 v144, v167, v139
	v_pk_fma_f32 v[2:3], v[4:5], v[142:143], v[2:3]
	v_fma_mix_f32 v144, v166, v174, -v144 op_sel_hi:[0,1,0]
	v_pk_mul_f32 v[2:3], v[2:3], v[138:139]
	v_add_f32_e32 v25, v25, v144
	v_sub_f32_e32 v2, v2, v3
	v_add_f32_e32 v25, v25, v2
	v_add_u32_e32 v2, 0x6248, v45
	ds_read2_b32 v[2:3], v2 offset1:1
	v_mov_b32_e32 v144, 0
	s_waitcnt lgkmcnt(1)
	v_dot4c_i32_i8_e32 v144, v156, v18
	v_add_u32_e32 v18, 0x6250, v45
	v_add_u32_e32 v138, 0x6258, v45
	;; [unrolled: 1-line block ×3, first 2 shown]
	v_dot4c_i32_i8_e32 v144, v157, v19
	ds_read2_b32 v[18:19], v18 offset1:1
	ds_read2_b32 v[138:139], v138 offset1:1
	;; [unrolled: 1-line block ×3, first 2 shown]
	s_waitcnt lgkmcnt(3)
	v_dot4c_i32_i8_e32 v144, v2, v20
	v_dot4c_i32_i8_e32 v144, v3, v21
	s_waitcnt lgkmcnt(2)
	v_dot4c_i32_i8_e32 v144, v18, v14
	v_mov_b32_e32 v18, 0
	s_waitcnt lgkmcnt(0)
	v_dot4c_i32_i8_e32 v18, v142, v10
	v_add_u32_e32 v10, 0x6268, v45
	v_dot4c_i32_i8_e32 v18, v143, v11
	ds_read2_b32 v[10:11], v10 offset1:1
	v_add_u32_e32 v14, 0x6270, v45
	v_dot4c_i32_i8_e32 v144, v19, v15
	ds_read2_b32 v[14:15], v14 offset1:1
	v_dot4c_i32_i8_e32 v144, v138, v16
	v_add_u32_e32 v16, 0x6278, v45
	v_dot4c_i32_i8_e32 v144, v139, v17
	ds_read2_b32 v[16:17], v16 offset1:1
	s_waitcnt lgkmcnt(2)
	v_dot4c_i32_i8_e32 v18, v10, v12
	v_dot4c_i32_i8_e32 v18, v11, v13
	s_waitcnt lgkmcnt(1)
	v_dot4c_i32_i8_e32 v18, v14, v6
	v_dot4c_i32_i8_e32 v18, v15, v7
	v_bfe_u32 v2, v140, 16, 8
	s_waitcnt lgkmcnt(0)
	v_dot4c_i32_i8_e32 v18, v16, v8
	v_lshrrev_b32_e32 v185, 24, v140
	v_mul_lo_u32 v2, v144, v2
	v_dot4c_i32_i8_e32 v18, v17, v9
	v_cvt_f32_i32_e32 v2, v2
	v_cvt_f32_f16_sdwa v7, v23 dst_sel:DWORD dst_unused:UNUSED_PAD src0_sel:WORD_1
	v_cvt_f32_ubyte2_e32 v3, v141
	v_mul_lo_u32 v6, v18, v185
	v_cvt_f32_i32_e32 v8, v6
	v_cvt_f32_f16_e32 v6, v23
	v_cvt_f32_ubyte3_e32 v9, v141
	v_pk_fma_f32 v[2:3], v[146:147], v[2:3], 0 op_sel_hi:[1,1,0]
	v_mul_f32_e32 v10, v169, v7
	v_pk_fma_f32 v[2:3], v[4:5], v[8:9], v[2:3]
	v_fma_mix_f32 v10, v168, v23, -v10 op_sel_hi:[0,1,0]
	v_pk_mul_f32 v[2:3], v[2:3], v[6:7]
	v_add_f32_e32 v10, v153, v10
	v_sub_f32_e32 v2, v2, v3
	v_add_f32_e32 v153, v10, v2
	s_barrier
.LBB214_5:                              ;   in Loop: Header=BB214_6 Depth=1
	s_add_i32 s26, s26, -1
	s_addk_i32 s4, 0x100
	v_add_u32_e32 v22, 8, v22
	v_add_u32_e32 v49, 8, v49
	;; [unrolled: 1-line block ×3, first 2 shown]
	v_lshl_add_u64 v[62:63], v[62:63], 0, s[12:13]
	v_lshl_add_u64 v[64:65], v[64:65], 0, s[12:13]
	;; [unrolled: 1-line block ×36, first 2 shown]
	s_cmp_eq_u32 s26, 0
	v_lshl_add_u64 v[134:135], v[134:135], 0, s[12:13]
	s_cbranch_scc1 .LBB214_20
.LBB214_6:                              ; =>This Inner Loop Header: Depth=1
	v_lshl_add_u64 v[2:3], v[64:65], 0, s[18:19]
	global_load_dword v12, v[2:3], off
	v_lshl_add_u64 v[2:3], v[62:63], 0, s[18:19]
	global_load_dword v13, v[2:3], off
	;; [unrolled: 2-line block ×12, first 2 shown]
	v_lshl_add_u64 v[2:3], v[88:89], 0, s[18:19]
	v_lshl_add_u64 v[4:5], v[86:87], 0, s[18:19]
	global_load_dword v139, v[2:3], off
	global_load_dword v140, v[4:5], off
	v_lshl_add_u64 v[6:7], v[92:93], 0, s[18:19]
	v_lshl_add_u64 v[8:9], v[90:91], 0, s[18:19]
	;; [unrolled: 1-line block ×5, first 2 shown]
	global_load_dword v6, v[6:7], off
	s_nop 0
	global_load_dword v7, v[8:9], off
	s_nop 0
	global_load_dword v8, v[2:3], off
	global_load_dword v9, v[10:11], off
	s_nop 0
	global_load_dword v4, v[4:5], off
	s_add_i32 s2, s4, 0xffffff80
	s_cmp_lt_i32 s2, s5
	s_waitcnt vmcnt(18)
	v_lshrrev_b32_e32 v3, 4, v12
	v_and_b32_e32 v2, 0xf0f0f0f, v12
	s_waitcnt vmcnt(17)
	v_ashrrev_i32_e32 v5, v148, v13
	v_ashrrev_i32_e32 v10, v149, v13
	s_waitcnt vmcnt(16)
	v_and_b32_e32 v11, 0xf0f0f0f, v14
	v_lshrrev_b32_e32 v12, 4, v14
	s_waitcnt vmcnt(15)
	v_ashrrev_i32_e32 v13, v148, v15
	v_ashrrev_i32_e32 v14, v149, v15
	s_waitcnt vmcnt(14)
	v_and_b32_e32 v15, 0xf0f0f0f, v16
	v_lshrrev_b32_e32 v16, 4, v16
	;; [unrolled: 6-line block ×3, first 2 shown]
	s_waitcnt vmcnt(11)
	v_ashrrev_i32_e32 v143, v148, v19
	v_ashrrev_i32_e32 v19, v149, v19
	v_and_b32_e32 v3, 0xf0f0f0f, v3
	v_lshlrev_b32_e32 v5, 4, v5
	v_lshlrev_b32_e32 v10, 4, v10
	s_waitcnt vmcnt(10)
	v_and_b32_e32 v144, 0xf0f0f0f, v20
	v_lshrrev_b32_e32 v20, 4, v20
	s_waitcnt vmcnt(9)
	v_ashrrev_i32_e32 v145, v148, v21
	v_ashrrev_i32_e32 v21, v149, v21
	v_and_b32_e32 v12, 0xf0f0f0f, v12
	v_lshlrev_b32_e32 v13, 4, v13
	v_lshlrev_b32_e32 v14, 4, v14
	v_and_b32_e32 v16, 0xf0f0f0f, v16
	v_lshlrev_b32_e32 v141, 4, v141
	v_lshlrev_b32_e32 v17, 4, v17
	;; [unrolled: 3-line block ×3, first 2 shown]
	v_and_or_b32 v2, v5, s6, v2
	v_and_or_b32 v3, v10, s6, v3
	v_and_b32_e32 v20, 0xf0f0f0f, v20
	v_lshlrev_b32_e32 v145, 4, v145
	v_lshlrev_b32_e32 v21, 4, v21
	v_and_or_b32 v5, v13, s6, v11
	v_and_or_b32 v10, v14, s6, v12
	;; [unrolled: 1-line block ×6, first 2 shown]
	ds_write2_b32 v26, v2, v3 offset1:8
	ds_write2_b32 v28, v5, v10 offset1:8
	;; [unrolled: 1-line block ×4, first 2 shown]
	v_lshl_add_u64 v[2:3], v[98:99], 0, s[18:19]
	v_and_or_b32 v5, v145, s6, v144
	global_load_dword v10, v[2:3], off
	v_and_or_b32 v2, v21, s6, v20
	ds_write2_b32 v34, v5, v2 offset1:8
	s_waitcnt vmcnt(9)
	v_lshrrev_b32_e32 v2, 4, v23
	v_and_b32_e32 v11, 0xf0f0f0f, v2
	v_lshl_add_u64 v[2:3], v[104:105], 0, s[18:19]
	global_load_dword v12, v[2:3], off
	v_lshl_add_u64 v[2:3], v[102:103], 0, s[18:19]
	s_waitcnt vmcnt(9)
	v_ashrrev_i32_e32 v13, v148, v138
	global_load_dword v14, v[2:3], off
	v_ashrrev_i32_e32 v3, v149, v138
	v_and_b32_e32 v5, 0xf0f0f0f, v23
	v_lshlrev_b32_e32 v2, 4, v13
	v_lshlrev_b32_e32 v3, 4, v3
	v_and_or_b32 v5, v2, s6, v5
	v_and_or_b32 v11, v3, s6, v11
	v_lshl_add_u64 v[2:3], v[108:109], 0, s[18:19]
	global_load_dword v13, v[2:3], off
	v_lshl_add_u64 v[2:3], v[106:107], 0, s[18:19]
	ds_write2_b32 v36, v5, v11 offset1:8
	global_load_dword v5, v[2:3], off
	s_waitcnt vmcnt(11)
	v_lshrrev_b32_e32 v2, 4, v139
	v_and_b32_e32 v15, 0xf0f0f0f, v2
	s_waitcnt vmcnt(10)
	v_ashrrev_i32_e32 v2, v148, v140
	v_lshlrev_b32_e32 v16, 4, v2
	v_lshl_add_u64 v[2:3], v[112:113], 0, s[18:19]
	global_load_dword v17, v[2:3], off
	v_ashrrev_i32_e32 v18, v149, v140
	v_lshl_add_u64 v[2:3], v[110:111], 0, s[18:19]
	v_and_b32_e32 v11, 0xf0f0f0f, v139
	global_load_dword v19, v[2:3], off
	v_lshlrev_b32_e32 v2, 4, v18
	v_and_or_b32 v3, v16, s6, v11
	v_and_or_b32 v2, v2, s6, v15
	ds_write2_b32 v38, v3, v2 offset1:8
	v_lshl_add_u64 v[2:3], v[116:117], 0, s[18:19]
	global_load_dword v15, v[2:3], off
	v_lshl_add_u64 v[2:3], v[114:115], 0, s[18:19]
	global_load_dword v16, v[2:3], off
	s_waitcnt vmcnt(12)
	v_ashrrev_i32_e32 v2, v148, v7
	v_lshlrev_b32_e32 v18, 4, v2
	v_ashrrev_i32_e32 v2, v149, v7
	v_and_b32_e32 v11, 0xf0f0f0f, v6
	v_lshrrev_b32_e32 v6, 4, v6
	v_lshlrev_b32_e32 v7, 4, v2
	v_lshl_add_u64 v[2:3], v[120:121], 0, s[18:19]
	v_and_b32_e32 v6, 0xf0f0f0f, v6
	global_load_dword v20, v[2:3], off
	v_lshl_add_u64 v[2:3], v[118:119], 0, s[18:19]
	v_and_or_b32 v11, v18, s6, v11
	global_load_dword v18, v[2:3], off
	v_and_or_b32 v2, v7, s6, v6
	ds_write2_b32 v40, v11, v2 offset1:8
	s_waitcnt vmcnt(13)
	v_lshrrev_b32_e32 v2, 4, v8
	v_and_b32_e32 v7, 0xf0f0f0f, v2
	v_lshl_add_u64 v[2:3], v[124:125], 0, s[18:19]
	v_and_b32_e32 v6, 0xf0f0f0f, v8
	global_load_dword v8, v[2:3], off
	s_waitcnt vmcnt(13)
	v_ashrrev_i32_e32 v11, v148, v9
	v_lshl_add_u64 v[2:3], v[122:123], 0, s[18:19]
	global_load_dword v21, v[2:3], off
	v_lshlrev_b32_e32 v2, 4, v11
	v_ashrrev_i32_e32 v3, v149, v9
	v_lshlrev_b32_e32 v9, 4, v3
	v_and_or_b32 v6, v2, s6, v6
	v_lshl_add_u64 v[2:3], v[126:127], 0, s[18:19]
	global_load_dword v11, v[2:3], off
	v_lshl_add_u64 v[2:3], v[128:129], 0, s[18:19]
	global_load_dword v23, v[2:3], off
	;; [unrolled: 2-line block ×3, first 2 shown]
	v_lshl_add_u64 v[2:3], v[132:133], 0, s[18:19]
	v_and_or_b32 v7, v9, s6, v7
	global_load_dword v9, v[2:3], off
	v_lshl_add_u64 v[2:3], v[134:135], 0, s[18:19]
	global_load_dword v2, v[2:3], off
	ds_write2_b32 v42, v6, v7 offset1:8
	s_waitcnt vmcnt(18)
	v_and_b32_e32 v3, 0xf0f0f0f, v4
	v_lshrrev_b32_e32 v4, 4, v4
	v_and_b32_e32 v4, 0xf0f0f0f, v4
	s_waitcnt vmcnt(17)
	v_ashrrev_i32_e32 v6, v148, v10
	v_ashrrev_i32_e32 v7, v149, v10
	v_lshlrev_b32_e32 v6, 4, v6
	v_lshlrev_b32_e32 v7, 4, v7
	v_and_or_b32 v3, v6, s6, v3
	v_and_or_b32 v4, v7, s6, v4
	ds_write2_b32 v44, v3, v4 offset1:8
	s_waitcnt vmcnt(16)
	v_lshrrev_b32_e32 v4, 4, v12
	v_and_b32_e32 v3, 0xf0f0f0f, v12
	s_waitcnt vmcnt(15)
	v_ashrrev_i32_e32 v6, v148, v14
	v_ashrrev_i32_e32 v7, v149, v14
	v_and_b32_e32 v4, 0xf0f0f0f, v4
	v_lshlrev_b32_e32 v6, 4, v6
	v_lshlrev_b32_e32 v7, 4, v7
	v_and_or_b32 v3, v6, s6, v3
	v_and_or_b32 v4, v7, s6, v4
	ds_write2_b32 v46, v3, v4 offset1:8
	s_waitcnt vmcnt(14)
	v_lshrrev_b32_e32 v4, 4, v13
	v_and_b32_e32 v3, 0xf0f0f0f, v13
	v_and_b32_e32 v4, 0xf0f0f0f, v4
	s_waitcnt vmcnt(13)
	v_ashrrev_i32_e32 v6, v148, v5
	v_ashrrev_i32_e32 v5, v149, v5
	v_lshlrev_b32_e32 v6, 4, v6
	v_lshlrev_b32_e32 v5, 4, v5
	v_and_or_b32 v3, v6, s6, v3
	v_and_or_b32 v4, v5, s6, v4
	ds_write2_b32 v48, v3, v4 offset1:8
	s_waitcnt vmcnt(12)
	v_lshrrev_b32_e32 v4, 4, v17
	v_and_b32_e32 v3, 0xf0f0f0f, v17
	v_and_b32_e32 v4, 0xf0f0f0f, v4
	s_waitcnt vmcnt(11)
	v_ashrrev_i32_e32 v5, v148, v19
	v_ashrrev_i32_e32 v6, v149, v19
	v_lshlrev_b32_e32 v5, 4, v5
	v_lshlrev_b32_e32 v6, 4, v6
	v_and_or_b32 v3, v5, s6, v3
	v_and_or_b32 v4, v6, s6, v4
	ds_write2_b32 v50, v3, v4 offset1:8
	s_waitcnt vmcnt(10)
	v_lshrrev_b32_e32 v4, 4, v15
	s_waitcnt vmcnt(9)
	v_ashrrev_i32_e32 v5, v148, v16
	v_ashrrev_i32_e32 v6, v149, v16
	v_and_b32_e32 v3, 0xf0f0f0f, v15
	v_and_b32_e32 v4, 0xf0f0f0f, v4
	v_lshlrev_b32_e32 v5, 4, v5
	v_lshlrev_b32_e32 v6, 4, v6
	v_and_or_b32 v3, v5, s6, v3
	v_and_or_b32 v4, v6, s6, v4
	ds_write2_b32 v52, v3, v4 offset1:8
	s_waitcnt vmcnt(8)
	v_lshrrev_b32_e32 v4, 4, v20
	v_and_b32_e32 v3, 0xf0f0f0f, v20
	v_and_b32_e32 v4, 0xf0f0f0f, v4
	s_waitcnt vmcnt(7)
	v_ashrrev_i32_e32 v5, v148, v18
	v_ashrrev_i32_e32 v6, v149, v18
	v_lshlrev_b32_e32 v5, 4, v5
	v_lshlrev_b32_e32 v6, 4, v6
	v_and_or_b32 v3, v5, s6, v3
	v_and_or_b32 v4, v6, s6, v4
	ds_write2_b32 v54, v3, v4 offset1:8
	s_waitcnt vmcnt(6)
	v_lshrrev_b32_e32 v4, 4, v8
	v_and_b32_e32 v3, 0xf0f0f0f, v8
	v_and_b32_e32 v4, 0xf0f0f0f, v4
	s_waitcnt vmcnt(5)
	v_ashrrev_i32_e32 v5, v148, v21
	v_ashrrev_i32_e32 v6, v149, v21
	v_lshlrev_b32_e32 v5, 4, v5
	v_lshlrev_b32_e32 v6, 4, v6
	v_and_or_b32 v3, v5, s6, v3
	v_and_or_b32 v4, v6, s6, v4
	ds_write2_b32 v56, v3, v4 offset1:8
	s_waitcnt vmcnt(4)
	ds_write_b32 v27, v11
	s_waitcnt vmcnt(3)
	v_ashrrev_i32_e32 v3, v29, v23
	v_and_b32_e32 v3, 0xf0f0f0f, v3
	s_waitcnt vmcnt(2)
	v_ashrrev_i32_e32 v4, v31, v138
	v_and_or_b32 v3, v4, s24, v3
	ds_write_b32 v24, v3
	s_waitcnt vmcnt(1)
	v_ashrrev_i32_e32 v3, v29, v9
	v_and_b32_e32 v3, 0xf0f0f0f, v3
	s_waitcnt vmcnt(0)
	v_ashrrev_i32_e32 v2, v31, v2
	v_and_or_b32 v2, v2, s24, v3
	ds_write_b32 v152, v2
	s_cbranch_scc0 .LBB214_5
; %bb.7:                                ;   in Loop: Header=BB214_6 Depth=1
	v_cmp_gt_i32_e64 s[2:3], s8, v37
	s_and_b64 s[22:23], s[0:1], s[2:3]
	s_and_saveexec_b64 s[2:3], s[22:23]
	s_cbranch_execz .LBB214_9
; %bb.8:                                ;   in Loop: Header=BB214_6 Depth=1
	v_add_u32_e32 v2, v60, v37
	v_mad_i64_i32 v[2:3], s[22:23], v2, 36, v[58:59]
	global_load_dword v2, v[2:3], off offset:4
	s_waitcnt vmcnt(0)
	ds_write_b32 v33, v2
.LBB214_9:                              ;   in Loop: Header=BB214_6 Depth=1
	s_or_b64 exec, exec, s[2:3]
	s_and_saveexec_b64 s[22:23], vcc
	s_cbranch_execz .LBB214_12
; %bb.10:                               ;   in Loop: Header=BB214_6 Depth=1
	v_cmp_gt_i32_e64 s[2:3], s8, v22
	s_and_b64 s[2:3], s[0:1], s[2:3]
	s_and_b64 exec, exec, s[2:3]
	s_cbranch_execz .LBB214_12
; %bb.11:                               ;   in Loop: Header=BB214_6 Depth=1
	v_add_u32_e32 v2, v60, v22
	v_mad_i64_i32 v[2:3], s[2:3], v2, 36, s[14:15]
	global_load_dword v2, v[2:3], off
	s_waitcnt vmcnt(0)
	ds_write_b32 v35, v2
.LBB214_12:                             ;   in Loop: Header=BB214_6 Depth=1
	s_or_b64 exec, exec, s[22:23]
	s_waitcnt lgkmcnt(0)
	s_barrier
	ds_read_b128 v[18:21], v39
	ds_read_b128 v[14:17], v39 offset:16
	ds_read_b128 v[2:5], v41 offset:36944
	ds_read2_b32 v[138:139], v45 offset1:1
	ds_read_b128 v[10:13], v39 offset:32
	ds_read_b128 v[6:9], v39 offset:48
	ds_read_b32 v23, v47
	ds_read2_b32 v[140:141], v45 offset0:2 offset1:3
	v_mov_b32_e32 v161, 0
	s_waitcnt lgkmcnt(4)
	v_dot4c_i32_i8_e32 v161, v138, v18
	v_dot4c_i32_i8_e32 v161, v139, v19
	ds_read2_b32 v[142:143], v45 offset0:4 offset1:5
	ds_read2_b32 v[144:145], v45 offset0:6 offset1:7
	;; [unrolled: 1-line block ×3, first 2 shown]
	s_waitcnt lgkmcnt(3)
	v_dot4c_i32_i8_e32 v161, v140, v20
	v_dot4c_i32_i8_e32 v161, v141, v21
	ds_read2_b32 v[140:141], v45 offset0:10 offset1:11
	v_mov_b32_e32 v172, 0
	s_waitcnt lgkmcnt(3)
	v_dot4c_i32_i8_e32 v161, v142, v14
	s_waitcnt lgkmcnt(1)
	v_dot4c_i32_i8_e32 v172, v146, v10
	v_dot4c_i32_i8_e32 v161, v143, v15
	;; [unrolled: 1-line block ×4, first 2 shown]
	s_waitcnt lgkmcnt(0)
	v_dot4c_i32_i8_e32 v172, v140, v12
	v_cvt_f32_f16_e32 v160, v23
	v_cvt_f32_f16_sdwa v162, v23 dst_sel:DWORD dst_unused:UNUSED_PAD src0_sel:WORD_1
	v_add_u32_e32 v23, 0x2080, v45
	ds_read2_b32 v[138:139], v43 offset1:2
	v_dot4c_i32_i8_e32 v161, v145, v17
	ds_read2_b32 v[142:143], v45 offset0:12 offset1:13
	ds_read2_b32 v[144:145], v45 offset0:14 offset1:15
	;; [unrolled: 1-line block ×3, first 2 shown]
	v_dot4c_i32_i8_e32 v172, v141, v13
	ds_read2_b32 v[154:155], v45 offset0:26 offset1:27
	ds_read2_b32 v[156:157], v45 offset0:28 offset1:29
	;; [unrolled: 1-line block ×3, first 2 shown]
	ds_read2_b32 v[140:141], v23 offset1:1
	v_mov_b32_e32 v168, 0
	ds_read_b32 v173, v53 offset:128
	ds_read_b32 v174, v57 offset:256
	;; [unrolled: 1-line block ×3, first 2 shown]
	s_waitcnt lgkmcnt(9)
	v_dot4c_i32_i8_e32 v172, v142, v6
	v_dot4c_i32_i8_e32 v172, v143, v7
	s_waitcnt lgkmcnt(3)
	v_dot4c_i32_i8_e32 v168, v140, v18
	v_add_u32_e32 v140, 0x2088, v45
	v_dot4c_i32_i8_e32 v168, v141, v19
	ds_read2_b32 v[140:141], v140 offset1:1
	v_dot4c_i32_i8_e32 v172, v144, v8
	v_add_u32_e32 v142, 0x2090, v45
	v_dot4c_i32_i8_e32 v172, v145, v9
	v_add_u32_e32 v144, 0x2098, v45
	v_add_u32_e32 v145, 0x20a0, v45
	ds_read2_b32 v[142:143], v142 offset1:1
	ds_read2_b32 v[164:165], v144 offset1:1
	ds_read2_b32 v[166:167], v145 offset1:1
	s_waitcnt lgkmcnt(3)
	v_dot4c_i32_i8_e32 v168, v140, v20
	ds_read2_b32 v[144:145], v51 offset1:2
	v_dot4c_i32_i8_e32 v168, v141, v21
	s_waitcnt lgkmcnt(3)
	v_dot4c_i32_i8_e32 v168, v142, v14
	v_dot4c_i32_i8_e32 v168, v143, v15
	s_waitcnt lgkmcnt(2)
	v_dot4c_i32_i8_e32 v168, v164, v16
	v_dot4c_i32_i8_e32 v168, v165, v17
	s_waitcnt lgkmcnt(0)
	v_and_b32_e32 v140, 0xff, v144
	v_add_u32_e32 v142, 0x20b0, v45
	v_add_u32_e32 v164, 0x20b8, v45
	v_mul_lo_u32 v140, v168, v140
	v_cvt_f32_i32_e32 v176, v140
	v_add_u32_e32 v140, 0x20a8, v45
	ds_read2_b32 v[140:141], v140 offset1:1
	v_mov_b32_e32 v168, 0
	v_dot4c_i32_i8_e32 v168, v166, v10
	v_add_u32_e32 v166, 0x4100, v45
	v_dot4c_i32_i8_e32 v168, v167, v11
	ds_read2_b32 v[142:143], v142 offset1:1
	ds_read2_b32 v[164:165], v164 offset1:1
	;; [unrolled: 1-line block ×3, first 2 shown]
	s_waitcnt lgkmcnt(3)
	v_dot4c_i32_i8_e32 v168, v140, v12
	v_dot4c_i32_i8_e32 v168, v141, v13
	s_waitcnt lgkmcnt(2)
	v_dot4c_i32_i8_e32 v168, v142, v6
	v_dot4c_i32_i8_e32 v168, v143, v7
	;; [unrolled: 3-line block ×3, first 2 shown]
	v_bfe_u32 v140, v144, 8, 8
	v_mov_b32_e32 v170, 0
	s_waitcnt lgkmcnt(0)
	v_dot4c_i32_i8_e32 v170, v166, v18
	v_mul_lo_u32 v140, v168, v140
	v_cvt_f32_i32_e32 v178, v140
	v_add_u32_e32 v140, 0x4108, v45
	ds_read2_b32 v[140:141], v140 offset1:1
	v_add_u32_e32 v142, 0x4110, v45
	v_add_u32_e32 v168, 0x4120, v45
	v_dot4c_i32_i8_e32 v170, v167, v19
	v_add_u32_e32 v143, 0x4118, v45
	ds_read2_b32 v[164:165], v142 offset1:1
	ds_read2_b32 v[166:167], v143 offset1:1
	;; [unrolled: 1-line block ×3, first 2 shown]
	s_waitcnt lgkmcnt(3)
	v_dot4c_i32_i8_e32 v170, v140, v20
	ds_read2_b32 v[142:143], v55 offset1:2
	v_dot4c_i32_i8_e32 v170, v141, v21
	s_waitcnt lgkmcnt(3)
	v_dot4c_i32_i8_e32 v170, v164, v14
	v_dot4c_i32_i8_e32 v170, v165, v15
	s_waitcnt lgkmcnt(2)
	v_dot4c_i32_i8_e32 v170, v166, v16
	v_dot4c_i32_i8_e32 v170, v167, v17
	s_waitcnt lgkmcnt(0)
	v_and_b32_e32 v140, 0xff, v142
	v_add_u32_e32 v164, 0x4130, v45
	v_add_u32_e32 v166, 0x4138, v45
	v_mul_lo_u32 v140, v170, v140
	v_cvt_f32_i32_e32 v181, v140
	v_add_u32_e32 v140, 0x4128, v45
	ds_read2_b32 v[140:141], v140 offset1:1
	v_mov_b32_e32 v170, 0
	v_dot4c_i32_i8_e32 v170, v168, v10
	v_add_u32_e32 v168, 0x6180, v45
	v_dot4c_i32_i8_e32 v170, v169, v11
	ds_read2_b32 v[164:165], v164 offset1:1
	ds_read2_b32 v[166:167], v166 offset1:1
	ds_read2_b32 v[168:169], v168 offset1:1
	s_waitcnt lgkmcnt(3)
	v_dot4c_i32_i8_e32 v170, v140, v12
	v_dot4c_i32_i8_e32 v170, v141, v13
	s_waitcnt lgkmcnt(2)
	v_dot4c_i32_i8_e32 v170, v164, v6
	v_dot4c_i32_i8_e32 v170, v165, v7
	;; [unrolled: 3-line block ×3, first 2 shown]
	v_bfe_u32 v140, v142, 8, 8
	v_add_u32_e32 v141, 0x6198, v45
	v_mov_b32_e32 v190, 0
	v_mul_lo_u32 v140, v170, v140
	v_mov_b32_e32 v170, 0
	s_waitcnt lgkmcnt(0)
	v_dot4c_i32_i8_e32 v170, v168, v18
	v_add_u32_e32 v18, 0x6188, v45
	v_dot4c_i32_i8_e32 v170, v169, v19
	ds_read2_b32 v[18:19], v18 offset1:1
	v_cvt_f32_i32_e32 v183, v140
	v_add_u32_e32 v140, 0x6190, v45
	v_add_u32_e32 v168, 0x61a0, v45
	ds_read2_b32 v[164:165], v140 offset1:1
	ds_read2_b32 v[166:167], v141 offset1:1
	ds_read2_b32 v[168:169], v168 offset1:1
	s_waitcnt lgkmcnt(3)
	v_dot4c_i32_i8_e32 v170, v18, v20
	ds_read2_b32 v[140:141], v150 offset1:2
	v_dot4c_i32_i8_e32 v170, v19, v21
	s_waitcnt lgkmcnt(3)
	v_dot4c_i32_i8_e32 v170, v164, v14
	v_mov_b32_e32 v18, 0
	v_dot4c_i32_i8_e32 v170, v165, v15
	s_waitcnt lgkmcnt(1)
	v_dot4c_i32_i8_e32 v18, v168, v10
	v_add_u32_e32 v10, 0x61a8, v45
	v_dot4c_i32_i8_e32 v170, v166, v16
	v_dot4c_i32_i8_e32 v18, v169, v11
	ds_read2_b32 v[10:11], v10 offset1:1
	v_dot4c_i32_i8_e32 v170, v167, v17
	s_waitcnt lgkmcnt(1)
	v_and_b32_e32 v14, 0xff, v140
	v_add_u32_e32 v16, 0x61b8, v45
	v_add_u32_e32 v19, 0x20c0, v45
	v_mul_lo_u32 v14, v170, v14
	v_cvt_f32_i32_e32 v186, v14
	v_add_u32_e32 v14, 0x61b0, v45
	ds_read2_b32 v[14:15], v14 offset1:1
	ds_read2_b32 v[16:17], v16 offset1:1
	;; [unrolled: 1-line block ×3, first 2 shown]
	s_waitcnt lgkmcnt(3)
	v_dot4c_i32_i8_e32 v18, v10, v12
	v_dot4c_i32_i8_e32 v18, v11, v13
	s_waitcnt lgkmcnt(2)
	v_dot4c_i32_i8_e32 v18, v14, v6
	v_dot4c_i32_i8_e32 v18, v15, v7
	;; [unrolled: 3-line block ×3, first 2 shown]
	v_bfe_u32 v6, v140, 8, 8
	v_lshrrev_b32_e32 v163, 24, v138
	v_cvt_f32_ubyte0_e32 v177, v145
	v_mul_lo_u32 v6, v18, v6
	v_cvt_f32_i32_e32 v188, v6
	ds_read_b128 v[18:21], v39 offset:64
	ds_read_b128 v[14:17], v39 offset:80
	;; [unrolled: 1-line block ×4, first 2 shown]
	ds_read2_b32 v[166:167], v45 offset0:18 offset1:19
	s_waitcnt lgkmcnt(4)
	v_dot4c_i32_i8_e32 v190, v146, v18
	v_dot4c_i32_i8_e32 v190, v147, v19
	ds_read2_b32 v[146:147], v45 offset0:20 offset1:21
	ds_read2_b32 v[168:169], v45 offset0:22 offset1:23
	;; [unrolled: 1-line block ×3, first 2 shown]
	v_cvt_f32_ubyte0_e32 v182, v143
	s_waitcnt lgkmcnt(3)
	v_dot4c_i32_i8_e32 v190, v166, v20
	v_mov_b32_e32 v166, 0
	v_dot4c_i32_i8_e32 v190, v167, v21
	s_waitcnt lgkmcnt(0)
	v_dot4c_i32_i8_e32 v166, v170, v10
	v_dot4c_i32_i8_e32 v166, v171, v11
	;; [unrolled: 1-line block ×10, first 2 shown]
	v_cvt_f32_f16_e32 v155, v4
	v_cvt_f32_f16_sdwa v147, v4 dst_sel:DWORD dst_unused:UNUSED_PAD src0_sel:WORD_1
	v_and_b32_e32 v4, 0xff, v138
	v_bfe_u32 v156, v138, 16, 8
	v_dot4c_i32_i8_e32 v166, v158, v8
	v_mul_lo_u32 v4, v161, v4
	v_mul_lo_u32 v156, v190, v156
	v_dot4c_i32_i8_e32 v166, v159, v9
	v_cvt_f32_f16_e32 v154, v2
	v_cvt_f32_i32_e32 v159, v156
	v_cvt_f32_i32_e32 v158, v4
	v_bfe_u32 v138, v138, 8, 8
	v_mul_lo_u32 v138, v172, v138
	v_cvt_f32_f16_sdwa v146, v2 dst_sel:DWORD dst_unused:UNUSED_PAD src0_sel:WORD_1
	v_pk_fma_f32 v[158:159], v[154:155], v[158:159], 0 op_sel_hi:[1,1,0]
	v_mul_lo_u32 v154, v166, v163
	v_cvt_f32_f16_e32 v157, v5
	v_cvt_f32_f16_e32 v156, v3
	v_cvt_f32_i32_e32 v167, v154
	v_cvt_f32_i32_e32 v166, v138
	v_cvt_f32_f16_sdwa v5, v5 dst_sel:DWORD dst_unused:UNUSED_PAD src0_sel:WORD_1
	v_cvt_f32_f16_sdwa v4, v3 dst_sel:DWORD dst_unused:UNUSED_PAD src0_sel:WORD_1
	v_cvt_f32_ubyte2_e32 v169, v139
	v_cvt_f32_ubyte0_e32 v168, v139
	v_cvt_f32_ubyte0_e32 v187, v141
	v_pk_fma_f32 v[168:169], v[146:147], v[168:169], 0 op_sel_hi:[1,1,0]
	v_pk_fma_f32 v[158:159], v[156:157], v[166:167], v[158:159]
	v_cvt_f32_ubyte3_e32 v167, v139
	v_cvt_f32_ubyte1_e32 v166, v139
	v_fma_mix_f32 v154, v2, v181, 0 op_sel_hi:[1,0,0]
	v_cvt_f32_ubyte1_e32 v189, v141
	v_pk_fma_f32 v[138:139], v[4:5], v[166:167], v[168:169]
	v_fma_mix_f32 v4, v2, v176, 0 op_sel_hi:[1,0,0]
	v_fma_mix_f32 v146, v2, v177, 0 op_sel:[1,0,0] op_sel_hi:[1,0,0]
	v_fma_mix_f32 v156, v2, v182, 0 op_sel:[1,0,0] op_sel_hi:[1,0,0]
	v_fma_mix_f32 v166, v3, v183, v154 op_sel_hi:[1,0,0]
	v_fma_mix_f32 v154, v2, v186, 0 op_sel_hi:[1,0,0]
	v_fma_mix_f32 v2, v2, v187, 0 op_sel:[1,0,0] op_sel_hi:[1,0,0]
	v_cvt_f32_ubyte1_e32 v179, v145
	v_cvt_f32_ubyte1_e32 v184, v143
	v_fma_mix_f32 v169, v3, v189, v2 op_sel:[1,0,0] op_sel_hi:[1,0,0]
	v_add_u32_e32 v2, 0x20c8, v45
	v_fma_mix_f32 v4, v3, v178, v4 op_sel_hi:[1,0,0]
	v_fma_mix_f32 v146, v3, v179, v146 op_sel:[1,0,0] op_sel_hi:[1,0,0]
	v_fma_mix_f32 v167, v3, v184, v156 op_sel:[1,0,0] op_sel_hi:[1,0,0]
	v_fma_mix_f32 v168, v3, v188, v154 op_sel_hi:[1,0,0]
	ds_read2_b32 v[2:3], v2 offset1:1
	v_pk_mul_f32 v[138:139], v[138:139], v[162:163] op_sel_hi:[1,0]
	v_mov_b32_e32 v154, 0
	v_pk_fma_f32 v[138:139], v[158:159], v[160:161], v[138:139] op_sel_hi:[1,0,1] neg_lo:[0,0,1] neg_hi:[0,0,1]
	v_dot4c_i32_i8_e32 v154, v164, v18
	v_add_u32_e32 v156, 0x20d0, v45
	v_add_u32_e32 v160, 0x20d8, v45
	;; [unrolled: 1-line block ×3, first 2 shown]
	v_dot4c_i32_i8_e32 v154, v165, v19
	ds_read2_b32 v[158:159], v156 offset1:1
	ds_read2_b32 v[160:161], v160 offset1:1
	;; [unrolled: 1-line block ×3, first 2 shown]
	s_waitcnt lgkmcnt(3)
	v_dot4c_i32_i8_e32 v154, v2, v20
	v_dot4c_i32_i8_e32 v154, v3, v21
	s_waitcnt lgkmcnt(2)
	v_dot4c_i32_i8_e32 v154, v158, v14
	v_dot4c_i32_i8_e32 v154, v159, v15
	;; [unrolled: 3-line block ×3, first 2 shown]
	v_bfe_u32 v2, v144, 16, 8
	v_lshrrev_b32_e32 v175, 24, v144
	v_mov_b32_e32 v144, 0
	v_mul_lo_u32 v2, v154, v2
	v_add_u32_e32 v154, 0x20e8, v45
	ds_read2_b32 v[158:159], v154 offset1:1
	s_waitcnt lgkmcnt(1)
	v_dot4c_i32_i8_e32 v144, v162, v10
	v_add_u32_e32 v156, 0x20f0, v45
	v_add_u32_e32 v162, 0x20f8, v45
	v_dot4c_i32_i8_e32 v144, v163, v11
	v_add_u32_e32 v154, 0x4140, v45
	ds_read2_b32 v[160:161], v156 offset1:1
	ds_read2_b32 v[162:163], v162 offset1:1
	;; [unrolled: 1-line block ×3, first 2 shown]
	s_waitcnt lgkmcnt(3)
	v_dot4c_i32_i8_e32 v144, v158, v12
	v_dot4c_i32_i8_e32 v144, v159, v13
	s_waitcnt lgkmcnt(2)
	v_dot4c_i32_i8_e32 v144, v160, v6
	v_dot4c_i32_i8_e32 v144, v161, v7
	s_waitcnt lgkmcnt(1)
	v_dot4c_i32_i8_e32 v144, v162, v8
	v_cvt_f32_f16_sdwa v159, v173 dst_sel:DWORD dst_unused:UNUSED_PAD src0_sel:WORD_1
	v_dot4c_i32_i8_e32 v144, v163, v9
	v_cvt_f32_i32_e32 v2, v2
	v_cvt_f32_f16_e32 v158, v173
	v_mul_f32_e32 v146, v146, v159
	v_mul_lo_u32 v144, v144, v175
	v_cvt_f32_i32_e32 v144, v144
	v_cvt_f32_ubyte2_e32 v3, v145
	v_fma_mix_f32 v161, v4, v173, -v146 op_sel_hi:[0,1,0]
	v_mov_b32_e32 v146, v155
	v_cvt_f32_ubyte3_e32 v145, v145
	v_pk_fma_f32 v[2:3], v[146:147], v[2:3], 0 op_sel_hi:[1,1,0]
	v_mov_b32_e32 v4, v157
	v_pk_fma_f32 v[2:3], v[4:5], v[144:145], v[2:3]
	v_mov_b32_e32 v160, v138
	v_pk_mul_f32 v[144:145], v[2:3], v[158:159]
	v_pk_add_f32 v[136:137], v[136:137], v[160:161]
	v_mov_b32_e32 v145, v144
	v_pk_fma_f32 v[2:3], v[2:3], v[158:159], v[144:145] neg_lo:[1,0,0] neg_hi:[1,0,0]
	v_mov_b32_e32 v156, 0
	v_mov_b32_e32 v2, v139
	v_pk_add_f32 v[136:137], v[136:137], v[2:3]
	v_add_u32_e32 v2, 0x4148, v45
	ds_read2_b32 v[2:3], v2 offset1:1
	s_waitcnt lgkmcnt(1)
	v_dot4c_i32_i8_e32 v156, v164, v18
	v_add_u32_e32 v138, 0x4150, v45
	v_add_u32_e32 v144, 0x4158, v45
	;; [unrolled: 1-line block ×3, first 2 shown]
	v_dot4c_i32_i8_e32 v156, v165, v19
	ds_read2_b32 v[138:139], v138 offset1:1
	ds_read2_b32 v[144:145], v144 offset1:1
	ds_read2_b32 v[154:155], v154 offset1:1
	s_waitcnt lgkmcnt(3)
	v_dot4c_i32_i8_e32 v156, v2, v20
	v_dot4c_i32_i8_e32 v156, v3, v21
	s_waitcnt lgkmcnt(2)
	v_dot4c_i32_i8_e32 v156, v138, v14
	v_add_u32_e32 v138, 0x4168, v45
	v_dot4c_i32_i8_e32 v156, v139, v15
	ds_read2_b32 v[138:139], v138 offset1:1
	s_waitcnt lgkmcnt(2)
	v_dot4c_i32_i8_e32 v156, v144, v16
	v_lshrrev_b32_e32 v180, 24, v142
	v_dot4c_i32_i8_e32 v156, v145, v17
	v_bfe_u32 v2, v142, 16, 8
	v_mov_b32_e32 v142, 0
	s_waitcnt lgkmcnt(1)
	v_dot4c_i32_i8_e32 v142, v154, v10
	v_mul_lo_u32 v2, v156, v2
	v_add_u32_e32 v144, 0x4170, v45
	v_add_u32_e32 v154, 0x4178, v45
	;; [unrolled: 1-line block ×3, first 2 shown]
	v_dot4c_i32_i8_e32 v142, v155, v11
	ds_read2_b32 v[144:145], v144 offset1:1
	ds_read2_b32 v[154:155], v154 offset1:1
	;; [unrolled: 1-line block ×3, first 2 shown]
	s_waitcnt lgkmcnt(3)
	v_dot4c_i32_i8_e32 v142, v138, v12
	v_dot4c_i32_i8_e32 v142, v139, v13
	s_waitcnt lgkmcnt(2)
	v_dot4c_i32_i8_e32 v142, v144, v6
	v_dot4c_i32_i8_e32 v142, v145, v7
	;; [unrolled: 3-line block ×3, first 2 shown]
	v_cvt_f32_i32_e32 v2, v2
	v_cvt_f32_f16_sdwa v139, v174 dst_sel:DWORD dst_unused:UNUSED_PAD src0_sel:WORD_1
	v_cvt_f32_ubyte2_e32 v3, v143
	v_mul_lo_u32 v138, v142, v180
	v_cvt_f32_i32_e32 v142, v138
	v_cvt_f32_f16_e32 v138, v174
	v_cvt_f32_ubyte3_e32 v143, v143
	v_pk_fma_f32 v[2:3], v[146:147], v[2:3], 0 op_sel_hi:[1,1,0]
	v_mul_f32_e32 v144, v167, v139
	v_pk_fma_f32 v[2:3], v[4:5], v[142:143], v[2:3]
	v_fma_mix_f32 v144, v166, v174, -v144 op_sel_hi:[0,1,0]
	v_pk_mul_f32 v[2:3], v[2:3], v[138:139]
	v_add_f32_e32 v25, v25, v144
	v_sub_f32_e32 v2, v2, v3
	v_add_f32_e32 v25, v25, v2
	v_add_u32_e32 v2, 0x61c8, v45
	ds_read2_b32 v[2:3], v2 offset1:1
	v_mov_b32_e32 v144, 0
	s_waitcnt lgkmcnt(1)
	v_dot4c_i32_i8_e32 v144, v156, v18
	v_add_u32_e32 v18, 0x61d0, v45
	v_add_u32_e32 v138, 0x61d8, v45
	;; [unrolled: 1-line block ×3, first 2 shown]
	v_dot4c_i32_i8_e32 v144, v157, v19
	ds_read2_b32 v[18:19], v18 offset1:1
	ds_read2_b32 v[138:139], v138 offset1:1
	;; [unrolled: 1-line block ×3, first 2 shown]
	s_waitcnt lgkmcnt(3)
	v_dot4c_i32_i8_e32 v144, v2, v20
	v_dot4c_i32_i8_e32 v144, v3, v21
	s_waitcnt lgkmcnt(2)
	v_dot4c_i32_i8_e32 v144, v18, v14
	v_mov_b32_e32 v18, 0
	s_waitcnt lgkmcnt(0)
	v_dot4c_i32_i8_e32 v18, v142, v10
	v_add_u32_e32 v10, 0x61e8, v45
	v_dot4c_i32_i8_e32 v18, v143, v11
	ds_read2_b32 v[10:11], v10 offset1:1
	v_add_u32_e32 v14, 0x61f0, v45
	v_dot4c_i32_i8_e32 v144, v19, v15
	ds_read2_b32 v[14:15], v14 offset1:1
	v_dot4c_i32_i8_e32 v144, v138, v16
	v_add_u32_e32 v16, 0x61f8, v45
	v_dot4c_i32_i8_e32 v144, v139, v17
	ds_read2_b32 v[16:17], v16 offset1:1
	s_waitcnt lgkmcnt(2)
	v_dot4c_i32_i8_e32 v18, v10, v12
	v_dot4c_i32_i8_e32 v18, v11, v13
	s_waitcnt lgkmcnt(1)
	v_dot4c_i32_i8_e32 v18, v14, v6
	v_dot4c_i32_i8_e32 v18, v15, v7
	v_bfe_u32 v2, v140, 16, 8
	s_waitcnt lgkmcnt(0)
	v_dot4c_i32_i8_e32 v18, v16, v8
	v_lshrrev_b32_e32 v185, 24, v140
	v_mul_lo_u32 v2, v144, v2
	v_dot4c_i32_i8_e32 v18, v17, v9
	v_cvt_f32_i32_e32 v2, v2
	v_cvt_f32_f16_sdwa v7, v23 dst_sel:DWORD dst_unused:UNUSED_PAD src0_sel:WORD_1
	v_cvt_f32_ubyte2_e32 v3, v141
	v_mul_lo_u32 v6, v18, v185
	v_cvt_f32_i32_e32 v8, v6
	v_cvt_f32_f16_e32 v6, v23
	v_cvt_f32_ubyte3_e32 v9, v141
	v_pk_fma_f32 v[2:3], v[146:147], v[2:3], 0 op_sel_hi:[1,1,0]
	v_mul_f32_e32 v10, v169, v7
	v_pk_fma_f32 v[2:3], v[4:5], v[8:9], v[2:3]
	v_fma_mix_f32 v10, v168, v23, -v10 op_sel_hi:[0,1,0]
	v_pk_mul_f32 v[2:3], v[2:3], v[6:7]
	v_add_f32_e32 v10, v153, v10
	v_sub_f32_e32 v2, v2, v3
	v_add_f32_e32 v153, v10, v2
	s_cmp_ge_i32 s4, s5
	s_barrier
	s_cbranch_scc1 .LBB214_5
; %bb.13:                               ;   in Loop: Header=BB214_6 Depth=1
	v_cmp_gt_i32_e64 s[2:3], s8, v49
	s_and_b64 s[22:23], s[0:1], s[2:3]
	s_and_saveexec_b64 s[2:3], s[22:23]
	s_cbranch_execz .LBB214_15
; %bb.14:                               ;   in Loop: Header=BB214_6 Depth=1
	v_add_u32_e32 v2, v60, v49
	v_mad_i64_i32 v[2:3], s[22:23], v2, 36, v[58:59]
	global_load_dword v2, v[2:3], off offset:4
	s_waitcnt vmcnt(0)
	ds_write_b32 v33, v2
.LBB214_15:                             ;   in Loop: Header=BB214_6 Depth=1
	s_or_b64 exec, exec, s[2:3]
	s_and_saveexec_b64 s[22:23], vcc
	s_cbranch_execz .LBB214_4
; %bb.16:                               ;   in Loop: Header=BB214_6 Depth=1
	v_add_u32_e32 v2, 4, v22
	v_cmp_gt_i32_e64 s[2:3], s8, v2
	s_and_b64 s[2:3], s[0:1], s[2:3]
	s_and_b64 exec, exec, s[2:3]
	s_cbranch_execz .LBB214_4
; %bb.17:                               ;   in Loop: Header=BB214_6 Depth=1
	v_ashrrev_i32_e32 v23, 31, v22
	v_lshl_add_u64 v[2:3], v[60:61], 0, v[22:23]
	v_mad_u64_u32 v[4:5], s[2:3], v2, 36, s[20:21]
	v_mad_i32_i24 v5, v3, 36, v5
	global_load_dword v2, v[4:5], off
	s_waitcnt vmcnt(0)
	ds_write_b32 v35, v2
	s_branch .LBB214_4
.LBB214_18:
	v_mov_b32_e32 v2, 0
	v_mov_b32_e32 v4, 0
	;; [unrolled: 1-line block ×3, first 2 shown]
	s_mul_i32 s0, s10, s7
	s_waitcnt vmcnt(0)
	v_cmp_gt_i32_e32 vcc, s0, v1
	s_and_saveexec_b64 s[0:1], vcc
	s_cbranch_execnz .LBB214_21
.LBB214_19:
	s_endpgm
.LBB214_20:
	v_cvt_f16_f32_e32 v6, v136
	v_cvt_f16_f32_e32 v4, v137
	;; [unrolled: 1-line block ×4, first 2 shown]
	s_mul_i32 s0, s10, s7
	v_cmp_gt_i32_e32 vcc, s0, v1
	s_and_saveexec_b64 s[0:1], vcc
	s_cbranch_execz .LBB214_19
.LBB214_21:
	v_and_b32_e32 v0, 0x3ff, v0
	v_add_u32_e32 v5, s11, v0
	v_mul_lo_u32 v0, v1, s9
	v_cmp_gt_u32_e32 vcc, s9, v5
	s_and_saveexec_b64 s[0:1], vcc
	s_cbranch_execz .LBB214_23
; %bb.22:
	v_add_u32_e32 v8, v0, v5
	v_mov_b32_e32 v9, 0
	v_lshl_add_u64 v[8:9], v[8:9], 1, s[16:17]
	global_store_short v[8:9], v6, off
.LBB214_23:
	s_or_b64 exec, exec, s[0:1]
	v_add_u32_e32 v1, 32, v5
	v_cmp_gt_u32_e32 vcc, s9, v1
	s_and_saveexec_b64 s[0:1], vcc
	s_cbranch_execz .LBB214_25
; %bb.24:
	v_add_u32_e32 v6, v0, v1
	v_mov_b32_e32 v7, 0
	v_lshl_add_u64 v[6:7], v[6:7], 1, s[16:17]
	global_store_short v[6:7], v4, off
.LBB214_25:
	s_or_b64 exec, exec, s[0:1]
	v_add_u32_e32 v1, 64, v5
	;; [unrolled: 11-line block ×3, first 2 shown]
	v_cmp_gt_u32_e32 vcc, s9, v1
	s_and_b64 exec, exec, vcc
	s_cbranch_execz .LBB214_19
; %bb.28:
	v_add_u32_e32 v0, v0, v1
	v_mov_b32_e32 v1, 0
	v_lshl_add_u64 v[0:1], v[0:1], 1, s[16:17]
	global_store_short v[0:1], v3, off
	s_endpgm
	.section	.rodata,"a",@progbits
	.p2align	6, 0x0
	.amdhsa_kernel _ZL8moe_q5_KIN3c104HalfELb1EEvPKvS3_PT_PKiS7_S7_iiiiiii
		.amdhsa_group_segment_fixed_size 37072
		.amdhsa_private_segment_fixed_size 0
		.amdhsa_kernarg_size 76
		.amdhsa_user_sgpr_count 2
		.amdhsa_user_sgpr_dispatch_ptr 0
		.amdhsa_user_sgpr_queue_ptr 0
		.amdhsa_user_sgpr_kernarg_segment_ptr 1
		.amdhsa_user_sgpr_dispatch_id 0
		.amdhsa_user_sgpr_kernarg_preload_length 0
		.amdhsa_user_sgpr_kernarg_preload_offset 0
		.amdhsa_user_sgpr_private_segment_size 0
		.amdhsa_uses_dynamic_stack 0
		.amdhsa_enable_private_segment 0
		.amdhsa_system_sgpr_workgroup_id_x 1
		.amdhsa_system_sgpr_workgroup_id_y 1
		.amdhsa_system_sgpr_workgroup_id_z 0
		.amdhsa_system_sgpr_workgroup_info 0
		.amdhsa_system_vgpr_workitem_id 1
		.amdhsa_next_free_vgpr 191
		.amdhsa_next_free_sgpr 30
		.amdhsa_accum_offset 192
		.amdhsa_reserve_vcc 1
		.amdhsa_float_round_mode_32 0
		.amdhsa_float_round_mode_16_64 0
		.amdhsa_float_denorm_mode_32 3
		.amdhsa_float_denorm_mode_16_64 3
		.amdhsa_dx10_clamp 1
		.amdhsa_ieee_mode 1
		.amdhsa_fp16_overflow 0
		.amdhsa_tg_split 0
		.amdhsa_exception_fp_ieee_invalid_op 0
		.amdhsa_exception_fp_denorm_src 0
		.amdhsa_exception_fp_ieee_div_zero 0
		.amdhsa_exception_fp_ieee_overflow 0
		.amdhsa_exception_fp_ieee_underflow 0
		.amdhsa_exception_fp_ieee_inexact 0
		.amdhsa_exception_int_div_zero 0
	.end_amdhsa_kernel
	.section	.text._ZL8moe_q5_KIN3c104HalfELb1EEvPKvS3_PT_PKiS7_S7_iiiiiii,"axG",@progbits,_ZL8moe_q5_KIN3c104HalfELb1EEvPKvS3_PT_PKiS7_S7_iiiiiii,comdat
.Lfunc_end214:
	.size	_ZL8moe_q5_KIN3c104HalfELb1EEvPKvS3_PT_PKiS7_S7_iiiiiii, .Lfunc_end214-_ZL8moe_q5_KIN3c104HalfELb1EEvPKvS3_PT_PKiS7_S7_iiiiiii
                                        ; -- End function
	.section	.AMDGPU.csdata,"",@progbits
; Kernel info:
; codeLenInByte = 10416
; NumSgprs: 36
; NumVgprs: 191
; NumAgprs: 0
; TotalNumVgprs: 191
; ScratchSize: 0
; MemoryBound: 0
; FloatMode: 240
; IeeeMode: 1
; LDSByteSize: 37072 bytes/workgroup (compile time only)
; SGPRBlocks: 4
; VGPRBlocks: 23
; NumSGPRsForWavesPerEU: 36
; NumVGPRsForWavesPerEU: 191
; AccumOffset: 192
; Occupancy: 1
; WaveLimiterHint : 1
; COMPUTE_PGM_RSRC2:SCRATCH_EN: 0
; COMPUTE_PGM_RSRC2:USER_SGPR: 2
; COMPUTE_PGM_RSRC2:TRAP_HANDLER: 0
; COMPUTE_PGM_RSRC2:TGID_X_EN: 1
; COMPUTE_PGM_RSRC2:TGID_Y_EN: 1
; COMPUTE_PGM_RSRC2:TGID_Z_EN: 0
; COMPUTE_PGM_RSRC2:TIDIG_COMP_CNT: 1
; COMPUTE_PGM_RSRC3_GFX90A:ACCUM_OFFSET: 47
; COMPUTE_PGM_RSRC3_GFX90A:TG_SPLIT: 0
	.section	.text._ZL8moe_q6_KIN3c104HalfELb0EEvPKvS3_PT_PKiS7_S7_iiiiiii,"axG",@progbits,_ZL8moe_q6_KIN3c104HalfELb0EEvPKvS3_PT_PKiS7_S7_iiiiiii,comdat
	.globl	_ZL8moe_q6_KIN3c104HalfELb0EEvPKvS3_PT_PKiS7_S7_iiiiiii ; -- Begin function _ZL8moe_q6_KIN3c104HalfELb0EEvPKvS3_PT_PKiS7_S7_iiiiiii
	.p2align	8
	.type	_ZL8moe_q6_KIN3c104HalfELb0EEvPKvS3_PT_PKiS7_S7_iiiiiii,@function
_ZL8moe_q6_KIN3c104HalfELb0EEvPKvS3_PT_PKiS7_S7_iiiiiii: ; @_ZL8moe_q6_KIN3c104HalfELb0EEvPKvS3_PT_PKiS7_S7_iiiiiii
; %bb.0:
	s_load_dwordx4 s[4:7], s[0:1], 0x18
	s_mov_b32 s8, s3
	s_mov_b32 s9, 0
	s_lshl_b64 s[10:11], s[8:9], 2
	s_waitcnt lgkmcnt(0)
	s_add_u32 s6, s6, s10
	s_addc_u32 s7, s7, s11
	s_load_dword s3, s[6:7], 0x0
	s_waitcnt lgkmcnt(0)
	s_cmpk_gt_u32 s3, 0xff
	s_cbranch_scc1 .LBB215_19
; %bb.1:
	s_load_dwordx2 s[6:7], s[0:1], 0x28
	s_waitcnt lgkmcnt(0)
	s_load_dword s7, s[6:7], 0x0
	s_lshl_b32 s6, s8, 3
	s_waitcnt lgkmcnt(0)
	s_cmp_gt_u32 s6, s7
	s_cbranch_scc1 .LBB215_19
; %bb.2:
	v_bfe_u32 v4, v0, 10, 10
	v_mov_b32_e32 v6, s4
	v_mov_b32_e32 v7, s5
	v_add_u32_e32 v2, s6, v4
	v_mov_b32_e32 v3, 0
	v_lshl_add_u64 v[6:7], v[2:3], 2, v[6:7]
	global_load_dword v1, v[6:7], off
	s_load_dwordx2 s[14:15], s[0:1], 0x30
	s_load_dwordx2 s[12:13], s[0:1], 0x10
	s_load_dwordx4 s[4:7], s[0:1], 0x3c
	s_lshl_b32 s22, s2, 7
	s_waitcnt lgkmcnt(0)
	s_cmpk_lt_i32 s15, 0x100
	s_cbranch_scc1 .LBB215_18
; %bb.3:
	v_and_b32_e32 v22, 0x3ff, v0
	v_and_b32_e32 v6, 31, v22
	s_load_dwordx4 s[8:11], s[0:1], 0x0
	s_ashr_i32 s0, s15, 31
	v_add_u16_e32 v2, -16, v6
	v_cmp_gt_u32_e32 vcc, 16, v6
	s_lshr_b32 s0, s0, 24
	s_add_i32 s0, s15, s0
	v_cndmask_b32_e32 v2, v2, v6, vcc
	v_cmp_lt_u16_e32 vcc, 7, v2
	s_ashr_i32 s23, s0, 8
	s_ashr_i32 s0, s5, 31
	v_cndmask_b32_e64 v2, 0, 1, vcc
	v_cmp_lt_u32_e32 vcc, 15, v6
	s_lshr_b32 s0, s0, 27
	v_lshlrev_b32_e32 v108, 1, v2
	v_cndmask_b32_e64 v2, 0, 1, vcc
	s_add_i32 s0, s5, s0
	v_lshlrev_b32_e32 v11, 5, v2
	s_ashr_i32 s5, s0, 5
	v_and_or_b32 v2, v22, 15, v11
	v_mul_u32_u24_e32 v3, 0x41, v4
	s_lshl_b32 s0, s23, 3
	v_add_lshl_u32 v109, v2, v3, 2
	v_mov_b32_e32 v2, s0
	v_mad_i32_i24 v14, s23, v4, v2
	v_add_u32_e32 v15, s0, v14
	v_add_u32_e32 v16, s0, v15
	v_add_u32_e32 v17, s0, v16
	v_add_u32_e32 v18, s0, v17
	v_add_u32_e32 v19, s0, v18
	v_add_u32_e32 v20, s0, v19
	v_add_u32_e32 v21, s0, v20
	v_add_u32_e32 v23, s0, v21
	v_add_u32_e32 v90, s0, v23
	v_add_u32_e32 v96, s0, v90
	v_lshlrev_b32_e32 v7, 5, v4
	v_add_u32_e32 v86, s0, v96
	v_add_u32_e32 v9, v7, v22
	;; [unrolled: 1-line block ×3, first 2 shown]
	v_and_b32_e32 v2, 0x7f, v9
	v_lshrrev_b32_e32 v3, 3, v9
	v_add_u32_e32 v62, s0, v74
	v_mul_i32_i24_e32 v44, s23, v2
	v_and_b32_e32 v3, 12, v3
	v_lshlrev_b32_e32 v2, 2, v2
	s_mov_b32 s0, 0x8e40
	v_lshlrev_b32_e32 v12, 3, v4
	v_lshrrev_b32_e32 v13, 2, v22
	v_add3_u32 v125, v2, v3, s0
	v_add_u32_e32 v26, v13, v12
	v_and_b32_e32 v2, 3, v22
	v_add_u16_e32 v12, v13, v12
	v_lshlrev_b32_e32 v2, 2, v2
	v_and_b32_e32 v26, 0x7f, v26
	v_lshrrev_b16_e32 v12, 1, v12
	v_lshl_or_b32 v27, v26, 4, v2
	v_and_b32_e32 v12, 60, v12
	s_mov_b32 s1, 0x8200
	v_add3_u32 v126, v27, v12, s1
	v_xor_b32_e32 v12, 64, v26
	v_mul_i32_i24_e32 v32, s23, v12
	v_lshl_or_b32 v13, v12, 4, v2
	v_lshrrev_b32_e32 v12, 1, v12
	v_and_b32_e32 v12, 60, v12
	v_mov_b32_e32 v25, 0
	v_add3_u32 v127, v13, v12, s1
	v_lshlrev_b32_e32 v13, 2, v22
	v_lshlrev_b32_e32 v24, 2, v6
	v_or_b32_e32 v12, v7, v6
	v_and_b32_e32 v6, 28, v13
	v_mov_b32_e32 v7, v25
	s_movk_i32 s2, 0xffe4
	v_mul_i32_i24_e32 v38, s23, v26
	s_waitcnt lgkmcnt(0)
	v_lshl_add_u64 v[26:27], s[10:11], 0, v[6:7]
	v_mov_b32_e32 v6, 0x8a40
	v_mad_i32_i24 v7, v4, s2, v9
	v_mov_b32_e32 v9, 0x9050
	v_lshrrev_b32_e32 v130, 3, v22
	v_lshrrev_b32_e32 v5, 5, v22
	v_lshl_add_u32 v128, v12, 2, v6
	v_lshl_add_u32 v129, v7, 2, v9
	;; [unrolled: 1-line block ×3, first 2 shown]
	v_lshlrev_b32_e32 v6, 2, v130
	v_lshlrev_b32_e32 v7, 4, v22
	v_add3_u32 v133, v7, v6, s1
	v_lshlrev_b32_e32 v6, 2, v5
	v_add3_u32 v135, v6, v13, s0
	v_add_u32_e32 v6, 32, v22
	v_lshrrev_b32_e32 v136, 3, v6
	v_lshlrev_b32_e32 v7, 2, v136
	v_lshlrev_b32_e32 v6, 4, v6
	v_add3_u32 v137, v7, v6, s1
	v_and_b32_e32 v6, 60, v136
	v_add3_u32 v138, v13, v6, s0
	v_add_u32_e32 v6, 64, v22
	v_lshrrev_b32_e32 v7, 3, v6
	v_lshlrev_b32_e32 v9, 2, v7
	v_lshlrev_b32_e32 v6, 4, v6
	s_abs_i32 s2, s7
	v_add3_u32 v139, v9, v6, s1
	v_and_b32_e32 v6, 60, v7
	v_cvt_f32_u32_e32 v12, s2
	v_add3_u32 v140, v13, v6, s0
	v_add_u32_e32 v6, 0x60, v22
	v_lshrrev_b32_e32 v7, 3, v6
	v_lshlrev_b32_e32 v9, 2, v7
	v_lshlrev_b32_e32 v6, 4, v6
	v_add3_u32 v141, v9, v6, s1
	v_and_b32_e32 v6, 60, v7
	v_rcp_iflag_f32_e32 v7, v12
	v_add3_u32 v142, v13, v6, s0
	s_sub_i32 s0, 0, s2
	s_waitcnt vmcnt(0)
	v_sub_u32_e32 v9, 0, v1
	v_mul_f32_e32 v7, 0x4f7ffffe, v7
	v_cvt_u32_f32_e32 v7, v7
	v_max_i32_e32 v9, v1, v9
	v_xor_b32_e32 v6, s7, v1
	v_ashrrev_i32_e32 v6, 31, v6
	v_mul_lo_u32 v12, s0, v7
	v_mul_hi_u32 v12, v7, v12
	v_add_u32_e32 v7, v7, v12
	v_mul_hi_u32 v7, v9, v7
	v_mul_lo_u32 v12, v7, s2
	v_sub_u32_e32 v9, v9, v12
	v_add_u32_e32 v12, 1, v7
	v_cmp_le_u32_e64 s[0:1], s2, v9
	s_mul_i32 s16, s3, s14
	s_mul_i32 s14, s23, s22
	v_cndmask_b32_e64 v7, v7, v12, s[0:1]
	v_subrev_u32_e32 v12, s2, v9
	v_cndmask_b32_e64 v9, v9, v12, s[0:1]
	v_add_u32_e32 v12, 1, v7
	v_cmp_le_u32_e64 s[0:1], s2, v9
	s_mul_hi_i32 s21, s14, 0xd2
	s_mul_i32 s20, s14, 0xd2
	v_cndmask_b32_e64 v7, v7, v12, s[0:1]
	v_xor_b32_e32 v7, v7, v6
	v_sub_u32_e32 v6, v7, v6
	v_cmp_gt_i32_e64 s[0:1], s4, v6
	v_mul_lo_u32 v28, v6, s5
	s_movk_i32 s28, 0xd2
	v_mov_b64_e32 v[6:7], s[20:21]
	v_and_b32_e32 v10, 7, v22
	v_mul_i32_i24_e32 v8, s23, v4
	v_mad_u64_u32 v[6:7], s[2:3], v5, s28, v[6:7]
	v_mad_u64_u32 v[8:9], s[2:3], v8, s28, v[6:7]
	v_lshl_or_b32 v10, v10, 2, v11
	v_mov_b32_e32 v11, v25
	v_lshl_add_u64 v[12:13], v[8:9], 0, v[10:11]
	v_lshl_add_u64 v[12:13], v[12:13], 0, s[8:9]
	s_mov_b64 s[2:3], 0x80
	v_lshl_add_u64 v[30:31], v[12:13], 0, s[2:3]
	v_mad_u64_u32 v[12:13], s[24:25], v32, s28, 0
	v_mov_b32_e32 v5, 0xd2
	v_mov_b32_e32 v3, v25
	v_mad_i64_i32 v[12:13], s[24:25], s14, v5, v[12:13]
	v_lshl_add_u64 v[8:9], v[8:9], 0, v[24:25]
	v_lshl_add_u64 v[12:13], v[12:13], 0, v[2:3]
	;; [unrolled: 1-line block ×4, first 2 shown]
	s_mov_b64 s[24:25], 0xc0
	v_lshl_add_u64 v[34:35], v[8:9], 0, 2
	v_mad_u64_u32 v[8:9], s[26:27], v14, s28, v[6:7]
	v_lshl_add_u64 v[32:33], v[12:13], 0, s[24:25]
	v_lshl_add_u64 v[12:13], v[8:9], 0, v[10:11]
	;; [unrolled: 1-line block ×4, first 2 shown]
	v_mad_u64_u32 v[12:13], s[26:27], v38, s28, 0
	v_mad_i64_i32 v[12:13], s[26:27], s14, v5, v[12:13]
	v_lshl_add_u64 v[2:3], v[12:13], 0, v[2:3]
	v_lshl_add_u64 v[2:3], v[2:3], 0, s[8:9]
	s_ashr_i32 s17, s16, 31
	v_lshl_add_u64 v[38:39], v[2:3], 0, s[24:25]
	v_lshl_add_u64 v[2:3], v[8:9], 0, v[24:25]
	s_add_u32 s18, s10, 0x90
	v_lshl_add_u64 v[2:3], v[2:3], 0, s[8:9]
	s_addc_u32 s19, s11, 0
	v_lshl_add_u64 v[40:41], v[2:3], 0, 2
	v_mad_u64_u32 v[2:3], s[24:25], v15, s28, v[6:7]
	v_lshl_add_u64 v[8:9], v[2:3], 0, v[10:11]
	s_add_u32 s20, s8, s20
	v_lshl_add_u64 v[8:9], v[8:9], 0, s[8:9]
	s_addc_u32 s21, s9, s21
	v_lshl_add_u64 v[42:43], v[8:9], 0, s[2:3]
	v_mov_b64_e32 v[8:9], s[20:21]
	v_mad_u64_u32 v[8:9], s[20:21], v44, s28, v[8:9]
	v_lshl_add_u64 v[2:3], v[2:3], 0, v[24:25]
	s_mov_b64 s[20:21], 0xd0
	v_lshl_add_u64 v[2:3], v[2:3], 0, s[8:9]
	s_mul_i32 s14, s23, 0x78
	v_lshl_add_u64 v[44:45], v[8:9], 0, s[20:21]
	v_lshl_add_u64 v[46:47], v[2:3], 0, 2
	v_mad_u64_u32 v[2:3], s[20:21], v16, s28, v[6:7]
	v_mov_b32_e32 v5, s14
	v_lshlrev_b32_e32 v132, 4, v4
	v_lshl_add_u64 v[8:9], v[2:3], 0, v[10:11]
	v_mad_i32_i24 v4, s23, v4, v5
	v_lshl_add_u64 v[2:3], v[2:3], 0, v[24:25]
	v_lshl_add_u64 v[8:9], v[8:9], 0, s[8:9]
	v_mad_u64_u32 v[4:5], s[20:21], v4, s28, v[6:7]
	v_lshl_add_u64 v[2:3], v[2:3], 0, s[8:9]
	v_lshl_add_u64 v[48:49], v[8:9], 0, s[2:3]
	v_lshl_add_u64 v[8:9], v[4:5], 0, v[24:25]
	v_lshl_add_u64 v[52:53], v[2:3], 0, 2
	v_mad_u64_u32 v[2:3], s[20:21], v17, s28, v[6:7]
	v_lshl_add_u64 v[50:51], s[8:9], 0, v[8:9]
	v_lshl_add_u64 v[8:9], v[2:3], 0, v[10:11]
	v_lshl_add_u64 v[2:3], v[2:3], 0, v[24:25]
	v_lshl_add_u64 v[4:5], v[4:5], 0, v[10:11]
	v_lshl_add_u64 v[2:3], v[2:3], 0, s[8:9]
	v_lshl_add_u64 v[4:5], v[4:5], 0, s[8:9]
	v_lshl_add_u64 v[58:59], v[2:3], 0, 2
	v_mad_u64_u32 v[2:3], s[20:21], v18, s28, v[6:7]
	v_lshl_add_u64 v[56:57], v[4:5], 0, s[2:3]
	v_lshl_add_u64 v[4:5], v[2:3], 0, v[10:11]
	v_lshl_add_u64 v[4:5], v[4:5], 0, s[8:9]
	v_lshl_add_u64 v[2:3], v[2:3], 0, v[24:25]
	v_lshl_add_u64 v[8:9], v[8:9], 0, s[8:9]
	v_lshl_add_u64 v[60:61], v[4:5], 0, s[2:3]
	v_mad_u64_u32 v[4:5], s[20:21], v62, s28, v[6:7]
	v_lshl_add_u64 v[2:3], v[2:3], 0, s[8:9]
	v_lshl_add_u64 v[54:55], v[8:9], 0, s[2:3]
	v_lshl_add_u64 v[8:9], v[4:5], 0, v[24:25]
	v_lshl_add_u64 v[64:65], v[2:3], 0, 2
	v_mad_u64_u32 v[2:3], s[20:21], v19, s28, v[6:7]
	v_lshl_add_u64 v[62:63], s[8:9], 0, v[8:9]
	v_lshl_add_u64 v[8:9], v[2:3], 0, v[10:11]
	v_lshl_add_u64 v[2:3], v[2:3], 0, v[24:25]
	v_lshl_add_u64 v[4:5], v[4:5], 0, v[10:11]
	v_lshl_add_u64 v[2:3], v[2:3], 0, s[8:9]
	v_lshl_add_u64 v[4:5], v[4:5], 0, s[8:9]
	v_lshl_add_u64 v[70:71], v[2:3], 0, 2
	v_mad_u64_u32 v[2:3], s[20:21], v20, s28, v[6:7]
	v_lshl_add_u64 v[68:69], v[4:5], 0, s[2:3]
	v_lshl_add_u64 v[4:5], v[2:3], 0, v[10:11]
	v_lshl_add_u64 v[4:5], v[4:5], 0, s[8:9]
	v_lshl_add_u64 v[2:3], v[2:3], 0, v[24:25]
	;; [unrolled: 20-line block ×4, first 2 shown]
	v_lshl_add_u64 v[4:5], v[4:5], 0, s[8:9]
	v_lshl_add_u64 v[2:3], v[2:3], 0, s[8:9]
	v_add_u32_e32 v110, 0x820, v109
	v_add_u32_e32 v111, 0x1040, v109
	;; [unrolled: 1-line block ×15, first 2 shown]
	v_cmp_gt_u32_e32 vcc, 4, v22
	v_mul_u32_u24_e32 v134, 0x104, v22
	v_ashrrev_i32_e32 v29, 31, v28
	v_lshl_add_u64 v[90:91], v[8:9], 0, s[2:3]
	v_lshl_add_u64 v[96:97], v[4:5], 0, s[2:3]
	v_lshl_add_u64 v[98:99], v[2:3], 0, 2
	s_movk_i32 s14, 0x80
	s_mov_b32 s24, 0xf0f0f0f
	s_mov_b32 s25, 0x30303030
	s_movk_i32 s26, 0x3f00
	s_movk_i32 s27, 0xe000
	s_mov_b64 s[8:9], 0xd2
	v_mov_b32_e32 v24, 8
	v_mov_b32_e32 v143, v25
	;; [unrolled: 1-line block ×4, first 2 shown]
	s_branch .LBB215_6
.LBB215_4:                              ;   in Loop: Header=BB215_6 Depth=1
	s_or_b64 exec, exec, s[20:21]
	s_waitcnt lgkmcnt(0)
	s_barrier
	ds_read_b128 v[6:9], v131
	ds_read_b128 v[10:13], v131 offset:16
	ds_read_b128 v[14:17], v131 offset:32
	;; [unrolled: 1-line block ×3, first 2 shown]
	ds_read_b32 v23, v135
	ds_read2_b32 v[100:101], v134 offset0:38 offset1:39
	ds_read2_b32 v[104:105], v134 offset0:36 offset1:37
	;; [unrolled: 1-line block ×6, first 2 shown]
	ds_read_b128 v[2:5], v132 offset:36944
	ds_read2_b32 v[102:103], v133 offset0:2 offset1:3
	v_mov_b32_e32 v156, 0
	ds_read2_b32 v[152:153], v134 offset0:42 offset1:43
	ds_read2_b32 v[154:155], v134 offset0:40 offset1:41
	s_waitcnt lgkmcnt(4)
	v_dot4c_i32_i8_e32 v156, v150, v18
	v_dot4c_i32_i8_e32 v156, v151, v19
	;; [unrolled: 1-line block ×4, first 2 shown]
	v_mov_b32_e32 v149, 0
	v_dot4c_i32_i8_e32 v149, v104, v10
	v_dot4c_i32_i8_e32 v149, v105, v11
	;; [unrolled: 1-line block ×4, first 2 shown]
	v_mov_b32_e32 v101, 0
	v_dot4c_i32_i8_e32 v101, v146, v6
	v_dot4c_i32_i8_e32 v101, v147, v7
	s_waitcnt lgkmcnt(2)
	v_bfe_i32 v100, v102, 8, 8
	v_dot4c_i32_i8_e32 v101, v106, v8
	v_mul_lo_u32 v100, v149, v100
	v_dot4c_i32_i8_e32 v101, v107, v9
	v_bfe_i32 v104, v102, 0, 8
	v_mov_b32_e32 v148, 0
	s_waitcnt lgkmcnt(0)
	v_dot4c_i32_i8_e32 v148, v154, v14
	v_mad_u64_u32 v[100:101], s[2:3], v101, v104, v[100:101]
	v_cvt_f32_i32_e32 v100, v100
	v_dot4c_i32_i8_e32 v148, v155, v15
	v_dot4c_i32_i8_e32 v148, v152, v16
	;; [unrolled: 1-line block ×3, first 2 shown]
	v_fma_f32 v160, v2, v100, 0
	v_ashrrev_i32_e32 v100, 24, v102
	v_bfe_i32 v101, v102, 16, 8
	v_mul_lo_u32 v100, v156, v100
	v_mad_u64_u32 v[100:101], s[2:3], v148, v101, v[100:101]
	v_add_u32_e32 v104, 0x2110, v134
	v_add_u32_e32 v146, 0x2108, v134
	;; [unrolled: 1-line block ×5, first 2 shown]
	v_cvt_f32_i32_e32 v161, v100
	ds_read2_b32 v[100:101], v139 offset0:2 offset1:3
	ds_read_b32 v164, v138 offset:128
	ds_read2_b32 v[106:107], v137 offset0:2 offset1:3
	ds_read2_b32 v[104:105], v104 offset1:1
	ds_read2_b32 v[146:147], v146 offset1:1
	;; [unrolled: 1-line block ×5, first 2 shown]
	v_mov_b32_e32 v162, 0
	v_add_u32_e32 v102, 0x2118, v134
	v_add_u32_e32 v154, 0x2128, v134
	;; [unrolled: 1-line block ×3, first 2 shown]
	s_waitcnt lgkmcnt(0)
	v_dot4c_i32_i8_e32 v162, v152, v18
	v_dot4c_i32_i8_e32 v162, v153, v19
	v_add_u32_e32 v158, 0x4198, v134
	v_dot4c_i32_i8_e32 v162, v150, v20
	ds_read2_b32 v[154:155], v154 offset1:1
	ds_read2_b32 v[156:157], v156 offset1:1
	;; [unrolled: 1-line block ×3, first 2 shown]
	v_dot4c_i32_i8_e32 v162, v151, v21
	ds_read2_b32 v[150:151], v102 offset1:1
	v_mov_b32_e32 v153, 0
	v_dot4c_i32_i8_e32 v153, v104, v10
	v_dot4c_i32_i8_e32 v153, v105, v11
	v_mov_b32_e32 v105, 0
	v_dot4c_i32_i8_e32 v105, v148, v6
	s_waitcnt lgkmcnt(0)
	v_dot4c_i32_i8_e32 v153, v150, v12
	v_dot4c_i32_i8_e32 v105, v149, v7
	v_mov_b32_e32 v152, 0
	v_dot4c_i32_i8_e32 v153, v151, v13
	v_bfe_i32 v104, v106, 8, 8
	v_dot4c_i32_i8_e32 v105, v146, v8
	v_dot4c_i32_i8_e32 v152, v156, v14
	v_mul_lo_u32 v104, v153, v104
	v_dot4c_i32_i8_e32 v105, v147, v9
	v_bfe_i32 v146, v106, 0, 8
	v_dot4c_i32_i8_e32 v152, v157, v15
	v_dot4c_i32_i8_e32 v152, v154, v16
	v_mad_u64_u32 v[104:105], s[2:3], v105, v146, v[104:105]
	v_cvt_f32_i32_e32 v146, v104
	v_ashrrev_i32_e32 v104, 24, v106
	v_dot4c_i32_i8_e32 v152, v155, v17
	v_bfe_i32 v105, v106, 16, 8
	v_mul_lo_u32 v104, v162, v104
	v_add_u32_e32 v148, 0x4180, v134
	v_mad_u64_u32 v[104:105], s[2:3], v152, v105, v[104:105]
	v_cvt_f32_i32_e32 v104, v104
	v_fma_f32 v105, v2, v146, 0
	v_add_u32_e32 v146, 0x4188, v134
	v_add_u32_e32 v150, 0x41b8, v134
	v_fmac_f32_e32 v105, v3, v104
	v_add_u32_e32 v104, 0x4190, v134
	v_add_u32_e32 v152, 0x41b0, v134
	ds_read_b32 v102, v142 offset:384
	ds_read_b32 v106, v140 offset:256
	v_fmac_f32_e32 v143, v164, v105
	ds_read2_b32 v[104:105], v104 offset1:1
	ds_read2_b32 v[146:147], v146 offset1:1
	;; [unrolled: 1-line block ×5, first 2 shown]
	v_mov_b32_e32 v162, 0
	v_fmac_f32_e32 v160, v3, v161
	v_fmac_f32_e32 v25, v23, v160
	v_add_u32_e32 v154, 0x41a8, v134
	s_waitcnt lgkmcnt(0)
	v_dot4c_i32_i8_e32 v162, v152, v18
	v_dot4c_i32_i8_e32 v162, v153, v19
	;; [unrolled: 1-line block ×4, first 2 shown]
	v_mov_b32_e32 v151, 0
	v_dot4c_i32_i8_e32 v151, v104, v10
	v_dot4c_i32_i8_e32 v151, v105, v11
	v_mov_b32_e32 v105, 0
	v_dot4c_i32_i8_e32 v105, v148, v6
	v_dot4c_i32_i8_e32 v151, v158, v12
	;; [unrolled: 1-line block ×3, first 2 shown]
	v_add_u32_e32 v156, 0x41a0, v134
	v_add_u32_e32 v160, 0x6218, v134
	v_dot4c_i32_i8_e32 v151, v159, v13
	v_bfe_i32 v104, v100, 8, 8
	v_dot4c_i32_i8_e32 v105, v146, v8
	ds_read2_b32 v[154:155], v154 offset1:1
	ds_read2_b32 v[156:157], v156 offset1:1
	;; [unrolled: 1-line block ×3, first 2 shown]
	v_mul_lo_u32 v104, v151, v104
	v_dot4c_i32_i8_e32 v105, v147, v9
	v_bfe_i32 v146, v100, 0, 8
	v_mov_b32_e32 v150, 0
	s_waitcnt lgkmcnt(1)
	v_dot4c_i32_i8_e32 v150, v156, v14
	v_mad_u64_u32 v[104:105], s[2:3], v105, v146, v[104:105]
	v_cvt_f32_i32_e32 v104, v104
	v_dot4c_i32_i8_e32 v150, v157, v15
	v_dot4c_i32_i8_e32 v150, v154, v16
	;; [unrolled: 1-line block ×3, first 2 shown]
	v_fma_f32 v165, v2, v104, 0
	v_bfe_i32 v104, v100, 16, 8
	v_ashrrev_i32_e32 v100, 24, v100
	v_mul_lo_u32 v100, v162, v100
	v_mad_u64_u32 v[104:105], s[2:3], v150, v104, v[100:101]
	v_add_u32_e32 v146, 0x6210, v134
	v_add_u32_e32 v148, 0x6208, v134
	;; [unrolled: 1-line block ×5, first 2 shown]
	v_cvt_f32_i32_e32 v100, v104
	ds_read2_b32 v[104:105], v141 offset0:2 offset1:3
	ds_read2_b32 v[146:147], v146 offset1:1
	ds_read2_b32 v[148:149], v148 offset1:1
	;; [unrolled: 1-line block ×5, first 2 shown]
	v_add_u32_e32 v156, 0x6228, v134
	v_add_u32_e32 v158, 0x6220, v134
	;; [unrolled: 1-line block ×3, first 2 shown]
	ds_read2_b32 v[156:157], v156 offset1:1
	ds_read2_b32 v[158:159], v158 offset1:1
	;; [unrolled: 1-line block ×3, first 2 shown]
	v_mov_b32_e32 v166, 0
	s_waitcnt lgkmcnt(3)
	v_dot4c_i32_i8_e32 v166, v154, v18
	v_mov_b32_e32 v18, 0
	s_waitcnt lgkmcnt(1)
	v_dot4c_i32_i8_e32 v18, v158, v14
	v_mov_b32_e32 v14, 0
	v_dot4c_i32_i8_e32 v14, v146, v10
	v_dot4c_i32_i8_e32 v14, v147, v11
	v_mov_b32_e32 v11, 0
	v_dot4c_i32_i8_e32 v11, v150, v6
	v_dot4c_i32_i8_e32 v14, v160, v12
	;; [unrolled: 1-line block ×4, first 2 shown]
	v_bfe_i32 v10, v104, 8, 8
	v_dot4c_i32_i8_e32 v11, v148, v8
	v_dot4c_i32_i8_e32 v166, v155, v19
	v_mul_lo_u32 v10, v14, v10
	v_dot4c_i32_i8_e32 v11, v149, v9
	v_bfe_i32 v6, v104, 0, 8
	v_dot4c_i32_i8_e32 v166, v152, v20
	v_dot4c_i32_i8_e32 v18, v159, v15
	v_mad_u64_u32 v[6:7], s[2:3], v11, v6, v[10:11]
	v_dot4c_i32_i8_e32 v166, v153, v21
	v_dot4c_i32_i8_e32 v18, v156, v16
	v_cvt_f32_i32_e32 v8, v6
	v_ashrrev_i32_e32 v6, 24, v104
	v_dot4c_i32_i8_e32 v18, v157, v17
	v_bfe_i32 v7, v104, 16, 8
	v_mul_lo_u32 v6, v166, v6
	v_fma_f32 v2, v2, v8, 0
	v_mad_u64_u32 v[6:7], s[2:3], v18, v7, v[6:7]
	v_cvt_f32_i32_e32 v6, v6
	v_fmac_f32_e32 v165, v3, v100
	v_mov_b32_e32 v100, 0
	v_mov_b32_e32 v104, 0
	v_fmac_f32_e32 v2, v3, v6
	v_fmac_f32_e32 v145, v102, v2
	ds_read_b128 v[10:13], v131 offset:80
	ds_read_b128 v[6:9], v131 offset:64
	;; [unrolled: 1-line block ×4, first 2 shown]
	ds_read2_b32 v[2:3], v134 offset0:62 offset1:63
	ds_read2_b32 v[146:147], v134 offset0:60 offset1:61
	;; [unrolled: 1-line block ×6, first 2 shown]
	s_waitcnt lgkmcnt(4)
	v_dot4c_i32_i8_e32 v100, v146, v18
	v_dot4c_i32_i8_e32 v100, v147, v19
	;; [unrolled: 1-line block ×3, first 2 shown]
	v_mov_b32_e32 v2, 0
	s_waitcnt lgkmcnt(2)
	v_dot4c_i32_i8_e32 v2, v150, v10
	v_dot4c_i32_i8_e32 v2, v151, v11
	v_dot4c_i32_i8_e32 v2, v148, v12
	v_dot4c_i32_i8_e32 v100, v3, v21
	v_dot4c_i32_i8_e32 v2, v149, v13
	v_bfe_i32 v3, v103, 8, 8
	ds_read2_b32 v[156:157], v134 offset0:58 offset1:59
	ds_read2_b32 v[158:159], v134 offset0:56 offset1:57
	v_mul_lo_u32 v2, v2, v3
	v_mov_b32_e32 v3, 0
	s_waitcnt lgkmcnt(2)
	v_dot4c_i32_i8_e32 v3, v154, v6
	v_dot4c_i32_i8_e32 v3, v155, v7
	;; [unrolled: 1-line block ×4, first 2 shown]
	v_bfe_i32 v146, v103, 0, 8
	s_waitcnt lgkmcnt(0)
	v_dot4c_i32_i8_e32 v104, v158, v14
	v_dot4c_i32_i8_e32 v104, v159, v15
	v_mad_u64_u32 v[2:3], s[2:3], v3, v146, v[2:3]
	v_cvt_f32_i32_e32 v2, v2
	v_dot4c_i32_i8_e32 v104, v156, v16
	v_dot4c_i32_i8_e32 v104, v157, v17
	v_bfe_i32 v3, v103, 16, 8
	v_fma_f32 v160, v4, v2, 0
	v_ashrrev_i32_e32 v2, 24, v103
	v_mul_lo_u32 v2, v100, v2
	v_mad_u64_u32 v[2:3], s[2:3], v104, v3, v[2:3]
	v_cvt_f32_i32_e32 v100, v2
	v_add_u32_e32 v2, 0x2150, v134
	v_add_u32_e32 v103, 0x2148, v134
	v_add_u32_e32 v150, 0x2178, v134
	v_add_u32_e32 v104, 0x2140, v134
	ds_read2_b32 v[2:3], v2 offset1:1
	ds_read2_b32 v[146:147], v103 offset1:1
	;; [unrolled: 1-line block ×4, first 2 shown]
	v_add_u32_e32 v103, 0x2170, v134
	ds_read2_b32 v[152:153], v103 offset1:1
	v_mov_b32_e32 v104, 0
	v_add_u32_e32 v154, 0x2168, v134
	v_add_u32_e32 v156, 0x2160, v134
	v_add_u32_e32 v103, 0x41d8, v134
	s_waitcnt lgkmcnt(0)
	v_dot4c_i32_i8_e32 v104, v152, v18
	v_dot4c_i32_i8_e32 v104, v153, v19
	;; [unrolled: 1-line block ×3, first 2 shown]
	v_mov_b32_e32 v150, 0
	v_dot4c_i32_i8_e32 v150, v2, v10
	ds_read2_b32 v[154:155], v154 offset1:1
	ds_read2_b32 v[156:157], v156 offset1:1
	;; [unrolled: 1-line block ×3, first 2 shown]
	v_dot4c_i32_i8_e32 v150, v3, v11
	v_mov_b32_e32 v3, 0
	v_dot4c_i32_i8_e32 v3, v148, v6
	v_dot4c_i32_i8_e32 v150, v162, v12
	;; [unrolled: 1-line block ×3, first 2 shown]
	v_mov_b32_e32 v103, 0
	v_dot4c_i32_i8_e32 v150, v163, v13
	v_bfe_i32 v2, v107, 8, 8
	v_dot4c_i32_i8_e32 v3, v146, v8
	s_waitcnt lgkmcnt(1)
	v_dot4c_i32_i8_e32 v103, v156, v14
	v_mul_lo_u32 v2, v150, v2
	v_dot4c_i32_i8_e32 v3, v147, v9
	v_bfe_i32 v146, v107, 0, 8
	v_dot4c_i32_i8_e32 v103, v157, v15
	v_dot4c_i32_i8_e32 v104, v151, v21
	v_mad_u64_u32 v[2:3], s[2:3], v3, v146, v[2:3]
	v_dot4c_i32_i8_e32 v103, v154, v16
	v_cvt_f32_i32_e32 v146, v2
	v_ashrrev_i32_e32 v2, 24, v107
	v_dot4c_i32_i8_e32 v103, v155, v17
	v_bfe_i32 v3, v107, 16, 8
	v_mul_lo_u32 v2, v104, v2
	v_fmac_f32_e32 v160, v5, v100
	v_mad_u64_u32 v[2:3], s[2:3], v103, v3, v[2:3]
	v_cvt_f32_i32_e32 v2, v2
	v_fma_f32 v3, v4, v146, 0
	v_fmac_f32_e32 v25, v23, v160
	v_add_u32_e32 v23, 0x41c8, v134
	v_fmac_f32_e32 v3, v5, v2
	v_add_u32_e32 v2, 0x41d0, v134
	v_add_u32_e32 v103, 0x41f8, v134
	v_fmac_f32_e32 v143, v164, v3
	v_add_u32_e32 v100, 0x41c0, v134
	ds_read2_b32 v[2:3], v2 offset1:1
	ds_read2_b32 v[146:147], v23 offset1:1
	;; [unrolled: 1-line block ×4, first 2 shown]
	v_add_u32_e32 v23, 0x41f0, v134
	v_add_u32_e32 v103, 0x41e8, v134
	;; [unrolled: 1-line block ×3, first 2 shown]
	ds_read2_b32 v[152:153], v23 offset1:1
	v_add_u32_e32 v23, 0x6258, v134
	ds_read2_b32 v[154:155], v103 offset1:1
	ds_read2_b32 v[156:157], v104 offset1:1
	;; [unrolled: 1-line block ×3, first 2 shown]
	v_mov_b32_e32 v103, 0
	s_waitcnt lgkmcnt(7)
	v_dot4c_i32_i8_e32 v103, v2, v10
	v_dot4c_i32_i8_e32 v103, v3, v11
	v_mov_b32_e32 v3, 0
	s_waitcnt lgkmcnt(5)
	v_dot4c_i32_i8_e32 v3, v148, v6
	v_dot4c_i32_i8_e32 v103, v158, v12
	;; [unrolled: 1-line block ×4, first 2 shown]
	v_bfe_i32 v2, v101, 8, 8
	v_dot4c_i32_i8_e32 v3, v146, v8
	v_dot4c_i32_i8_e32 v3, v147, v9
	v_mul_lo_u32 v2, v103, v2
	v_bfe_i32 v103, v101, 0, 8
	v_mov_b32_e32 v100, 0
	v_mad_u64_u32 v[2:3], s[2:3], v3, v103, v[2:3]
	v_cvt_f32_i32_e32 v2, v2
	s_waitcnt lgkmcnt(3)
	v_dot4c_i32_i8_e32 v100, v152, v18
	v_mov_b32_e32 v23, 0
	v_dot4c_i32_i8_e32 v100, v153, v19
	s_waitcnt lgkmcnt(1)
	v_dot4c_i32_i8_e32 v23, v156, v14
	v_dot4c_i32_i8_e32 v100, v150, v20
	;; [unrolled: 1-line block ×5, first 2 shown]
	v_fma_f32 v103, v4, v2, 0
	v_ashrrev_i32_e32 v2, 24, v101
	v_dot4c_i32_i8_e32 v23, v155, v17
	v_bfe_i32 v3, v101, 16, 8
	v_mul_lo_u32 v2, v100, v2
	v_add_u32_e32 v100, 0x6248, v134
	v_mad_u64_u32 v[2:3], s[2:3], v23, v3, v[2:3]
	v_cvt_f32_i32_e32 v23, v2
	v_add_u32_e32 v2, 0x6250, v134
	v_add_u32_e32 v104, 0x6240, v134
	;; [unrolled: 1-line block ×3, first 2 shown]
	ds_read2_b32 v[2:3], v2 offset1:1
	ds_read2_b32 v[100:101], v100 offset1:1
	ds_read2_b32 v[146:147], v104 offset1:1
	ds_read2_b32 v[148:149], v107 offset1:1
	v_add_u32_e32 v104, 0x6270, v134
	ds_read2_b32 v[150:151], v104 offset1:1
	v_add_u32_e32 v104, 0x6268, v134
	v_add_u32_e32 v154, 0x6260, v134
	ds_read2_b32 v[152:153], v104 offset1:1
	ds_read2_b32 v[154:155], v154 offset1:1
	v_mov_b32_e32 v107, 0
	s_waitcnt lgkmcnt(2)
	v_dot4c_i32_i8_e32 v107, v150, v18
	v_mov_b32_e32 v18, 0
	v_dot4c_i32_i8_e32 v107, v151, v19
	s_waitcnt lgkmcnt(0)
	v_dot4c_i32_i8_e32 v18, v154, v14
	v_mov_b32_e32 v14, 0
	v_dot4c_i32_i8_e32 v14, v2, v10
	v_dot4c_i32_i8_e32 v14, v3, v11
	v_mov_b32_e32 v3, 0
	v_dot4c_i32_i8_e32 v3, v146, v6
	v_dot4c_i32_i8_e32 v14, v160, v12
	;; [unrolled: 1-line block ×4, first 2 shown]
	v_bfe_i32 v2, v105, 8, 8
	v_dot4c_i32_i8_e32 v3, v100, v8
	v_dot4c_i32_i8_e32 v3, v101, v9
	v_mul_lo_u32 v2, v14, v2
	v_bfe_i32 v6, v105, 0, 8
	v_dot4c_i32_i8_e32 v107, v148, v20
	v_dot4c_i32_i8_e32 v18, v155, v15
	v_mad_u64_u32 v[2:3], s[2:3], v3, v6, v[2:3]
	v_dot4c_i32_i8_e32 v107, v149, v21
	v_dot4c_i32_i8_e32 v18, v152, v16
	v_cvt_f32_i32_e32 v6, v2
	v_ashrrev_i32_e32 v2, 24, v105
	v_dot4c_i32_i8_e32 v18, v153, v17
	v_bfe_i32 v3, v105, 16, 8
	v_mul_lo_u32 v2, v107, v2
	v_fmac_f32_e32 v144, v106, v165
	v_mad_u64_u32 v[2:3], s[2:3], v18, v3, v[2:3]
	v_cvt_f32_i32_e32 v2, v2
	v_fma_f32 v3, v4, v6, 0
	v_fmac_f32_e32 v103, v5, v23
	v_fmac_f32_e32 v144, v106, v103
	;; [unrolled: 1-line block ×4, first 2 shown]
	s_barrier
.LBB215_5:                              ;   in Loop: Header=BB215_6 Depth=1
	s_add_i32 s23, s23, -1
	s_addk_i32 s14, 0x100
	v_add_u32_e32 v22, 8, v22
	v_add_u32_e32 v136, 8, v136
	v_add_u32_e32 v130, 8, v130
	v_lshl_add_u64 v[30:31], v[30:31], 0, s[8:9]
	v_lshl_add_u64 v[32:33], v[32:33], 0, s[8:9]
	;; [unrolled: 1-line block ×34, first 2 shown]
	s_cmp_eq_u32 s23, 0
	v_lshl_add_u64 v[98:99], v[98:99], 0, s[8:9]
	s_cbranch_scc1 .LBB215_20
.LBB215_6:                              ; =>This Inner Loop Header: Depth=1
	v_lshl_add_u64 v[2:3], v[34:35], 0, s[16:17]
	global_load_dword v10, v[2:3], off offset:-2
	v_lshl_add_u64 v[2:3], v[30:31], 0, s[16:17]
	global_load_dword v11, v[2:3], off
	v_lshl_add_u64 v[2:3], v[40:41], 0, s[16:17]
	global_load_dword v12, v[2:3], off offset:-2
	v_lshl_add_u64 v[2:3], v[36:37], 0, s[16:17]
	global_load_dword v13, v[2:3], off
	;; [unrolled: 4-line block ×3, first 2 shown]
	v_lshl_add_u64 v[2:3], v[52:53], 0, s[16:17]
	v_lshl_add_u64 v[4:5], v[48:49], 0, s[16:17]
	;; [unrolled: 1-line block ×4, first 2 shown]
	global_load_dword v16, v[2:3], off offset:-2
	s_nop 0
	global_load_dword v4, v[4:5], off
	s_nop 0
	global_load_dword v5, v[6:7], off offset:-2
	s_nop 0
	global_load_dword v6, v[8:9], off
	s_add_i32 s2, s14, 0xffffff80
	s_cmp_lt_i32 s2, s15
	s_waitcnt vmcnt(9)
	v_and_b32_e32 v2, 0xf0f0f0f, v10
	v_lshrrev_b32_e32 v3, 4, v10
	s_waitcnt vmcnt(8)
	v_ashrrev_i32_e32 v7, v108, v11
	s_waitcnt vmcnt(7)
	v_and_b32_e32 v8, 0xf0f0f0f, v12
	v_lshrrev_b32_e32 v9, 4, v12
	s_waitcnt vmcnt(6)
	v_ashrrev_i32_e32 v10, v108, v13
	;; [unrolled: 5-line block ×3, first 2 shown]
	v_lshlrev_b32_e32 v14, 4, v7
	v_and_b32_e32 v7, 0x30303030, v7
	v_lshlrev_b32_e32 v15, 4, v10
	v_and_b32_e32 v10, 0x30303030, v10
	v_lshlrev_b32_e32 v17, 4, v13
	v_and_or_b32 v2, v14, s25, v2
	v_and_or_b32 v3, v3, s24, v7
	;; [unrolled: 1-line block ×5, first 2 shown]
	v_and_b32_e32 v10, 0x3f00, v2
	v_lshlrev_b16_e32 v11, 8, v2
	v_and_b32_sdwa v14, v2, s26 dst_sel:DWORD dst_unused:UNUSED_PAD src0_sel:WORD_1 src1_sel:DWORD
	v_lshlrev_b16_sdwa v2, v24, v2 dst_sel:DWORD dst_unused:UNUSED_PAD src0_sel:DWORD src1_sel:WORD_1
	v_and_b32_e32 v15, 0x3f00, v3
	v_lshlrev_b16_e32 v17, 8, v3
	v_and_b32_sdwa v18, v3, s26 dst_sel:DWORD dst_unused:UNUSED_PAD src0_sel:WORD_1 src1_sel:DWORD
	v_lshlrev_b16_sdwa v3, v24, v3 dst_sel:DWORD dst_unused:UNUSED_PAD src0_sel:DWORD src1_sel:WORD_1
	;; [unrolled: 4-line block ×4, first 2 shown]
	v_add_u16_e32 v11, 0xe000, v11
	v_add_u16_e32 v2, 0xe000, v2
	;; [unrolled: 1-line block ×8, first 2 shown]
	v_or_b32_sdwa v10, v10, v11 dst_sel:DWORD dst_unused:UNUSED_PAD src0_sel:DWORD src1_sel:BYTE_1
	v_or_b32_sdwa v2, v14, v2 dst_sel:DWORD dst_unused:UNUSED_PAD src0_sel:DWORD src1_sel:BYTE_1
	;; [unrolled: 1-line block ×8, first 2 shown]
	v_add_u16_e32 v10, 0xe000, v10
	v_add_u16_sdwa v2, v2, s27 dst_sel:WORD_1 dst_unused:UNUSED_PAD src0_sel:DWORD src1_sel:DWORD
	v_add_u16_e32 v11, 0xe000, v11
	v_add_u16_sdwa v3, v3, s27 dst_sel:WORD_1 dst_unused:UNUSED_PAD src0_sel:DWORD src1_sel:DWORD
	;; [unrolled: 2-line block ×4, first 2 shown]
	v_or_b32_e32 v2, v10, v2
	v_or_b32_e32 v3, v11, v3
	v_or_b32_e32 v7, v14, v7
	v_lshlrev_b16_e32 v103, 8, v9
	v_or_b32_e32 v8, v15, v8
	ds_write2_b32 v109, v2, v3 offset1:16
	ds_write2_b32 v110, v7, v8 offset1:16
	v_lshlrev_b16_sdwa v7, v24, v9 dst_sel:DWORD dst_unused:UNUSED_PAD src0_sel:DWORD src1_sel:WORD_1
	v_and_b32_e32 v102, 0x3f00, v9
	v_add_u16_e32 v103, 0xe000, v103
	v_and_b32_sdwa v3, v9, s26 dst_sel:DWORD dst_unused:UNUSED_PAD src0_sel:WORD_1 src1_sel:DWORD
	v_add_u16_e32 v7, 0xe000, v7
	v_and_b32_e32 v13, 0x30303030, v13
	v_or_b32_sdwa v17, v102, v103 dst_sel:DWORD dst_unused:UNUSED_PAD src0_sel:DWORD src1_sel:BYTE_1
	v_or_b32_sdwa v3, v3, v7 dst_sel:DWORD dst_unused:UNUSED_PAD src0_sel:DWORD src1_sel:BYTE_1
	v_add_u16_e32 v2, 0xe000, v17
	v_add_u16_sdwa v3, v3, s27 dst_sel:WORD_1 dst_unused:UNUSED_PAD src0_sel:DWORD src1_sel:DWORD
	v_and_or_b32 v8, v12, s24, v13
	v_or_b32_e32 v7, v2, v3
	v_lshlrev_b16_e32 v2, 8, v8
	v_add_u16_e32 v10, 0xe000, v2
	v_lshl_add_u64 v[2:3], v[64:65], 0, s[16:17]
	global_load_dword v11, v[2:3], off offset:-2
	v_lshl_add_u64 v[2:3], v[60:61], 0, s[16:17]
	global_load_dword v12, v[2:3], off
	v_and_b32_e32 v9, 0x3f00, v8
	v_and_b32_sdwa v3, v8, s26 dst_sel:DWORD dst_unused:UNUSED_PAD src0_sel:WORD_1 src1_sel:DWORD
	v_lshlrev_b16_sdwa v8, v24, v8 dst_sel:DWORD dst_unused:UNUSED_PAD src0_sel:DWORD src1_sel:WORD_1
	v_add_u16_e32 v8, 0xe000, v8
	v_or_b32_sdwa v2, v9, v10 dst_sel:DWORD dst_unused:UNUSED_PAD src0_sel:DWORD src1_sel:BYTE_1
	v_or_b32_sdwa v3, v3, v8 dst_sel:DWORD dst_unused:UNUSED_PAD src0_sel:DWORD src1_sel:BYTE_1
	v_add_u16_e32 v2, 0xe000, v2
	v_add_u16_sdwa v3, v3, s27 dst_sel:WORD_1 dst_unused:UNUSED_PAD src0_sel:DWORD src1_sel:DWORD
	s_waitcnt vmcnt(4)
	v_ashrrev_i32_e32 v4, v108, v4
	v_or_b32_e32 v2, v2, v3
	ds_write2_b32 v111, v7, v2 offset1:16
	v_and_b32_e32 v2, 0xf0f0f0f, v16
	v_lshlrev_b32_e32 v7, 4, v4
	v_and_or_b32 v2, v7, s25, v2
	v_lshlrev_b16_e32 v8, 8, v2
	v_and_b32_e32 v7, 0x3f00, v2
	v_add_u16_e32 v8, 0xe000, v8
	v_or_b32_sdwa v7, v7, v8 dst_sel:DWORD dst_unused:UNUSED_PAD src0_sel:DWORD src1_sel:BYTE_1
	v_and_b32_sdwa v8, v2, s26 dst_sel:DWORD dst_unused:UNUSED_PAD src0_sel:WORD_1 src1_sel:DWORD
	v_lshlrev_b16_sdwa v2, v24, v2 dst_sel:DWORD dst_unused:UNUSED_PAD src0_sel:DWORD src1_sel:WORD_1
	v_add_u16_e32 v2, 0xe000, v2
	v_lshrrev_b32_e32 v3, 4, v16
	v_and_b32_e32 v4, 0x30303030, v4
	v_or_b32_sdwa v2, v8, v2 dst_sel:DWORD dst_unused:UNUSED_PAD src0_sel:DWORD src1_sel:BYTE_1
	v_add_u16_e32 v7, 0xe000, v7
	v_add_u16_sdwa v2, v2, s27 dst_sel:WORD_1 dst_unused:UNUSED_PAD src0_sel:DWORD src1_sel:DWORD
	v_and_or_b32 v4, v3, s24, v4
	v_or_b32_e32 v7, v7, v2
	v_lshlrev_b16_e32 v2, 8, v4
	v_add_u16_e32 v9, 0xe000, v2
	v_lshl_add_u64 v[2:3], v[70:71], 0, s[16:17]
	global_load_dword v10, v[2:3], off offset:-2
	v_lshl_add_u64 v[2:3], v[66:67], 0, s[16:17]
	v_and_b32_e32 v8, 0x3f00, v4
	global_load_dword v13, v[2:3], off
	v_and_b32_sdwa v3, v4, s26 dst_sel:DWORD dst_unused:UNUSED_PAD src0_sel:WORD_1 src1_sel:DWORD
	v_lshlrev_b16_sdwa v4, v24, v4 dst_sel:DWORD dst_unused:UNUSED_PAD src0_sel:DWORD src1_sel:WORD_1
	v_add_u16_e32 v4, 0xe000, v4
	v_or_b32_sdwa v2, v8, v9 dst_sel:DWORD dst_unused:UNUSED_PAD src0_sel:DWORD src1_sel:BYTE_1
	v_or_b32_sdwa v3, v3, v4 dst_sel:DWORD dst_unused:UNUSED_PAD src0_sel:DWORD src1_sel:BYTE_1
	v_add_u16_e32 v2, 0xe000, v2
	v_add_u16_sdwa v3, v3, s27 dst_sel:WORD_1 dst_unused:UNUSED_PAD src0_sel:DWORD src1_sel:DWORD
	s_waitcnt vmcnt(4)
	v_ashrrev_i32_e32 v4, v108, v6
	v_or_b32_e32 v2, v2, v3
	ds_write2_b32 v112, v7, v2 offset1:16
	v_and_b32_e32 v2, 0xf0f0f0f, v5
	v_lshrrev_b32_e32 v3, 4, v5
	v_lshlrev_b32_e32 v5, 4, v4
	v_and_or_b32 v2, v5, s25, v2
	v_lshlrev_b16_e32 v6, 8, v2
	v_and_b32_e32 v5, 0x3f00, v2
	v_add_u16_e32 v6, 0xe000, v6
	v_or_b32_sdwa v5, v5, v6 dst_sel:DWORD dst_unused:UNUSED_PAD src0_sel:DWORD src1_sel:BYTE_1
	v_and_b32_sdwa v6, v2, s26 dst_sel:DWORD dst_unused:UNUSED_PAD src0_sel:WORD_1 src1_sel:DWORD
	v_lshlrev_b16_sdwa v2, v24, v2 dst_sel:DWORD dst_unused:UNUSED_PAD src0_sel:DWORD src1_sel:WORD_1
	v_add_u16_e32 v2, 0xe000, v2
	v_and_b32_e32 v4, 0x30303030, v4
	v_or_b32_sdwa v2, v6, v2 dst_sel:DWORD dst_unused:UNUSED_PAD src0_sel:DWORD src1_sel:BYTE_1
	v_add_u16_e32 v5, 0xe000, v5
	v_add_u16_sdwa v2, v2, s27 dst_sel:WORD_1 dst_unused:UNUSED_PAD src0_sel:DWORD src1_sel:DWORD
	v_and_or_b32 v4, v3, s24, v4
	v_or_b32_e32 v5, v5, v2
	v_lshlrev_b16_e32 v2, 8, v4
	v_add_u16_e32 v7, 0xe000, v2
	v_lshl_add_u64 v[2:3], v[76:77], 0, s[16:17]
	global_load_dword v8, v[2:3], off offset:-2
	v_lshl_add_u64 v[2:3], v[72:73], 0, s[16:17]
	global_load_dword v9, v[2:3], off
	v_and_b32_e32 v6, 0x3f00, v4
	v_and_b32_sdwa v3, v4, s26 dst_sel:DWORD dst_unused:UNUSED_PAD src0_sel:WORD_1 src1_sel:DWORD
	v_lshlrev_b16_sdwa v4, v24, v4 dst_sel:DWORD dst_unused:UNUSED_PAD src0_sel:DWORD src1_sel:WORD_1
	v_add_u16_e32 v4, 0xe000, v4
	v_or_b32_sdwa v2, v6, v7 dst_sel:DWORD dst_unused:UNUSED_PAD src0_sel:DWORD src1_sel:BYTE_1
	v_or_b32_sdwa v3, v3, v4 dst_sel:DWORD dst_unused:UNUSED_PAD src0_sel:DWORD src1_sel:BYTE_1
	v_add_u16_e32 v2, 0xe000, v2
	v_add_u16_sdwa v3, v3, s27 dst_sel:WORD_1 dst_unused:UNUSED_PAD src0_sel:DWORD src1_sel:DWORD
	s_waitcnt vmcnt(4)
	v_ashrrev_i32_e32 v4, v108, v12
	v_or_b32_e32 v2, v2, v3
	ds_write2_b32 v113, v5, v2 offset1:16
	v_and_b32_e32 v2, 0xf0f0f0f, v11
	v_lshlrev_b32_e32 v5, 4, v4
	v_and_or_b32 v2, v5, s25, v2
	v_lshlrev_b16_e32 v6, 8, v2
	v_and_b32_e32 v5, 0x3f00, v2
	v_add_u16_e32 v6, 0xe000, v6
	v_or_b32_sdwa v5, v5, v6 dst_sel:DWORD dst_unused:UNUSED_PAD src0_sel:DWORD src1_sel:BYTE_1
	v_and_b32_sdwa v6, v2, s26 dst_sel:DWORD dst_unused:UNUSED_PAD src0_sel:WORD_1 src1_sel:DWORD
	v_lshlrev_b16_sdwa v2, v24, v2 dst_sel:DWORD dst_unused:UNUSED_PAD src0_sel:DWORD src1_sel:WORD_1
	v_add_u16_e32 v2, 0xe000, v2
	v_lshrrev_b32_e32 v3, 4, v11
	v_and_b32_e32 v4, 0x30303030, v4
	v_or_b32_sdwa v2, v6, v2 dst_sel:DWORD dst_unused:UNUSED_PAD src0_sel:DWORD src1_sel:BYTE_1
	v_add_u16_e32 v5, 0xe000, v5
	v_add_u16_sdwa v2, v2, s27 dst_sel:WORD_1 dst_unused:UNUSED_PAD src0_sel:DWORD src1_sel:DWORD
	v_and_or_b32 v4, v3, s24, v4
	v_or_b32_e32 v5, v5, v2
	v_lshlrev_b16_e32 v2, 8, v4
	v_add_u16_e32 v7, 0xe000, v2
	v_lshl_add_u64 v[2:3], v[82:83], 0, s[16:17]
	global_load_dword v11, v[2:3], off offset:-2
	v_lshl_add_u64 v[2:3], v[78:79], 0, s[16:17]
	global_load_dword v12, v[2:3], off
	v_and_b32_e32 v6, 0x3f00, v4
	v_and_b32_sdwa v3, v4, s26 dst_sel:DWORD dst_unused:UNUSED_PAD src0_sel:WORD_1 src1_sel:DWORD
	v_lshlrev_b16_sdwa v4, v24, v4 dst_sel:DWORD dst_unused:UNUSED_PAD src0_sel:DWORD src1_sel:WORD_1
	v_add_u16_e32 v4, 0xe000, v4
	v_or_b32_sdwa v2, v6, v7 dst_sel:DWORD dst_unused:UNUSED_PAD src0_sel:DWORD src1_sel:BYTE_1
	v_or_b32_sdwa v3, v3, v4 dst_sel:DWORD dst_unused:UNUSED_PAD src0_sel:DWORD src1_sel:BYTE_1
	v_add_u16_e32 v2, 0xe000, v2
	v_add_u16_sdwa v3, v3, s27 dst_sel:WORD_1 dst_unused:UNUSED_PAD src0_sel:DWORD src1_sel:DWORD
	s_waitcnt vmcnt(4)
	v_ashrrev_i32_e32 v4, v108, v13
	v_or_b32_e32 v2, v2, v3
	ds_write2_b32 v114, v5, v2 offset1:16
	v_and_b32_e32 v2, 0xf0f0f0f, v10
	v_lshlrev_b32_e32 v5, 4, v4
	v_and_or_b32 v2, v5, s25, v2
	v_lshlrev_b16_e32 v6, 8, v2
	v_and_b32_e32 v5, 0x3f00, v2
	v_add_u16_e32 v6, 0xe000, v6
	v_or_b32_sdwa v5, v5, v6 dst_sel:DWORD dst_unused:UNUSED_PAD src0_sel:DWORD src1_sel:BYTE_1
	v_and_b32_sdwa v6, v2, s26 dst_sel:DWORD dst_unused:UNUSED_PAD src0_sel:WORD_1 src1_sel:DWORD
	v_lshlrev_b16_sdwa v2, v24, v2 dst_sel:DWORD dst_unused:UNUSED_PAD src0_sel:DWORD src1_sel:WORD_1
	v_add_u16_e32 v2, 0xe000, v2
	v_lshrrev_b32_e32 v3, 4, v10
	v_and_b32_e32 v4, 0x30303030, v4
	v_or_b32_sdwa v2, v6, v2 dst_sel:DWORD dst_unused:UNUSED_PAD src0_sel:DWORD src1_sel:BYTE_1
	v_add_u16_e32 v5, 0xe000, v5
	v_add_u16_sdwa v2, v2, s27 dst_sel:WORD_1 dst_unused:UNUSED_PAD src0_sel:DWORD src1_sel:DWORD
	v_and_or_b32 v4, v3, s24, v4
	v_or_b32_e32 v5, v5, v2
	v_lshlrev_b16_e32 v2, 8, v4
	v_add_u16_e32 v7, 0xe000, v2
	v_lshl_add_u64 v[2:3], v[88:89], 0, s[16:17]
	global_load_dword v10, v[2:3], off offset:-2
	v_lshl_add_u64 v[2:3], v[84:85], 0, s[16:17]
	v_and_b32_e32 v6, 0x3f00, v4
	global_load_dword v13, v[2:3], off
	v_and_b32_sdwa v3, v4, s26 dst_sel:DWORD dst_unused:UNUSED_PAD src0_sel:WORD_1 src1_sel:DWORD
	v_lshlrev_b16_sdwa v4, v24, v4 dst_sel:DWORD dst_unused:UNUSED_PAD src0_sel:DWORD src1_sel:WORD_1
	v_add_u16_e32 v4, 0xe000, v4
	v_or_b32_sdwa v2, v6, v7 dst_sel:DWORD dst_unused:UNUSED_PAD src0_sel:DWORD src1_sel:BYTE_1
	v_or_b32_sdwa v3, v3, v4 dst_sel:DWORD dst_unused:UNUSED_PAD src0_sel:DWORD src1_sel:BYTE_1
	v_add_u16_e32 v2, 0xe000, v2
	v_add_u16_sdwa v3, v3, s27 dst_sel:WORD_1 dst_unused:UNUSED_PAD src0_sel:DWORD src1_sel:DWORD
	s_waitcnt vmcnt(4)
	v_ashrrev_i32_e32 v4, v108, v9
	v_or_b32_e32 v2, v2, v3
	ds_write2_b32 v115, v5, v2 offset1:16
	v_and_b32_e32 v2, 0xf0f0f0f, v8
	v_lshlrev_b32_e32 v5, 4, v4
	v_and_or_b32 v2, v5, s25, v2
	v_lshlrev_b16_e32 v6, 8, v2
	v_and_b32_e32 v5, 0x3f00, v2
	v_add_u16_e32 v6, 0xe000, v6
	v_or_b32_sdwa v5, v5, v6 dst_sel:DWORD dst_unused:UNUSED_PAD src0_sel:DWORD src1_sel:BYTE_1
	v_and_b32_sdwa v6, v2, s26 dst_sel:DWORD dst_unused:UNUSED_PAD src0_sel:WORD_1 src1_sel:DWORD
	v_lshlrev_b16_sdwa v2, v24, v2 dst_sel:DWORD dst_unused:UNUSED_PAD src0_sel:DWORD src1_sel:WORD_1
	v_add_u16_e32 v2, 0xe000, v2
	v_lshrrev_b32_e32 v3, 4, v8
	v_and_b32_e32 v4, 0x30303030, v4
	v_or_b32_sdwa v2, v6, v2 dst_sel:DWORD dst_unused:UNUSED_PAD src0_sel:DWORD src1_sel:BYTE_1
	v_add_u16_e32 v5, 0xe000, v5
	v_add_u16_sdwa v2, v2, s27 dst_sel:WORD_1 dst_unused:UNUSED_PAD src0_sel:DWORD src1_sel:DWORD
	v_and_or_b32 v4, v3, s24, v4
	v_or_b32_e32 v5, v5, v2
	v_lshlrev_b16_e32 v2, 8, v4
	v_add_u16_e32 v7, 0xe000, v2
	v_lshl_add_u64 v[2:3], v[94:95], 0, s[16:17]
	global_load_dword v8, v[2:3], off offset:-2
	v_lshl_add_u64 v[2:3], v[90:91], 0, s[16:17]
	global_load_dword v9, v[2:3], off
	v_and_b32_e32 v6, 0x3f00, v4
	v_and_b32_sdwa v3, v4, s26 dst_sel:DWORD dst_unused:UNUSED_PAD src0_sel:WORD_1 src1_sel:DWORD
	v_lshlrev_b16_sdwa v4, v24, v4 dst_sel:DWORD dst_unused:UNUSED_PAD src0_sel:DWORD src1_sel:WORD_1
	v_add_u16_e32 v4, 0xe000, v4
	v_or_b32_sdwa v2, v6, v7 dst_sel:DWORD dst_unused:UNUSED_PAD src0_sel:DWORD src1_sel:BYTE_1
	v_or_b32_sdwa v3, v3, v4 dst_sel:DWORD dst_unused:UNUSED_PAD src0_sel:DWORD src1_sel:BYTE_1
	v_add_u16_e32 v2, 0xe000, v2
	v_add_u16_sdwa v3, v3, s27 dst_sel:WORD_1 dst_unused:UNUSED_PAD src0_sel:DWORD src1_sel:DWORD
	s_waitcnt vmcnt(4)
	v_ashrrev_i32_e32 v4, v108, v12
	v_or_b32_e32 v2, v2, v3
	ds_write2_b32 v116, v5, v2 offset1:16
	v_and_b32_e32 v2, 0xf0f0f0f, v11
	v_lshlrev_b32_e32 v5, 4, v4
	v_and_or_b32 v2, v5, s25, v2
	v_lshlrev_b16_e32 v6, 8, v2
	v_and_b32_e32 v5, 0x3f00, v2
	v_add_u16_e32 v6, 0xe000, v6
	v_or_b32_sdwa v5, v5, v6 dst_sel:DWORD dst_unused:UNUSED_PAD src0_sel:DWORD src1_sel:BYTE_1
	v_and_b32_sdwa v6, v2, s26 dst_sel:DWORD dst_unused:UNUSED_PAD src0_sel:WORD_1 src1_sel:DWORD
	v_lshlrev_b16_sdwa v2, v24, v2 dst_sel:DWORD dst_unused:UNUSED_PAD src0_sel:DWORD src1_sel:WORD_1
	v_add_u16_e32 v2, 0xe000, v2
	v_lshrrev_b32_e32 v3, 4, v11
	v_and_b32_e32 v4, 0x30303030, v4
	v_or_b32_sdwa v2, v6, v2 dst_sel:DWORD dst_unused:UNUSED_PAD src0_sel:DWORD src1_sel:BYTE_1
	v_add_u16_e32 v5, 0xe000, v5
	v_add_u16_sdwa v2, v2, s27 dst_sel:WORD_1 dst_unused:UNUSED_PAD src0_sel:DWORD src1_sel:DWORD
	v_and_or_b32 v4, v3, s24, v4
	v_or_b32_e32 v5, v5, v2
	v_lshlrev_b16_e32 v2, 8, v4
	v_add_u16_e32 v7, 0xe000, v2
	v_lshl_add_u64 v[2:3], v[98:99], 0, s[16:17]
	global_load_dword v11, v[2:3], off offset:-2
	v_lshl_add_u64 v[2:3], v[96:97], 0, s[16:17]
	global_load_dword v12, v[2:3], off
	v_and_b32_e32 v6, 0x3f00, v4
	v_and_b32_sdwa v3, v4, s26 dst_sel:DWORD dst_unused:UNUSED_PAD src0_sel:WORD_1 src1_sel:DWORD
	v_lshlrev_b16_sdwa v4, v24, v4 dst_sel:DWORD dst_unused:UNUSED_PAD src0_sel:DWORD src1_sel:WORD_1
	v_add_u16_e32 v4, 0xe000, v4
	v_or_b32_sdwa v2, v6, v7 dst_sel:DWORD dst_unused:UNUSED_PAD src0_sel:DWORD src1_sel:BYTE_1
	v_or_b32_sdwa v3, v3, v4 dst_sel:DWORD dst_unused:UNUSED_PAD src0_sel:DWORD src1_sel:BYTE_1
	v_add_u16_e32 v2, 0xe000, v2
	v_add_u16_sdwa v3, v3, s27 dst_sel:WORD_1 dst_unused:UNUSED_PAD src0_sel:DWORD src1_sel:DWORD
	s_waitcnt vmcnt(4)
	v_ashrrev_i32_e32 v4, v108, v13
	v_or_b32_e32 v2, v2, v3
	ds_write2_b32 v117, v5, v2 offset1:16
	v_and_b32_e32 v2, 0xf0f0f0f, v10
	v_lshlrev_b32_e32 v5, 4, v4
	v_and_or_b32 v2, v5, s25, v2
	v_lshlrev_b16_e32 v6, 8, v2
	v_and_b32_e32 v5, 0x3f00, v2
	v_add_u16_e32 v6, 0xe000, v6
	v_or_b32_sdwa v5, v5, v6 dst_sel:DWORD dst_unused:UNUSED_PAD src0_sel:DWORD src1_sel:BYTE_1
	v_and_b32_sdwa v6, v2, s26 dst_sel:DWORD dst_unused:UNUSED_PAD src0_sel:WORD_1 src1_sel:DWORD
	v_lshlrev_b16_sdwa v2, v24, v2 dst_sel:DWORD dst_unused:UNUSED_PAD src0_sel:DWORD src1_sel:WORD_1
	v_add_u16_e32 v2, 0xe000, v2
	v_lshrrev_b32_e32 v3, 4, v10
	v_and_b32_e32 v4, 0x30303030, v4
	v_or_b32_sdwa v2, v6, v2 dst_sel:DWORD dst_unused:UNUSED_PAD src0_sel:DWORD src1_sel:BYTE_1
	v_add_u16_e32 v5, 0xe000, v5
	v_add_u16_sdwa v2, v2, s27 dst_sel:WORD_1 dst_unused:UNUSED_PAD src0_sel:DWORD src1_sel:DWORD
	v_and_or_b32 v4, v3, s24, v4
	v_or_b32_e32 v5, v5, v2
	v_lshlrev_b16_e32 v2, 8, v4
	v_add_u16_e32 v7, 0xe000, v2
	v_lshl_add_u64 v[2:3], v[86:87], 0, s[16:17]
	global_load_dword v10, v[2:3], off
	v_lshl_add_u64 v[2:3], v[92:93], 0, s[16:17]
	v_and_b32_e32 v6, 0x3f00, v4
	global_load_dword v13, v[2:3], off
	v_and_b32_sdwa v3, v4, s26 dst_sel:DWORD dst_unused:UNUSED_PAD src0_sel:WORD_1 src1_sel:DWORD
	v_lshlrev_b16_sdwa v4, v24, v4 dst_sel:DWORD dst_unused:UNUSED_PAD src0_sel:DWORD src1_sel:WORD_1
	v_add_u16_e32 v4, 0xe000, v4
	v_or_b32_sdwa v2, v6, v7 dst_sel:DWORD dst_unused:UNUSED_PAD src0_sel:DWORD src1_sel:BYTE_1
	v_or_b32_sdwa v3, v3, v4 dst_sel:DWORD dst_unused:UNUSED_PAD src0_sel:DWORD src1_sel:BYTE_1
	v_add_u16_e32 v2, 0xe000, v2
	v_add_u16_sdwa v3, v3, s27 dst_sel:WORD_1 dst_unused:UNUSED_PAD src0_sel:DWORD src1_sel:DWORD
	s_waitcnt vmcnt(4)
	v_ashrrev_i32_e32 v4, v108, v9
	v_or_b32_e32 v2, v2, v3
	ds_write2_b32 v118, v5, v2 offset1:16
	v_and_b32_e32 v2, 0xf0f0f0f, v8
	v_lshlrev_b32_e32 v5, 4, v4
	v_and_or_b32 v2, v5, s25, v2
	v_lshlrev_b16_e32 v6, 8, v2
	v_and_b32_e32 v5, 0x3f00, v2
	v_add_u16_e32 v6, 0xe000, v6
	v_or_b32_sdwa v5, v5, v6 dst_sel:DWORD dst_unused:UNUSED_PAD src0_sel:DWORD src1_sel:BYTE_1
	v_and_b32_sdwa v6, v2, s26 dst_sel:DWORD dst_unused:UNUSED_PAD src0_sel:WORD_1 src1_sel:DWORD
	v_lshlrev_b16_sdwa v2, v24, v2 dst_sel:DWORD dst_unused:UNUSED_PAD src0_sel:DWORD src1_sel:WORD_1
	v_add_u16_e32 v2, 0xe000, v2
	v_lshrrev_b32_e32 v3, 4, v8
	v_and_b32_e32 v4, 0x30303030, v4
	v_or_b32_sdwa v2, v6, v2 dst_sel:DWORD dst_unused:UNUSED_PAD src0_sel:DWORD src1_sel:BYTE_1
	v_add_u16_e32 v5, 0xe000, v5
	v_add_u16_sdwa v2, v2, s27 dst_sel:WORD_1 dst_unused:UNUSED_PAD src0_sel:DWORD src1_sel:DWORD
	v_and_or_b32 v4, v3, s24, v4
	v_or_b32_e32 v5, v5, v2
	v_lshlrev_b16_e32 v2, 8, v4
	v_add_u16_e32 v7, 0xe000, v2
	v_lshl_add_u64 v[2:3], v[74:75], 0, s[16:17]
	global_load_dword v8, v[2:3], off
	v_lshl_add_u64 v[2:3], v[80:81], 0, s[16:17]
	global_load_dword v9, v[2:3], off
	v_and_b32_e32 v6, 0x3f00, v4
	v_and_b32_sdwa v3, v4, s26 dst_sel:DWORD dst_unused:UNUSED_PAD src0_sel:WORD_1 src1_sel:DWORD
	v_lshlrev_b16_sdwa v4, v24, v4 dst_sel:DWORD dst_unused:UNUSED_PAD src0_sel:DWORD src1_sel:WORD_1
	v_add_u16_e32 v4, 0xe000, v4
	v_or_b32_sdwa v2, v6, v7 dst_sel:DWORD dst_unused:UNUSED_PAD src0_sel:DWORD src1_sel:BYTE_1
	v_or_b32_sdwa v3, v3, v4 dst_sel:DWORD dst_unused:UNUSED_PAD src0_sel:DWORD src1_sel:BYTE_1
	v_add_u16_e32 v2, 0xe000, v2
	v_add_u16_sdwa v3, v3, s27 dst_sel:WORD_1 dst_unused:UNUSED_PAD src0_sel:DWORD src1_sel:DWORD
	s_waitcnt vmcnt(4)
	v_ashrrev_i32_e32 v4, v108, v12
	v_or_b32_e32 v2, v2, v3
	ds_write2_b32 v119, v5, v2 offset1:16
	v_and_b32_e32 v2, 0xf0f0f0f, v11
	v_lshlrev_b32_e32 v5, 4, v4
	v_and_or_b32 v2, v5, s25, v2
	v_lshlrev_b16_e32 v6, 8, v2
	v_and_b32_e32 v5, 0x3f00, v2
	v_add_u16_e32 v6, 0xe000, v6
	v_or_b32_sdwa v5, v5, v6 dst_sel:DWORD dst_unused:UNUSED_PAD src0_sel:DWORD src1_sel:BYTE_1
	v_and_b32_sdwa v6, v2, s26 dst_sel:DWORD dst_unused:UNUSED_PAD src0_sel:WORD_1 src1_sel:DWORD
	v_lshlrev_b16_sdwa v2, v24, v2 dst_sel:DWORD dst_unused:UNUSED_PAD src0_sel:DWORD src1_sel:WORD_1
	v_lshrrev_b32_e32 v3, 4, v11
	v_and_b32_e32 v4, 0x30303030, v4
	v_add_u16_e32 v2, 0xe000, v2
	v_or_b32_sdwa v2, v6, v2 dst_sel:DWORD dst_unused:UNUSED_PAD src0_sel:DWORD src1_sel:BYTE_1
	v_and_or_b32 v4, v3, s24, v4
	v_add_u16_e32 v5, 0xe000, v5
	v_add_u16_sdwa v2, v2, s27 dst_sel:WORD_1 dst_unused:UNUSED_PAD src0_sel:DWORD src1_sel:DWORD
	v_lshlrev_b16_e32 v3, 8, v4
	v_or_b32_e32 v5, v5, v2
	v_and_b32_e32 v2, 0x3f00, v4
	v_add_u16_e32 v3, 0xe000, v3
	v_or_b32_sdwa v2, v2, v3 dst_sel:DWORD dst_unused:UNUSED_PAD src0_sel:DWORD src1_sel:BYTE_1
	v_add_u16_e32 v6, 0xe000, v2
	v_lshl_add_u64 v[2:3], v[62:63], 0, s[16:17]
	global_load_dword v7, v[2:3], off
	v_lshl_add_u64 v[2:3], v[68:69], 0, s[16:17]
	global_load_dword v11, v[2:3], off
	v_lshlrev_b16_sdwa v3, v24, v4 dst_sel:DWORD dst_unused:UNUSED_PAD src0_sel:DWORD src1_sel:WORD_1
	v_and_b32_sdwa v2, v4, s26 dst_sel:DWORD dst_unused:UNUSED_PAD src0_sel:WORD_1 src1_sel:DWORD
	v_add_u16_e32 v3, 0xe000, v3
	v_or_b32_sdwa v2, v2, v3 dst_sel:DWORD dst_unused:UNUSED_PAD src0_sel:DWORD src1_sel:BYTE_1
	v_add_u16_sdwa v2, v2, s27 dst_sel:WORD_1 dst_unused:UNUSED_PAD src0_sel:DWORD src1_sel:DWORD
	s_waitcnt vmcnt(5)
	v_lshrrev_b32_e32 v3, 4, v10
	v_or_b32_e32 v2, v6, v2
	ds_write2_b32 v120, v5, v2 offset1:16
	s_waitcnt vmcnt(4)
	v_ashrrev_i32_e32 v4, v108, v13
	v_and_b32_e32 v2, 0xf0f0f0f, v10
	v_lshlrev_b32_e32 v5, 4, v4
	v_and_or_b32 v2, v5, s25, v2
	v_lshlrev_b16_e32 v6, 8, v2
	v_and_b32_e32 v5, 0x3f00, v2
	v_add_u16_e32 v6, 0xe000, v6
	v_or_b32_sdwa v5, v5, v6 dst_sel:DWORD dst_unused:UNUSED_PAD src0_sel:DWORD src1_sel:BYTE_1
	v_and_b32_sdwa v6, v2, s26 dst_sel:DWORD dst_unused:UNUSED_PAD src0_sel:WORD_1 src1_sel:DWORD
	v_lshlrev_b16_sdwa v2, v24, v2 dst_sel:DWORD dst_unused:UNUSED_PAD src0_sel:DWORD src1_sel:WORD_1
	v_add_u16_e32 v2, 0xe000, v2
	v_or_b32_sdwa v2, v6, v2 dst_sel:DWORD dst_unused:UNUSED_PAD src0_sel:DWORD src1_sel:BYTE_1
	v_and_b32_e32 v4, 0x30303030, v4
	v_add_u16_e32 v5, 0xe000, v5
	v_add_u16_sdwa v2, v2, s27 dst_sel:WORD_1 dst_unused:UNUSED_PAD src0_sel:DWORD src1_sel:DWORD
	v_and_or_b32 v4, v3, s24, v4
	v_or_b32_e32 v5, v5, v2
	v_lshl_add_u64 v[2:3], v[50:51], 0, s[16:17]
	global_load_dword v10, v[2:3], off
	v_lshl_add_u64 v[2:3], v[56:57], 0, s[16:17]
	global_load_dword v12, v[2:3], off
	v_and_b32_e32 v6, 0x3f00, v4
	v_lshlrev_b16_e32 v2, 8, v4
	v_and_b32_sdwa v3, v4, s26 dst_sel:DWORD dst_unused:UNUSED_PAD src0_sel:WORD_1 src1_sel:DWORD
	v_lshlrev_b16_sdwa v4, v24, v4 dst_sel:DWORD dst_unused:UNUSED_PAD src0_sel:DWORD src1_sel:WORD_1
	v_add_u16_e32 v2, 0xe000, v2
	v_add_u16_e32 v4, 0xe000, v4
	v_or_b32_sdwa v2, v6, v2 dst_sel:DWORD dst_unused:UNUSED_PAD src0_sel:DWORD src1_sel:BYTE_1
	v_or_b32_sdwa v3, v3, v4 dst_sel:DWORD dst_unused:UNUSED_PAD src0_sel:DWORD src1_sel:BYTE_1
	v_add_u16_e32 v2, 0xe000, v2
	v_add_u16_sdwa v3, v3, s27 dst_sel:WORD_1 dst_unused:UNUSED_PAD src0_sel:DWORD src1_sel:DWORD
	s_waitcnt vmcnt(5)
	v_lshrrev_b32_e32 v4, 4, v8
	v_or_b32_e32 v2, v2, v3
	s_waitcnt vmcnt(4)
	v_ashrrev_i32_e32 v3, v108, v9
	ds_write2_b32 v121, v5, v2 offset1:16
	v_and_b32_e32 v2, 0xf0f0f0f, v8
	v_lshlrev_b32_e32 v5, 4, v3
	v_and_or_b32 v5, v5, s25, v2
	v_and_b32_e32 v6, 0x30303030, v3
	v_lshlrev_b16_e32 v3, 8, v5
	v_and_b32_e32 v2, 0x3f00, v5
	v_add_u16_e32 v3, 0xe000, v3
	v_or_b32_sdwa v2, v2, v3 dst_sel:DWORD dst_unused:UNUSED_PAD src0_sel:DWORD src1_sel:BYTE_1
	v_add_u16_e32 v8, 0xe000, v2
	v_lshl_add_u64 v[2:3], v[44:45], 0, s[16:17]
	global_load_ushort v13, v[2:3], off
	v_lshlrev_b16_sdwa v2, v24, v5 dst_sel:DWORD dst_unused:UNUSED_PAD src0_sel:DWORD src1_sel:WORD_1
	v_and_b32_sdwa v9, v5, s26 dst_sel:DWORD dst_unused:UNUSED_PAD src0_sel:WORD_1 src1_sel:DWORD
	v_add_u16_e32 v2, 0xe000, v2
	v_or_b32_sdwa v5, v9, v2 dst_sel:DWORD dst_unused:UNUSED_PAD src0_sel:DWORD src1_sel:BYTE_1
	v_lshl_add_u64 v[2:3], v[38:39], 0, s[16:17]
	global_load_dword v9, v[2:3], off
	v_lshl_add_u64 v[2:3], v[32:33], 0, s[16:17]
	global_load_dword v2, v[2:3], off
	v_and_or_b32 v4, v4, s24, v6
	v_add_u16_sdwa v5, v5, s27 dst_sel:WORD_1 dst_unused:UNUSED_PAD src0_sel:DWORD src1_sel:DWORD
	v_lshlrev_b16_e32 v6, 8, v4
	v_or_b32_e32 v3, v8, v5
	v_and_b32_e32 v5, 0x3f00, v4
	v_add_u16_e32 v6, 0xe000, v6
	v_or_b32_sdwa v5, v5, v6 dst_sel:DWORD dst_unused:UNUSED_PAD src0_sel:DWORD src1_sel:BYTE_1
	v_and_b32_sdwa v6, v4, s26 dst_sel:DWORD dst_unused:UNUSED_PAD src0_sel:WORD_1 src1_sel:DWORD
	v_lshlrev_b16_sdwa v4, v24, v4 dst_sel:DWORD dst_unused:UNUSED_PAD src0_sel:DWORD src1_sel:WORD_1
	v_add_u16_e32 v4, 0xe000, v4
	v_or_b32_sdwa v4, v6, v4 dst_sel:DWORD dst_unused:UNUSED_PAD src0_sel:DWORD src1_sel:BYTE_1
	v_add_u16_e32 v5, 0xe000, v5
	v_add_u16_sdwa v4, v4, s27 dst_sel:WORD_1 dst_unused:UNUSED_PAD src0_sel:DWORD src1_sel:DWORD
	s_nop 0
	v_or_b32_e32 v4, v5, v4
	ds_write2_b32 v122, v3, v4 offset1:16
	s_waitcnt vmcnt(6)
	v_and_b32_e32 v3, 0xf0f0f0f, v7
	s_waitcnt vmcnt(5)
	v_ashrrev_i32_e32 v5, v108, v11
	v_lshlrev_b32_e32 v6, 4, v5
	v_and_or_b32 v3, v6, s25, v3
	v_lshrrev_b32_e32 v4, 4, v7
	v_lshlrev_b16_e32 v7, 8, v3
	v_and_b32_e32 v6, 0x3f00, v3
	v_add_u16_e32 v7, 0xe000, v7
	v_or_b32_sdwa v6, v6, v7 dst_sel:DWORD dst_unused:UNUSED_PAD src0_sel:DWORD src1_sel:BYTE_1
	v_and_b32_sdwa v7, v3, s26 dst_sel:DWORD dst_unused:UNUSED_PAD src0_sel:WORD_1 src1_sel:DWORD
	v_lshlrev_b16_sdwa v3, v24, v3 dst_sel:DWORD dst_unused:UNUSED_PAD src0_sel:DWORD src1_sel:WORD_1
	v_add_u16_e32 v3, 0xe000, v3
	v_and_b32_e32 v5, 0x30303030, v5
	v_or_b32_sdwa v3, v7, v3 dst_sel:DWORD dst_unused:UNUSED_PAD src0_sel:DWORD src1_sel:BYTE_1
	v_add_u16_e32 v6, 0xe000, v6
	v_add_u16_sdwa v3, v3, s27 dst_sel:WORD_1 dst_unused:UNUSED_PAD src0_sel:DWORD src1_sel:DWORD
	v_and_or_b32 v4, v4, s24, v5
	v_or_b32_e32 v3, v6, v3
	v_lshlrev_b16_e32 v6, 8, v4
	v_and_b32_e32 v5, 0x3f00, v4
	v_add_u16_e32 v6, 0xe000, v6
	v_or_b32_sdwa v5, v5, v6 dst_sel:DWORD dst_unused:UNUSED_PAD src0_sel:DWORD src1_sel:BYTE_1
	v_and_b32_sdwa v6, v4, s26 dst_sel:DWORD dst_unused:UNUSED_PAD src0_sel:WORD_1 src1_sel:DWORD
	v_lshlrev_b16_sdwa v4, v24, v4 dst_sel:DWORD dst_unused:UNUSED_PAD src0_sel:DWORD src1_sel:WORD_1
	v_add_u16_e32 v4, 0xe000, v4
	v_or_b32_sdwa v4, v6, v4 dst_sel:DWORD dst_unused:UNUSED_PAD src0_sel:DWORD src1_sel:BYTE_1
	v_add_u16_e32 v5, 0xe000, v5
	v_add_u16_sdwa v4, v4, s27 dst_sel:WORD_1 dst_unused:UNUSED_PAD src0_sel:DWORD src1_sel:DWORD
	s_nop 0
	v_or_b32_e32 v4, v5, v4
	s_waitcnt vmcnt(3)
	v_ashrrev_i32_e32 v5, v108, v12
	ds_write2_b32 v123, v3, v4 offset1:16
	v_and_b32_e32 v3, 0xf0f0f0f, v10
	v_lshlrev_b32_e32 v6, 4, v5
	v_and_or_b32 v3, v6, s25, v3
	v_lshlrev_b16_e32 v7, 8, v3
	v_and_b32_e32 v6, 0x3f00, v3
	v_add_u16_e32 v7, 0xe000, v7
	v_or_b32_sdwa v6, v6, v7 dst_sel:DWORD dst_unused:UNUSED_PAD src0_sel:DWORD src1_sel:BYTE_1
	v_and_b32_sdwa v7, v3, s26 dst_sel:DWORD dst_unused:UNUSED_PAD src0_sel:WORD_1 src1_sel:DWORD
	v_lshlrev_b16_sdwa v3, v24, v3 dst_sel:DWORD dst_unused:UNUSED_PAD src0_sel:DWORD src1_sel:WORD_1
	v_add_u16_e32 v3, 0xe000, v3
	v_lshrrev_b32_e32 v4, 4, v10
	v_and_b32_e32 v5, 0x30303030, v5
	v_or_b32_sdwa v3, v7, v3 dst_sel:DWORD dst_unused:UNUSED_PAD src0_sel:DWORD src1_sel:BYTE_1
	v_add_u16_e32 v6, 0xe000, v6
	v_add_u16_sdwa v3, v3, s27 dst_sel:WORD_1 dst_unused:UNUSED_PAD src0_sel:DWORD src1_sel:DWORD
	v_and_or_b32 v4, v4, s24, v5
	v_or_b32_e32 v3, v6, v3
	v_lshlrev_b16_e32 v6, 8, v4
	v_and_b32_e32 v5, 0x3f00, v4
	v_add_u16_e32 v6, 0xe000, v6
	v_or_b32_sdwa v5, v5, v6 dst_sel:DWORD dst_unused:UNUSED_PAD src0_sel:DWORD src1_sel:BYTE_1
	v_and_b32_sdwa v6, v4, s26 dst_sel:DWORD dst_unused:UNUSED_PAD src0_sel:WORD_1 src1_sel:DWORD
	v_lshlrev_b16_sdwa v4, v24, v4 dst_sel:DWORD dst_unused:UNUSED_PAD src0_sel:DWORD src1_sel:WORD_1
	v_add_u16_e32 v4, 0xe000, v4
	v_or_b32_sdwa v4, v6, v4 dst_sel:DWORD dst_unused:UNUSED_PAD src0_sel:DWORD src1_sel:BYTE_1
	s_waitcnt vmcnt(2)
	v_cvt_f32_f16_e32 v6, v13
	v_add_u16_e32 v5, 0xe000, v5
	v_add_u16_sdwa v4, v4, s27 dst_sel:WORD_1 dst_unused:UNUSED_PAD src0_sel:DWORD src1_sel:DWORD
	s_nop 0
	v_or_b32_e32 v4, v5, v4
	ds_write2_b32 v124, v3, v4 offset1:16
	ds_write_b32 v125, v6
	s_waitcnt vmcnt(1)
	ds_write_b32 v126, v9
	s_waitcnt vmcnt(0)
	ds_write_b32 v127, v2
	s_cbranch_scc0 .LBB215_5
; %bb.7:                                ;   in Loop: Header=BB215_6 Depth=1
	v_cmp_gt_i32_e64 s[2:3], s5, v130
	s_and_b64 s[20:21], s[0:1], s[2:3]
	s_and_saveexec_b64 s[2:3], s[20:21]
	s_cbranch_execz .LBB215_9
; %bb.8:                                ;   in Loop: Header=BB215_6 Depth=1
	v_add_u32_e32 v2, v28, v130
	v_mad_i64_i32 v[2:3], s[20:21], v2, 36, v[26:27]
	global_load_dword v2, v[2:3], off offset:4
	s_waitcnt vmcnt(0)
	ds_write_b32 v128, v2
.LBB215_9:                              ;   in Loop: Header=BB215_6 Depth=1
	s_or_b64 exec, exec, s[2:3]
	s_and_saveexec_b64 s[20:21], vcc
	s_cbranch_execz .LBB215_12
; %bb.10:                               ;   in Loop: Header=BB215_6 Depth=1
	v_cmp_gt_i32_e64 s[2:3], s5, v22
	s_and_b64 s[2:3], s[0:1], s[2:3]
	s_and_b64 exec, exec, s[2:3]
	s_cbranch_execz .LBB215_12
; %bb.11:                               ;   in Loop: Header=BB215_6 Depth=1
	v_add_u32_e32 v2, v28, v22
	v_mad_i64_i32 v[2:3], s[2:3], v2, 36, s[10:11]
	global_load_dword v2, v[2:3], off
	s_waitcnt vmcnt(0)
	v_cvt_f32_f16_e32 v2, v2
	ds_write_b32 v129, v2
.LBB215_12:                             ;   in Loop: Header=BB215_6 Depth=1
	s_or_b64 exec, exec, s[20:21]
	s_waitcnt lgkmcnt(0)
	s_barrier
	ds_read_b128 v[6:9], v131
	ds_read_b128 v[10:13], v131 offset:16
	ds_read_b128 v[14:17], v131 offset:32
	ds_read_b128 v[18:21], v131 offset:48
	ds_read_b32 v23, v135
	ds_read2_b32 v[100:101], v134 offset0:6 offset1:7
	ds_read2_b32 v[104:105], v134 offset0:4 offset1:5
	ds_read2_b32 v[106:107], v134 offset0:2 offset1:3
	ds_read2_b32 v[146:147], v134 offset1:1
	ds_read2_b32 v[148:149], v134 offset0:14 offset1:15
	ds_read2_b32 v[150:151], v134 offset0:12 offset1:13
	ds_read_b128 v[2:5], v132 offset:36944
	ds_read2_b32 v[102:103], v133 offset1:1
	v_mov_b32_e32 v156, 0
	ds_read2_b32 v[152:153], v134 offset0:10 offset1:11
	ds_read2_b32 v[154:155], v134 offset0:8 offset1:9
	s_waitcnt lgkmcnt(4)
	v_dot4c_i32_i8_e32 v156, v150, v18
	v_dot4c_i32_i8_e32 v156, v151, v19
	;; [unrolled: 1-line block ×4, first 2 shown]
	v_mov_b32_e32 v149, 0
	v_dot4c_i32_i8_e32 v149, v104, v10
	v_dot4c_i32_i8_e32 v149, v105, v11
	;; [unrolled: 1-line block ×4, first 2 shown]
	v_mov_b32_e32 v101, 0
	v_dot4c_i32_i8_e32 v101, v146, v6
	v_dot4c_i32_i8_e32 v101, v147, v7
	s_waitcnt lgkmcnt(2)
	v_bfe_i32 v100, v102, 8, 8
	v_dot4c_i32_i8_e32 v101, v106, v8
	v_mul_lo_u32 v100, v149, v100
	v_dot4c_i32_i8_e32 v101, v107, v9
	v_bfe_i32 v104, v102, 0, 8
	v_mov_b32_e32 v148, 0
	s_waitcnt lgkmcnt(0)
	v_dot4c_i32_i8_e32 v148, v154, v14
	v_mad_u64_u32 v[100:101], s[2:3], v101, v104, v[100:101]
	v_cvt_f32_i32_e32 v100, v100
	v_dot4c_i32_i8_e32 v148, v155, v15
	v_dot4c_i32_i8_e32 v148, v152, v16
	;; [unrolled: 1-line block ×3, first 2 shown]
	v_fma_f32 v160, v2, v100, 0
	v_ashrrev_i32_e32 v100, 24, v102
	v_bfe_i32 v101, v102, 16, 8
	v_mul_lo_u32 v100, v156, v100
	v_mad_u64_u32 v[100:101], s[2:3], v148, v101, v[100:101]
	v_add_u32_e32 v104, 0x2090, v134
	v_add_u32_e32 v146, 0x2088, v134
	;; [unrolled: 1-line block ×5, first 2 shown]
	v_cvt_f32_i32_e32 v161, v100
	ds_read2_b32 v[100:101], v139 offset1:1
	ds_read_b32 v164, v138 offset:128
	ds_read2_b32 v[106:107], v137 offset1:1
	ds_read2_b32 v[104:105], v104 offset1:1
	;; [unrolled: 1-line block ×6, first 2 shown]
	v_mov_b32_e32 v162, 0
	v_add_u32_e32 v102, 0x2098, v134
	v_add_u32_e32 v154, 0x20a8, v134
	;; [unrolled: 1-line block ×3, first 2 shown]
	s_waitcnt lgkmcnt(0)
	v_dot4c_i32_i8_e32 v162, v152, v18
	v_dot4c_i32_i8_e32 v162, v153, v19
	v_add_u32_e32 v158, 0x4118, v134
	v_dot4c_i32_i8_e32 v162, v150, v20
	ds_read2_b32 v[154:155], v154 offset1:1
	ds_read2_b32 v[156:157], v156 offset1:1
	;; [unrolled: 1-line block ×3, first 2 shown]
	v_dot4c_i32_i8_e32 v162, v151, v21
	ds_read2_b32 v[150:151], v102 offset1:1
	v_mov_b32_e32 v153, 0
	v_dot4c_i32_i8_e32 v153, v104, v10
	v_dot4c_i32_i8_e32 v153, v105, v11
	v_mov_b32_e32 v105, 0
	v_dot4c_i32_i8_e32 v105, v148, v6
	s_waitcnt lgkmcnt(0)
	v_dot4c_i32_i8_e32 v153, v150, v12
	v_dot4c_i32_i8_e32 v105, v149, v7
	v_mov_b32_e32 v152, 0
	v_dot4c_i32_i8_e32 v153, v151, v13
	v_bfe_i32 v104, v106, 8, 8
	v_dot4c_i32_i8_e32 v105, v146, v8
	v_dot4c_i32_i8_e32 v152, v156, v14
	v_mul_lo_u32 v104, v153, v104
	v_dot4c_i32_i8_e32 v105, v147, v9
	v_bfe_i32 v146, v106, 0, 8
	v_dot4c_i32_i8_e32 v152, v157, v15
	v_dot4c_i32_i8_e32 v152, v154, v16
	v_mad_u64_u32 v[104:105], s[2:3], v105, v146, v[104:105]
	v_cvt_f32_i32_e32 v146, v104
	v_ashrrev_i32_e32 v104, 24, v106
	v_dot4c_i32_i8_e32 v152, v155, v17
	v_bfe_i32 v105, v106, 16, 8
	v_mul_lo_u32 v104, v162, v104
	v_add_u32_e32 v148, 0x4100, v134
	v_mad_u64_u32 v[104:105], s[2:3], v152, v105, v[104:105]
	v_cvt_f32_i32_e32 v104, v104
	v_fma_f32 v105, v2, v146, 0
	v_add_u32_e32 v146, 0x4108, v134
	v_add_u32_e32 v150, 0x4138, v134
	v_fmac_f32_e32 v105, v3, v104
	v_add_u32_e32 v104, 0x4110, v134
	v_add_u32_e32 v152, 0x4130, v134
	ds_read_b32 v102, v142 offset:384
	ds_read_b32 v106, v140 offset:256
	v_fmac_f32_e32 v143, v164, v105
	ds_read2_b32 v[104:105], v104 offset1:1
	ds_read2_b32 v[146:147], v146 offset1:1
	;; [unrolled: 1-line block ×5, first 2 shown]
	v_mov_b32_e32 v162, 0
	v_fmac_f32_e32 v160, v3, v161
	v_fmac_f32_e32 v25, v23, v160
	v_add_u32_e32 v154, 0x4128, v134
	s_waitcnt lgkmcnt(0)
	v_dot4c_i32_i8_e32 v162, v152, v18
	v_dot4c_i32_i8_e32 v162, v153, v19
	;; [unrolled: 1-line block ×4, first 2 shown]
	v_mov_b32_e32 v151, 0
	v_dot4c_i32_i8_e32 v151, v104, v10
	v_dot4c_i32_i8_e32 v151, v105, v11
	v_mov_b32_e32 v105, 0
	v_dot4c_i32_i8_e32 v105, v148, v6
	v_dot4c_i32_i8_e32 v151, v158, v12
	;; [unrolled: 1-line block ×3, first 2 shown]
	v_add_u32_e32 v156, 0x4120, v134
	v_add_u32_e32 v160, 0x6198, v134
	v_dot4c_i32_i8_e32 v151, v159, v13
	v_bfe_i32 v104, v100, 8, 8
	v_dot4c_i32_i8_e32 v105, v146, v8
	ds_read2_b32 v[154:155], v154 offset1:1
	ds_read2_b32 v[156:157], v156 offset1:1
	;; [unrolled: 1-line block ×3, first 2 shown]
	v_mul_lo_u32 v104, v151, v104
	v_dot4c_i32_i8_e32 v105, v147, v9
	v_bfe_i32 v146, v100, 0, 8
	v_mov_b32_e32 v150, 0
	s_waitcnt lgkmcnt(1)
	v_dot4c_i32_i8_e32 v150, v156, v14
	v_mad_u64_u32 v[104:105], s[2:3], v105, v146, v[104:105]
	v_cvt_f32_i32_e32 v104, v104
	v_dot4c_i32_i8_e32 v150, v157, v15
	v_dot4c_i32_i8_e32 v150, v154, v16
	;; [unrolled: 1-line block ×3, first 2 shown]
	v_fma_f32 v165, v2, v104, 0
	v_bfe_i32 v104, v100, 16, 8
	v_ashrrev_i32_e32 v100, 24, v100
	v_mul_lo_u32 v100, v162, v100
	v_mad_u64_u32 v[104:105], s[2:3], v150, v104, v[100:101]
	v_add_u32_e32 v146, 0x6190, v134
	v_add_u32_e32 v148, 0x6188, v134
	;; [unrolled: 1-line block ×5, first 2 shown]
	v_cvt_f32_i32_e32 v100, v104
	ds_read2_b32 v[104:105], v141 offset1:1
	ds_read2_b32 v[146:147], v146 offset1:1
	;; [unrolled: 1-line block ×6, first 2 shown]
	v_add_u32_e32 v156, 0x61a8, v134
	v_add_u32_e32 v158, 0x61a0, v134
	;; [unrolled: 1-line block ×3, first 2 shown]
	ds_read2_b32 v[156:157], v156 offset1:1
	ds_read2_b32 v[158:159], v158 offset1:1
	;; [unrolled: 1-line block ×3, first 2 shown]
	v_mov_b32_e32 v166, 0
	s_waitcnt lgkmcnt(3)
	v_dot4c_i32_i8_e32 v166, v154, v18
	v_mov_b32_e32 v18, 0
	s_waitcnt lgkmcnt(1)
	v_dot4c_i32_i8_e32 v18, v158, v14
	v_mov_b32_e32 v14, 0
	v_dot4c_i32_i8_e32 v14, v146, v10
	v_dot4c_i32_i8_e32 v14, v147, v11
	v_mov_b32_e32 v11, 0
	v_dot4c_i32_i8_e32 v11, v150, v6
	v_dot4c_i32_i8_e32 v14, v160, v12
	;; [unrolled: 1-line block ×4, first 2 shown]
	v_bfe_i32 v10, v104, 8, 8
	v_dot4c_i32_i8_e32 v11, v148, v8
	v_dot4c_i32_i8_e32 v166, v155, v19
	v_mul_lo_u32 v10, v14, v10
	v_dot4c_i32_i8_e32 v11, v149, v9
	v_bfe_i32 v6, v104, 0, 8
	v_dot4c_i32_i8_e32 v166, v152, v20
	v_dot4c_i32_i8_e32 v18, v159, v15
	v_mad_u64_u32 v[6:7], s[2:3], v11, v6, v[10:11]
	v_dot4c_i32_i8_e32 v166, v153, v21
	v_dot4c_i32_i8_e32 v18, v156, v16
	v_cvt_f32_i32_e32 v8, v6
	v_ashrrev_i32_e32 v6, 24, v104
	v_dot4c_i32_i8_e32 v18, v157, v17
	v_bfe_i32 v7, v104, 16, 8
	v_mul_lo_u32 v6, v166, v6
	v_fma_f32 v2, v2, v8, 0
	v_mad_u64_u32 v[6:7], s[2:3], v18, v7, v[6:7]
	v_cvt_f32_i32_e32 v6, v6
	v_fmac_f32_e32 v165, v3, v100
	v_mov_b32_e32 v100, 0
	v_mov_b32_e32 v104, 0
	v_fmac_f32_e32 v2, v3, v6
	v_fmac_f32_e32 v145, v102, v2
	ds_read_b128 v[10:13], v131 offset:80
	ds_read_b128 v[6:9], v131 offset:64
	;; [unrolled: 1-line block ×4, first 2 shown]
	ds_read2_b32 v[2:3], v134 offset0:30 offset1:31
	ds_read2_b32 v[146:147], v134 offset0:28 offset1:29
	;; [unrolled: 1-line block ×6, first 2 shown]
	s_waitcnt lgkmcnt(4)
	v_dot4c_i32_i8_e32 v100, v146, v18
	v_dot4c_i32_i8_e32 v100, v147, v19
	;; [unrolled: 1-line block ×3, first 2 shown]
	v_mov_b32_e32 v2, 0
	s_waitcnt lgkmcnt(2)
	v_dot4c_i32_i8_e32 v2, v150, v10
	v_dot4c_i32_i8_e32 v2, v151, v11
	;; [unrolled: 1-line block ×5, first 2 shown]
	v_bfe_i32 v3, v103, 8, 8
	ds_read2_b32 v[156:157], v134 offset0:26 offset1:27
	ds_read2_b32 v[158:159], v134 offset0:24 offset1:25
	v_mul_lo_u32 v2, v2, v3
	v_mov_b32_e32 v3, 0
	s_waitcnt lgkmcnt(2)
	v_dot4c_i32_i8_e32 v3, v154, v6
	v_dot4c_i32_i8_e32 v3, v155, v7
	;; [unrolled: 1-line block ×4, first 2 shown]
	v_bfe_i32 v146, v103, 0, 8
	s_waitcnt lgkmcnt(0)
	v_dot4c_i32_i8_e32 v104, v158, v14
	v_dot4c_i32_i8_e32 v104, v159, v15
	v_mad_u64_u32 v[2:3], s[2:3], v3, v146, v[2:3]
	v_cvt_f32_i32_e32 v2, v2
	v_dot4c_i32_i8_e32 v104, v156, v16
	v_dot4c_i32_i8_e32 v104, v157, v17
	v_bfe_i32 v3, v103, 16, 8
	v_fma_f32 v160, v4, v2, 0
	v_ashrrev_i32_e32 v2, 24, v103
	v_mul_lo_u32 v2, v100, v2
	v_mad_u64_u32 v[2:3], s[2:3], v104, v3, v[2:3]
	v_cvt_f32_i32_e32 v100, v2
	v_add_u32_e32 v2, 0x20d0, v134
	v_add_u32_e32 v103, 0x20c8, v134
	v_add_u32_e32 v150, 0x20f8, v134
	v_add_u32_e32 v104, 0x20c0, v134
	ds_read2_b32 v[2:3], v2 offset1:1
	ds_read2_b32 v[146:147], v103 offset1:1
	ds_read2_b32 v[148:149], v104 offset1:1
	ds_read2_b32 v[150:151], v150 offset1:1
	v_add_u32_e32 v103, 0x20f0, v134
	ds_read2_b32 v[152:153], v103 offset1:1
	v_mov_b32_e32 v104, 0
	v_add_u32_e32 v154, 0x20e8, v134
	v_add_u32_e32 v156, 0x20e0, v134
	;; [unrolled: 1-line block ×3, first 2 shown]
	s_waitcnt lgkmcnt(0)
	v_dot4c_i32_i8_e32 v104, v152, v18
	v_dot4c_i32_i8_e32 v104, v153, v19
	v_dot4c_i32_i8_e32 v104, v150, v20
	v_mov_b32_e32 v150, 0
	v_dot4c_i32_i8_e32 v150, v2, v10
	ds_read2_b32 v[154:155], v154 offset1:1
	ds_read2_b32 v[156:157], v156 offset1:1
	;; [unrolled: 1-line block ×3, first 2 shown]
	v_dot4c_i32_i8_e32 v150, v3, v11
	v_mov_b32_e32 v3, 0
	v_dot4c_i32_i8_e32 v3, v148, v6
	v_dot4c_i32_i8_e32 v150, v162, v12
	;; [unrolled: 1-line block ×3, first 2 shown]
	v_mov_b32_e32 v103, 0
	v_dot4c_i32_i8_e32 v150, v163, v13
	v_bfe_i32 v2, v107, 8, 8
	v_dot4c_i32_i8_e32 v3, v146, v8
	s_waitcnt lgkmcnt(1)
	v_dot4c_i32_i8_e32 v103, v156, v14
	v_mul_lo_u32 v2, v150, v2
	v_dot4c_i32_i8_e32 v3, v147, v9
	v_bfe_i32 v146, v107, 0, 8
	v_dot4c_i32_i8_e32 v103, v157, v15
	v_dot4c_i32_i8_e32 v104, v151, v21
	v_mad_u64_u32 v[2:3], s[2:3], v3, v146, v[2:3]
	v_dot4c_i32_i8_e32 v103, v154, v16
	v_cvt_f32_i32_e32 v146, v2
	v_ashrrev_i32_e32 v2, 24, v107
	v_dot4c_i32_i8_e32 v103, v155, v17
	v_bfe_i32 v3, v107, 16, 8
	v_mul_lo_u32 v2, v104, v2
	v_fmac_f32_e32 v160, v5, v100
	v_mad_u64_u32 v[2:3], s[2:3], v103, v3, v[2:3]
	v_cvt_f32_i32_e32 v2, v2
	v_fma_f32 v3, v4, v146, 0
	v_fmac_f32_e32 v25, v23, v160
	v_add_u32_e32 v23, 0x4148, v134
	v_fmac_f32_e32 v3, v5, v2
	v_add_u32_e32 v2, 0x4150, v134
	v_add_u32_e32 v103, 0x4178, v134
	v_fmac_f32_e32 v143, v164, v3
	v_add_u32_e32 v100, 0x4140, v134
	ds_read2_b32 v[2:3], v2 offset1:1
	ds_read2_b32 v[146:147], v23 offset1:1
	;; [unrolled: 1-line block ×4, first 2 shown]
	v_add_u32_e32 v23, 0x4170, v134
	v_add_u32_e32 v103, 0x4168, v134
	;; [unrolled: 1-line block ×3, first 2 shown]
	ds_read2_b32 v[152:153], v23 offset1:1
	v_add_u32_e32 v23, 0x61d8, v134
	ds_read2_b32 v[154:155], v103 offset1:1
	ds_read2_b32 v[156:157], v104 offset1:1
	ds_read2_b32 v[160:161], v23 offset1:1
	v_mov_b32_e32 v103, 0
	s_waitcnt lgkmcnt(7)
	v_dot4c_i32_i8_e32 v103, v2, v10
	v_dot4c_i32_i8_e32 v103, v3, v11
	v_mov_b32_e32 v3, 0
	s_waitcnt lgkmcnt(5)
	v_dot4c_i32_i8_e32 v3, v148, v6
	v_dot4c_i32_i8_e32 v103, v158, v12
	;; [unrolled: 1-line block ×4, first 2 shown]
	v_bfe_i32 v2, v101, 8, 8
	v_dot4c_i32_i8_e32 v3, v146, v8
	v_dot4c_i32_i8_e32 v3, v147, v9
	v_mul_lo_u32 v2, v103, v2
	v_bfe_i32 v103, v101, 0, 8
	v_mov_b32_e32 v100, 0
	v_mad_u64_u32 v[2:3], s[2:3], v3, v103, v[2:3]
	v_cvt_f32_i32_e32 v2, v2
	s_waitcnt lgkmcnt(3)
	v_dot4c_i32_i8_e32 v100, v152, v18
	v_mov_b32_e32 v23, 0
	v_dot4c_i32_i8_e32 v100, v153, v19
	s_waitcnt lgkmcnt(1)
	v_dot4c_i32_i8_e32 v23, v156, v14
	v_dot4c_i32_i8_e32 v100, v150, v20
	;; [unrolled: 1-line block ×5, first 2 shown]
	v_fma_f32 v103, v4, v2, 0
	v_ashrrev_i32_e32 v2, 24, v101
	v_dot4c_i32_i8_e32 v23, v155, v17
	v_bfe_i32 v3, v101, 16, 8
	v_mul_lo_u32 v2, v100, v2
	v_add_u32_e32 v100, 0x61c8, v134
	v_mad_u64_u32 v[2:3], s[2:3], v23, v3, v[2:3]
	v_cvt_f32_i32_e32 v23, v2
	v_add_u32_e32 v2, 0x61d0, v134
	v_add_u32_e32 v104, 0x61c0, v134
	;; [unrolled: 1-line block ×3, first 2 shown]
	ds_read2_b32 v[2:3], v2 offset1:1
	ds_read2_b32 v[100:101], v100 offset1:1
	;; [unrolled: 1-line block ×4, first 2 shown]
	v_add_u32_e32 v104, 0x61f0, v134
	ds_read2_b32 v[150:151], v104 offset1:1
	v_add_u32_e32 v104, 0x61e8, v134
	v_add_u32_e32 v154, 0x61e0, v134
	ds_read2_b32 v[152:153], v104 offset1:1
	ds_read2_b32 v[154:155], v154 offset1:1
	v_mov_b32_e32 v107, 0
	s_waitcnt lgkmcnt(2)
	v_dot4c_i32_i8_e32 v107, v150, v18
	v_mov_b32_e32 v18, 0
	v_dot4c_i32_i8_e32 v107, v151, v19
	s_waitcnt lgkmcnt(0)
	v_dot4c_i32_i8_e32 v18, v154, v14
	v_mov_b32_e32 v14, 0
	v_dot4c_i32_i8_e32 v14, v2, v10
	v_dot4c_i32_i8_e32 v14, v3, v11
	v_mov_b32_e32 v3, 0
	v_dot4c_i32_i8_e32 v3, v146, v6
	v_dot4c_i32_i8_e32 v14, v160, v12
	;; [unrolled: 1-line block ×4, first 2 shown]
	v_bfe_i32 v2, v105, 8, 8
	v_dot4c_i32_i8_e32 v3, v100, v8
	v_dot4c_i32_i8_e32 v3, v101, v9
	v_mul_lo_u32 v2, v14, v2
	v_bfe_i32 v6, v105, 0, 8
	v_dot4c_i32_i8_e32 v107, v148, v20
	v_dot4c_i32_i8_e32 v18, v155, v15
	v_mad_u64_u32 v[2:3], s[2:3], v3, v6, v[2:3]
	v_dot4c_i32_i8_e32 v107, v149, v21
	v_dot4c_i32_i8_e32 v18, v152, v16
	v_cvt_f32_i32_e32 v6, v2
	v_ashrrev_i32_e32 v2, 24, v105
	v_dot4c_i32_i8_e32 v18, v153, v17
	v_bfe_i32 v3, v105, 16, 8
	v_mul_lo_u32 v2, v107, v2
	v_fmac_f32_e32 v144, v106, v165
	v_mad_u64_u32 v[2:3], s[2:3], v18, v3, v[2:3]
	v_cvt_f32_i32_e32 v2, v2
	v_fma_f32 v3, v4, v6, 0
	v_fmac_f32_e32 v103, v5, v23
	v_fmac_f32_e32 v144, v106, v103
	;; [unrolled: 1-line block ×4, first 2 shown]
	s_cmp_ge_i32 s14, s15
	s_barrier
	s_cbranch_scc1 .LBB215_5
; %bb.13:                               ;   in Loop: Header=BB215_6 Depth=1
	v_cmp_gt_i32_e64 s[2:3], s5, v136
	s_and_b64 s[20:21], s[0:1], s[2:3]
	s_and_saveexec_b64 s[2:3], s[20:21]
	s_cbranch_execz .LBB215_15
; %bb.14:                               ;   in Loop: Header=BB215_6 Depth=1
	v_add_u32_e32 v2, v28, v136
	v_mad_i64_i32 v[2:3], s[20:21], v2, 36, v[26:27]
	global_load_dword v2, v[2:3], off offset:4
	s_waitcnt vmcnt(0)
	ds_write_b32 v128, v2
.LBB215_15:                             ;   in Loop: Header=BB215_6 Depth=1
	s_or_b64 exec, exec, s[2:3]
	s_and_saveexec_b64 s[20:21], vcc
	s_cbranch_execz .LBB215_4
; %bb.16:                               ;   in Loop: Header=BB215_6 Depth=1
	v_add_u32_e32 v2, 4, v22
	v_cmp_gt_i32_e64 s[2:3], s5, v2
	s_and_b64 s[2:3], s[0:1], s[2:3]
	s_and_b64 exec, exec, s[2:3]
	s_cbranch_execz .LBB215_4
; %bb.17:                               ;   in Loop: Header=BB215_6 Depth=1
	v_ashrrev_i32_e32 v23, 31, v22
	v_lshl_add_u64 v[2:3], v[28:29], 0, v[22:23]
	v_mad_u64_u32 v[4:5], s[2:3], v2, 36, s[18:19]
	v_mad_i32_i24 v5, v3, 36, v5
	global_load_dword v2, v[4:5], off
	s_waitcnt vmcnt(0)
	v_cvt_f32_f16_e32 v2, v2
	ds_write_b32 v129, v2
	s_branch .LBB215_4
.LBB215_18:
	v_mov_b32_e32 v2, 0
	v_mov_b32_e32 v4, 0
	;; [unrolled: 1-line block ×3, first 2 shown]
	s_mul_i32 s0, s7, s4
	s_waitcnt vmcnt(0)
	v_cmp_gt_i32_e32 vcc, s0, v1
	s_and_saveexec_b64 s[0:1], vcc
	s_cbranch_execnz .LBB215_21
.LBB215_19:
	s_endpgm
.LBB215_20:
	v_cvt_f16_f32_e32 v6, v25
	v_cvt_f16_f32_e32 v4, v143
	;; [unrolled: 1-line block ×4, first 2 shown]
	s_mul_i32 s0, s7, s4
	v_cmp_gt_i32_e32 vcc, s0, v1
	s_and_saveexec_b64 s[0:1], vcc
	s_cbranch_execz .LBB215_19
.LBB215_21:
	v_and_b32_e32 v0, 0x3ff, v0
	v_add_u32_e32 v5, s22, v0
	v_mul_lo_u32 v0, v1, s6
	v_cmp_gt_u32_e32 vcc, s6, v5
	s_and_saveexec_b64 s[0:1], vcc
	s_cbranch_execz .LBB215_23
; %bb.22:
	v_add_u32_e32 v8, v0, v5
	v_mov_b32_e32 v9, 0
	v_lshl_add_u64 v[8:9], v[8:9], 1, s[12:13]
	global_store_short v[8:9], v6, off
.LBB215_23:
	s_or_b64 exec, exec, s[0:1]
	v_add_u32_e32 v1, 32, v5
	v_cmp_gt_u32_e32 vcc, s6, v1
	s_and_saveexec_b64 s[0:1], vcc
	s_cbranch_execz .LBB215_25
; %bb.24:
	v_add_u32_e32 v6, v0, v1
	v_mov_b32_e32 v7, 0
	v_lshl_add_u64 v[6:7], v[6:7], 1, s[12:13]
	global_store_short v[6:7], v4, off
.LBB215_25:
	s_or_b64 exec, exec, s[0:1]
	v_add_u32_e32 v1, 64, v5
	v_cmp_gt_u32_e32 vcc, s6, v1
	s_and_saveexec_b64 s[0:1], vcc
	s_cbranch_execz .LBB215_27
; %bb.26:
	v_add_u32_e32 v6, v0, v1
	v_mov_b32_e32 v7, 0
	v_lshl_add_u64 v[6:7], v[6:7], 1, s[12:13]
	global_store_short v[6:7], v2, off
.LBB215_27:
	s_or_b64 exec, exec, s[0:1]
	v_add_u32_e32 v1, 0x60, v5
	v_cmp_gt_u32_e32 vcc, s6, v1
	s_and_b64 exec, exec, vcc
	s_cbranch_execz .LBB215_19
; %bb.28:
	v_add_u32_e32 v0, v0, v1
	v_mov_b32_e32 v1, 0
	v_lshl_add_u64 v[0:1], v[0:1], 1, s[12:13]
	global_store_short v[0:1], v3, off
	s_endpgm
	.section	.rodata,"a",@progbits
	.p2align	6, 0x0
	.amdhsa_kernel _ZL8moe_q6_KIN3c104HalfELb0EEvPKvS3_PT_PKiS7_S7_iiiiiii
		.amdhsa_group_segment_fixed_size 37072
		.amdhsa_private_segment_fixed_size 0
		.amdhsa_kernarg_size 76
		.amdhsa_user_sgpr_count 2
		.amdhsa_user_sgpr_dispatch_ptr 0
		.amdhsa_user_sgpr_queue_ptr 0
		.amdhsa_user_sgpr_kernarg_segment_ptr 1
		.amdhsa_user_sgpr_dispatch_id 0
		.amdhsa_user_sgpr_kernarg_preload_length 0
		.amdhsa_user_sgpr_kernarg_preload_offset 0
		.amdhsa_user_sgpr_private_segment_size 0
		.amdhsa_uses_dynamic_stack 0
		.amdhsa_enable_private_segment 0
		.amdhsa_system_sgpr_workgroup_id_x 1
		.amdhsa_system_sgpr_workgroup_id_y 1
		.amdhsa_system_sgpr_workgroup_id_z 0
		.amdhsa_system_sgpr_workgroup_info 0
		.amdhsa_system_vgpr_workitem_id 1
		.amdhsa_next_free_vgpr 167
		.amdhsa_next_free_sgpr 29
		.amdhsa_accum_offset 168
		.amdhsa_reserve_vcc 1
		.amdhsa_float_round_mode_32 0
		.amdhsa_float_round_mode_16_64 0
		.amdhsa_float_denorm_mode_32 3
		.amdhsa_float_denorm_mode_16_64 3
		.amdhsa_dx10_clamp 1
		.amdhsa_ieee_mode 1
		.amdhsa_fp16_overflow 0
		.amdhsa_tg_split 0
		.amdhsa_exception_fp_ieee_invalid_op 0
		.amdhsa_exception_fp_denorm_src 0
		.amdhsa_exception_fp_ieee_div_zero 0
		.amdhsa_exception_fp_ieee_overflow 0
		.amdhsa_exception_fp_ieee_underflow 0
		.amdhsa_exception_fp_ieee_inexact 0
		.amdhsa_exception_int_div_zero 0
	.end_amdhsa_kernel
	.section	.text._ZL8moe_q6_KIN3c104HalfELb0EEvPKvS3_PT_PKiS7_S7_iiiiiii,"axG",@progbits,_ZL8moe_q6_KIN3c104HalfELb0EEvPKvS3_PT_PKiS7_S7_iiiiiii,comdat
.Lfunc_end215:
	.size	_ZL8moe_q6_KIN3c104HalfELb0EEvPKvS3_PT_PKiS7_S7_iiiiiii, .Lfunc_end215-_ZL8moe_q6_KIN3c104HalfELb0EEvPKvS3_PT_PKiS7_S7_iiiiiii
                                        ; -- End function
	.section	.AMDGPU.csdata,"",@progbits
; Kernel info:
; codeLenInByte = 12056
; NumSgprs: 35
; NumVgprs: 167
; NumAgprs: 0
; TotalNumVgprs: 167
; ScratchSize: 0
; MemoryBound: 0
; FloatMode: 240
; IeeeMode: 1
; LDSByteSize: 37072 bytes/workgroup (compile time only)
; SGPRBlocks: 4
; VGPRBlocks: 20
; NumSGPRsForWavesPerEU: 35
; NumVGPRsForWavesPerEU: 167
; AccumOffset: 168
; Occupancy: 1
; WaveLimiterHint : 1
; COMPUTE_PGM_RSRC2:SCRATCH_EN: 0
; COMPUTE_PGM_RSRC2:USER_SGPR: 2
; COMPUTE_PGM_RSRC2:TRAP_HANDLER: 0
; COMPUTE_PGM_RSRC2:TGID_X_EN: 1
; COMPUTE_PGM_RSRC2:TGID_Y_EN: 1
; COMPUTE_PGM_RSRC2:TGID_Z_EN: 0
; COMPUTE_PGM_RSRC2:TIDIG_COMP_CNT: 1
; COMPUTE_PGM_RSRC3_GFX90A:ACCUM_OFFSET: 41
; COMPUTE_PGM_RSRC3_GFX90A:TG_SPLIT: 0
	.section	.text._ZL8moe_q6_KIN3c104HalfELb1EEvPKvS3_PT_PKiS7_S7_iiiiiii,"axG",@progbits,_ZL8moe_q6_KIN3c104HalfELb1EEvPKvS3_PT_PKiS7_S7_iiiiiii,comdat
	.globl	_ZL8moe_q6_KIN3c104HalfELb1EEvPKvS3_PT_PKiS7_S7_iiiiiii ; -- Begin function _ZL8moe_q6_KIN3c104HalfELb1EEvPKvS3_PT_PKiS7_S7_iiiiiii
	.p2align	8
	.type	_ZL8moe_q6_KIN3c104HalfELb1EEvPKvS3_PT_PKiS7_S7_iiiiiii,@function
_ZL8moe_q6_KIN3c104HalfELb1EEvPKvS3_PT_PKiS7_S7_iiiiiii: ; @_ZL8moe_q6_KIN3c104HalfELb1EEvPKvS3_PT_PKiS7_S7_iiiiiii
; %bb.0:
	s_load_dwordx4 s[4:7], s[0:1], 0x18
	s_mov_b32 s8, s3
	s_mov_b32 s9, 0
	s_lshl_b64 s[10:11], s[8:9], 2
	s_waitcnt lgkmcnt(0)
	s_add_u32 s6, s6, s10
	s_addc_u32 s7, s7, s11
	s_load_dword s3, s[6:7], 0x0
	s_waitcnt lgkmcnt(0)
	s_cmpk_gt_u32 s3, 0xff
	s_cbranch_scc1 .LBB216_19
; %bb.1:
	s_load_dwordx2 s[6:7], s[0:1], 0x28
	s_waitcnt lgkmcnt(0)
	s_load_dword s7, s[6:7], 0x0
	s_lshl_b32 s6, s8, 3
	s_waitcnt lgkmcnt(0)
	s_cmp_gt_u32 s6, s7
	s_cbranch_scc1 .LBB216_19
; %bb.2:
	v_bfe_u32 v4, v0, 10, 10
	v_mov_b32_e32 v6, s4
	v_mov_b32_e32 v7, s5
	v_add_u32_e32 v2, s6, v4
	v_mov_b32_e32 v3, 0
	v_lshl_add_u64 v[6:7], v[2:3], 2, v[6:7]
	global_load_dword v1, v[6:7], off
	s_load_dwordx8 s[4:11], s[0:1], 0x30
	s_load_dwordx2 s[16:17], s[0:1], 0x10
	s_waitcnt lgkmcnt(0)
	s_lshl_b32 s11, s2, 7
	s_cmpk_lt_i32 s5, 0x100
	s_cbranch_scc1 .LBB216_18
; %bb.3:
	v_and_b32_e32 v22, 0x3ff, v0
	s_load_dwordx4 s[12:15], s[0:1], 0x0
	s_ashr_i32 s0, s5, 31
	v_and_b32_e32 v5, 31, v22
	s_lshr_b32 s0, s0, 24
	v_add_u16_e32 v2, -16, v5
	v_cmp_gt_u32_e32 vcc, 16, v5
	s_add_i32 s0, s5, s0
	s_ashr_i32 s24, s0, 8
	v_cndmask_b32_e32 v2, v2, v5, vcc
	s_ashr_i32 s0, s8, 31
	v_cmp_lt_u16_e32 vcc, 7, v2
	s_lshr_b32 s0, s0, 27
	s_add_i32 s0, s8, s0
	v_cndmask_b32_e64 v2, 0, 1, vcc
	v_cmp_lt_u32_e32 vcc, 15, v5
	v_lshlrev_b32_e32 v140, 1, v2
	s_ashr_i32 s8, s0, 5
	v_cndmask_b32_e64 v2, 0, 1, vcc
	s_not_b32 s0, s11
	v_lshlrev_b32_e32 v10, 5, v2
	s_add_i32 s2, s0, s6
	v_and_or_b32 v2, v22, 15, v10
	s_mul_i32 s18, s3, s4
	v_min_i32_e32 v3, s2, v4
	v_lshlrev_b32_e32 v2, 2, v2
	s_movk_i32 s3, 0x104
	v_mul_lo_u32 v11, v3, s24
	v_mad_u64_u32 v[26:27], s[0:1], v3, s3, v[2:3]
	v_add_u32_e32 v3, 8, v4
	v_min_i32_e32 v3, s2, v3
	v_mul_lo_u32 v12, v3, s24
	v_mad_u64_u32 v[28:29], s[0:1], v3, s3, v[2:3]
	v_add_u32_e32 v3, 16, v4
	v_min_i32_e32 v3, s2, v3
	v_mul_lo_u32 v13, v3, s24
	v_mad_u64_u32 v[30:31], s[0:1], v3, s3, v[2:3]
	v_add_u32_e32 v3, 24, v4
	v_min_i32_e32 v3, s2, v3
	v_mul_lo_u32 v14, v3, s24
	v_mad_u64_u32 v[32:33], s[0:1], v3, s3, v[2:3]
	v_add_u32_e32 v3, 32, v4
	v_min_i32_e32 v3, s2, v3
	v_mul_lo_u32 v15, v3, s24
	v_mad_u64_u32 v[34:35], s[0:1], v3, s3, v[2:3]
	v_add_u32_e32 v3, 40, v4
	v_min_i32_e32 v3, s2, v3
	v_mul_lo_u32 v16, v3, s24
	v_mad_u64_u32 v[36:37], s[0:1], v3, s3, v[2:3]
	v_add_u32_e32 v3, 48, v4
	v_min_i32_e32 v3, s2, v3
	v_mul_lo_u32 v17, v3, s24
	v_mad_u64_u32 v[38:39], s[0:1], v3, s3, v[2:3]
	v_add_u32_e32 v3, 56, v4
	v_min_i32_e32 v3, s2, v3
	v_mul_lo_u32 v18, v3, s24
	v_mad_u64_u32 v[40:41], s[0:1], v3, s3, v[2:3]
	v_add_u32_e32 v3, 64, v4
	v_min_i32_e32 v3, s2, v3
	v_mul_lo_u32 v19, v3, s24
	v_mad_u64_u32 v[42:43], s[0:1], v3, s3, v[2:3]
	v_add_u32_e32 v3, 0x48, v4
	v_min_i32_e32 v3, s2, v3
	v_mul_lo_u32 v20, v3, s24
	v_mad_u64_u32 v[44:45], s[0:1], v3, s3, v[2:3]
	v_add_u32_e32 v3, 0x50, v4
	v_min_i32_e32 v3, s2, v3
	v_mul_lo_u32 v21, v3, s24
	v_mad_u64_u32 v[46:47], s[0:1], v3, s3, v[2:3]
	v_add_u32_e32 v3, 0x58, v4
	v_min_i32_e32 v3, s2, v3
	v_mul_lo_u32 v23, v3, s24
	v_mad_u64_u32 v[48:49], s[0:1], v3, s3, v[2:3]
	v_add_u32_e32 v3, 0x60, v4
	v_min_i32_e32 v3, s2, v3
	v_mul_lo_u32 v118, v3, s24
	v_mad_u64_u32 v[50:51], s[0:1], v3, s3, v[2:3]
	v_add_u32_e32 v3, 0x68, v4
	v_min_i32_e32 v3, s2, v3
	v_mul_lo_u32 v106, v3, s24
	v_mad_u64_u32 v[52:53], s[0:1], v3, s3, v[2:3]
	v_add_u32_e32 v3, 0x70, v4
	v_min_i32_e32 v3, s2, v3
	v_mul_lo_u32 v94, v3, s24
	v_mad_u64_u32 v[54:55], s[0:1], v3, s3, v[2:3]
	v_add_u32_e32 v3, 0x78, v4
	v_lshlrev_b32_e32 v6, 5, v4
	v_min_i32_e32 v3, s2, v3
	v_add_u32_e32 v31, v6, v22
	v_mad_u64_u32 v[56:57], s[0:1], v3, s3, v[2:3]
	v_and_b32_e32 v2, 0x7f, v31
	v_min_i32_e32 v2, s2, v2
	v_mul_lo_u32 v82, v3, s24
	v_ashrrev_i32_e32 v3, 31, v2
	v_lshrrev_b32_e32 v3, 27, v3
	v_add_u32_e32 v3, v2, v3
	v_ashrrev_i32_e32 v3, 5, v3
	v_mul_lo_u32 v76, v2, s24
	v_lshlrev_b32_e32 v3, 2, v3
	v_lshlrev_b32_e32 v2, 2, v2
	s_mov_b32 s0, 0x8e40
	v_add3_u32 v27, v3, v2, s0
	v_lshrrev_b32_e32 v2, 2, v22
	v_lshl_add_u32 v7, v4, 3, v2
	v_and_b32_e32 v7, 0x7f, v7
	v_min_i32_e32 v29, s2, v7
	v_ashrrev_i32_e32 v33, 31, v29
	v_xor_b32_e32 v7, 64, v7
	v_lshrrev_b32_e32 v33, 29, v33
	v_min_i32_e32 v7, s2, v7
	v_mul_lo_u32 v70, v29, s24
	v_add_u32_e32 v33, v29, v33
	v_lshlrev_b32_e32 v133, 4, v29
	v_ashrrev_i32_e32 v29, 31, v7
	v_lshrrev_b32_e32 v29, 29, v29
	v_mov_b32_e32 v25, 0
	v_add_u32_e32 v29, v7, v29
	v_lshlrev_b32_e32 v57, 2, v22
	v_lshlrev_b32_e32 v24, 2, v5
	v_and_b32_e32 v2, 3, v22
	v_ashrrev_i32_e32 v33, 3, v33
	v_mul_lo_u32 v64, v7, s24
	v_ashrrev_i32_e32 v29, 3, v29
	v_lshlrev_b32_e32 v135, 4, v7
	v_or_b32_e32 v5, v6, v5
	v_and_b32_e32 v6, 28, v57
	v_mov_b32_e32 v7, v25
	v_lshlrev_b32_e32 v2, 2, v2
	v_lshlrev_b32_e32 v33, 2, v33
	s_mov_b32 s1, 0x8200
	v_lshlrev_b32_e32 v29, 2, v29
	s_waitcnt lgkmcnt(0)
	v_lshl_add_u64 v[58:59], s[14:15], 0, v[6:7]
	v_mov_b32_e32 v6, 0x8a40
	s_movk_i32 s2, 0xffe4
	v_add3_u32 v132, v33, v2, s1
	v_add3_u32 v134, v29, v2, s1
	v_lshl_add_u32 v29, v5, 2, v6
	v_mad_i32_i24 v5, v4, s2, v31
	v_mov_b32_e32 v7, 0x9050
	v_lshrrev_b32_e32 v33, 3, v22
	v_lshrrev_b32_e32 v8, 5, v22
	v_lshl_add_u32 v31, v5, 2, v7
	v_lshl_add_u32 v35, v4, 7, v6
	v_lshlrev_b32_e32 v37, 4, v4
	v_lshlrev_b32_e32 v4, 2, v33
	v_lshlrev_b32_e32 v5, 4, v22
	v_add3_u32 v39, v5, v4, s1
	v_lshlrev_b32_e32 v4, 2, v8
	v_add3_u32 v43, v4, v57, s0
	v_add_u32_e32 v4, 32, v22
	v_lshrrev_b32_e32 v45, 3, v4
	v_lshlrev_b32_e32 v5, 2, v45
	v_lshlrev_b32_e32 v4, 4, v4
	v_add3_u32 v47, v5, v4, s1
	v_and_b32_e32 v4, 60, v45
	v_add3_u32 v49, v57, v4, s0
	v_add_u32_e32 v4, 64, v22
	v_lshrrev_b32_e32 v5, 3, v4
	v_lshlrev_b32_e32 v6, 2, v5
	v_lshlrev_b32_e32 v4, 4, v4
	s_abs_i32 s2, s10
	v_add3_u32 v51, v6, v4, s1
	v_and_b32_e32 v4, 60, v5
	v_cvt_f32_u32_e32 v7, s2
	v_add3_u32 v53, v57, v4, s0
	v_add_u32_e32 v4, 0x60, v22
	v_lshrrev_b32_e32 v5, 3, v4
	v_lshlrev_b32_e32 v6, 2, v5
	v_lshlrev_b32_e32 v4, 4, v4
	v_add3_u32 v55, v6, v4, s1
	v_and_b32_e32 v4, 60, v5
	v_rcp_iflag_f32_e32 v5, v7
	v_add3_u32 v57, v57, v4, s0
	s_sub_i32 s0, 0, s2
	s_waitcnt vmcnt(0)
	v_sub_u32_e32 v6, 0, v1
	v_mul_f32_e32 v5, 0x4f7ffffe, v5
	v_cvt_u32_f32_e32 v5, v5
	v_max_i32_e32 v6, v1, v6
	v_xor_b32_e32 v4, s10, v1
	v_ashrrev_i32_e32 v4, 31, v4
	v_mul_lo_u32 v7, s0, v5
	v_mul_hi_u32 v7, v5, v7
	v_add_u32_e32 v5, v5, v7
	v_mul_hi_u32 v5, v6, v5
	v_mul_lo_u32 v7, v5, s2
	v_sub_u32_e32 v6, v6, v7
	v_add_u32_e32 v7, 1, v5
	v_cmp_le_u32_e64 s[0:1], s2, v6
	s_mul_i32 s4, s24, s11
	s_mul_hi_i32 s23, s4, 0xd2
	v_cndmask_b32_e64 v5, v5, v7, s[0:1]
	v_subrev_u32_e32 v7, s2, v6
	v_cndmask_b32_e64 v6, v6, v7, s[0:1]
	v_add_u32_e32 v7, 1, v5
	v_cmp_le_u32_e64 s[0:1], s2, v6
	s_mul_i32 s22, s4, 0xd2
	s_movk_i32 s6, 0xd2
	v_cndmask_b32_e64 v5, v5, v7, s[0:1]
	v_xor_b32_e32 v5, v5, v4
	v_sub_u32_e32 v4, v5, v4
	v_cmp_gt_i32_e64 s[0:1], s7, v4
	v_mul_lo_u32 v60, v4, s8
	v_mov_b64_e32 v[4:5], s[22:23]
	v_and_b32_e32 v9, 7, v22
	v_mad_u64_u32 v[4:5], s[2:3], v8, s6, v[4:5]
	v_mad_i64_i32 v[6:7], s[2:3], v11, s6, v[4:5]
	v_lshl_or_b32 v8, v9, 2, v10
	v_mov_b32_e32 v9, v25
	v_lshl_add_u64 v[10:11], v[6:7], 0, v[8:9]
	v_lshl_add_u64 v[10:11], v[10:11], 0, s[12:13]
	s_mov_b64 s[2:3], 0x80
	v_lshl_add_u64 v[62:63], v[10:11], 0, s[2:3]
	v_mad_i64_i32 v[10:11], s[26:27], v64, s6, 0
	v_mov_b32_e32 v71, 0xd2
	v_mov_b32_e32 v3, v25
	v_mad_i64_i32 v[10:11], s[26:27], s4, v71, v[10:11]
	v_lshl_add_u64 v[6:7], v[6:7], 0, v[24:25]
	v_lshl_add_u64 v[10:11], v[10:11], 0, v[2:3]
	;; [unrolled: 1-line block ×4, first 2 shown]
	s_mov_b64 s[26:27], 0xc0
	v_lshl_add_u64 v[66:67], v[6:7], 0, 2
	v_mad_i64_i32 v[6:7], s[28:29], v12, s6, v[4:5]
	v_lshl_add_u64 v[64:65], v[10:11], 0, s[26:27]
	v_lshl_add_u64 v[10:11], v[6:7], 0, v[8:9]
	;; [unrolled: 1-line block ×4, first 2 shown]
	v_mad_i64_i32 v[10:11], s[28:29], v70, s6, 0
	v_mad_i64_i32 v[10:11], s[28:29], s4, v71, v[10:11]
	v_lshl_add_u64 v[2:3], v[10:11], 0, v[2:3]
	v_lshl_add_u64 v[2:3], v[2:3], 0, s[12:13]
	s_ashr_i32 s19, s18, 31
	v_lshl_add_u64 v[70:71], v[2:3], 0, s[26:27]
	v_lshl_add_u64 v[2:3], v[6:7], 0, v[24:25]
	s_add_u32 s20, s14, 0x90
	v_lshl_add_u64 v[2:3], v[2:3], 0, s[12:13]
	s_addc_u32 s21, s15, 0
	v_lshl_add_u64 v[72:73], v[2:3], 0, 2
	v_mad_i64_i32 v[2:3], s[26:27], v13, s6, v[4:5]
	v_lshl_add_u64 v[6:7], v[2:3], 0, v[8:9]
	s_add_u32 s22, s12, s22
	v_lshl_add_u64 v[6:7], v[6:7], 0, s[12:13]
	s_addc_u32 s23, s13, s23
	v_lshl_add_u64 v[74:75], v[6:7], 0, s[2:3]
	v_mov_b64_e32 v[6:7], s[22:23]
	v_mad_i64_i32 v[6:7], s[22:23], v76, s6, v[6:7]
	v_lshl_add_u64 v[2:3], v[2:3], 0, v[24:25]
	s_mov_b64 s[22:23], 0xd0
	v_lshl_add_u64 v[2:3], v[2:3], 0, s[12:13]
	v_lshl_add_u64 v[76:77], v[6:7], 0, s[22:23]
	;; [unrolled: 1-line block ×3, first 2 shown]
	v_mad_i64_i32 v[2:3], s[22:23], v14, s6, v[4:5]
	v_lshl_add_u64 v[6:7], v[2:3], 0, v[8:9]
	v_lshl_add_u64 v[6:7], v[6:7], 0, s[12:13]
	v_lshl_add_u64 v[2:3], v[2:3], 0, v[24:25]
	v_lshl_add_u64 v[80:81], v[6:7], 0, s[2:3]
	v_mad_i64_i32 v[6:7], s[22:23], v82, s6, v[4:5]
	v_lshl_add_u64 v[2:3], v[2:3], 0, s[12:13]
	v_lshl_add_u64 v[10:11], v[6:7], 0, v[24:25]
	v_lshl_add_u64 v[84:85], v[2:3], 0, 2
	v_mad_i64_i32 v[2:3], s[22:23], v15, s6, v[4:5]
	v_lshl_add_u64 v[82:83], s[12:13], 0, v[10:11]
	v_lshl_add_u64 v[10:11], v[2:3], 0, v[8:9]
	v_lshl_add_u64 v[2:3], v[2:3], 0, v[24:25]
	v_lshl_add_u64 v[6:7], v[6:7], 0, v[8:9]
	v_lshl_add_u64 v[2:3], v[2:3], 0, s[12:13]
	v_lshl_add_u64 v[6:7], v[6:7], 0, s[12:13]
	v_lshl_add_u64 v[90:91], v[2:3], 0, 2
	v_mad_i64_i32 v[2:3], s[22:23], v16, s6, v[4:5]
	v_lshl_add_u64 v[88:89], v[6:7], 0, s[2:3]
	v_lshl_add_u64 v[6:7], v[2:3], 0, v[8:9]
	v_lshl_add_u64 v[6:7], v[6:7], 0, s[12:13]
	v_lshl_add_u64 v[2:3], v[2:3], 0, v[24:25]
	v_lshl_add_u64 v[10:11], v[10:11], 0, s[12:13]
	v_lshl_add_u64 v[92:93], v[6:7], 0, s[2:3]
	v_mad_i64_i32 v[6:7], s[22:23], v94, s6, v[4:5]
	v_lshl_add_u64 v[2:3], v[2:3], 0, s[12:13]
	v_lshl_add_u64 v[86:87], v[10:11], 0, s[2:3]
	v_lshl_add_u64 v[10:11], v[6:7], 0, v[24:25]
	v_lshl_add_u64 v[96:97], v[2:3], 0, 2
	v_mad_i64_i32 v[2:3], s[22:23], v17, s6, v[4:5]
	v_lshl_add_u64 v[94:95], s[12:13], 0, v[10:11]
	v_lshl_add_u64 v[10:11], v[2:3], 0, v[8:9]
	v_lshl_add_u64 v[2:3], v[2:3], 0, v[24:25]
	v_lshl_add_u64 v[6:7], v[6:7], 0, v[8:9]
	v_lshl_add_u64 v[2:3], v[2:3], 0, s[12:13]
	v_lshl_add_u64 v[6:7], v[6:7], 0, s[12:13]
	v_lshl_add_u64 v[102:103], v[2:3], 0, 2
	v_mad_i64_i32 v[2:3], s[22:23], v18, s6, v[4:5]
	v_lshl_add_u64 v[100:101], v[6:7], 0, s[2:3]
	v_lshl_add_u64 v[6:7], v[2:3], 0, v[8:9]
	v_lshl_add_u64 v[6:7], v[6:7], 0, s[12:13]
	v_lshl_add_u64 v[2:3], v[2:3], 0, v[24:25]
	v_lshl_add_u64 v[10:11], v[10:11], 0, s[12:13]
	v_lshl_add_u64 v[104:105], v[6:7], 0, s[2:3]
	v_mad_i64_i32 v[6:7], s[22:23], v106, s6, v[4:5]
	v_lshl_add_u64 v[2:3], v[2:3], 0, s[12:13]
	v_lshl_add_u64 v[98:99], v[10:11], 0, s[2:3]
	v_lshl_add_u64 v[10:11], v[6:7], 0, v[24:25]
	v_lshl_add_u64 v[108:109], v[2:3], 0, 2
	v_mad_i64_i32 v[2:3], s[22:23], v19, s6, v[4:5]
	v_lshl_add_u64 v[106:107], s[12:13], 0, v[10:11]
	v_lshl_add_u64 v[10:11], v[2:3], 0, v[8:9]
	v_lshl_add_u64 v[2:3], v[2:3], 0, v[24:25]
	v_lshl_add_u64 v[6:7], v[6:7], 0, v[8:9]
	v_lshl_add_u64 v[2:3], v[2:3], 0, s[12:13]
	v_lshl_add_u64 v[6:7], v[6:7], 0, s[12:13]
	v_lshl_add_u64 v[114:115], v[2:3], 0, 2
	v_mad_i64_i32 v[2:3], s[22:23], v20, s6, v[4:5]
	v_lshl_add_u64 v[112:113], v[6:7], 0, s[2:3]
	v_lshl_add_u64 v[6:7], v[2:3], 0, v[8:9]
	v_lshl_add_u64 v[6:7], v[6:7], 0, s[12:13]
	v_lshl_add_u64 v[2:3], v[2:3], 0, v[24:25]
	v_lshl_add_u64 v[10:11], v[10:11], 0, s[12:13]
	v_lshl_add_u64 v[116:117], v[6:7], 0, s[2:3]
	v_mad_i64_i32 v[6:7], s[22:23], v118, s6, v[4:5]
	v_lshl_add_u64 v[2:3], v[2:3], 0, s[12:13]
	v_lshl_add_u64 v[110:111], v[10:11], 0, s[2:3]
	v_lshl_add_u64 v[10:11], v[6:7], 0, v[24:25]
	;; [unrolled: 1-line block ×3, first 2 shown]
	v_mad_i64_i32 v[2:3], s[22:23], v21, s6, v[4:5]
	v_lshl_add_u64 v[118:119], s[12:13], 0, v[10:11]
	v_lshl_add_u64 v[10:11], v[2:3], 0, v[8:9]
	;; [unrolled: 1-line block ×5, first 2 shown]
	v_mad_i64_i32 v[2:3], s[22:23], v23, s6, v[4:5]
	v_lshl_add_u64 v[6:7], v[6:7], 0, v[8:9]
	v_lshl_add_u64 v[4:5], v[2:3], 0, v[8:9]
	;; [unrolled: 1-line block ×7, first 2 shown]
	v_cmp_gt_u32_e32 vcc, 4, v22
	v_mul_u32_u24_e32 v41, 0x104, v22
	v_ashrrev_i32_e32 v61, 31, v60
	v_lshl_add_u64 v[122:123], v[10:11], 0, s[2:3]
	v_lshl_add_u64 v[124:125], v[6:7], 0, s[2:3]
	;; [unrolled: 1-line block ×4, first 2 shown]
	s_movk_i32 s4, 0x80
	s_mov_b32 s6, 0xf0f0f0f
	s_mov_b32 s25, 0x30303030
	s_movk_i32 s26, 0x3f00
	s_movk_i32 s27, 0xe000
	v_add_u32_e32 v24, v132, v133
	v_add_u32_e32 v141, v134, v135
	s_mov_b64 s[12:13], 0xd2
	v_mov_b32_e32 v142, 8
	v_mov_b32_e32 v143, v25
	;; [unrolled: 1-line block ×4, first 2 shown]
	s_branch .LBB216_6
.LBB216_4:                              ;   in Loop: Header=BB216_6 Depth=1
	s_or_b64 exec, exec, s[22:23]
	s_waitcnt lgkmcnt(0)
	s_barrier
	ds_read_b128 v[6:9], v35
	ds_read_b128 v[10:13], v35 offset:16
	ds_read_b128 v[14:17], v35 offset:32
	;; [unrolled: 1-line block ×3, first 2 shown]
	ds_read_b32 v23, v43
	ds_read2_b32 v[132:133], v41 offset0:38 offset1:39
	ds_read2_b32 v[136:137], v41 offset0:36 offset1:37
	;; [unrolled: 1-line block ×6, first 2 shown]
	ds_read_b128 v[2:5], v37 offset:36944
	ds_read2_b32 v[134:135], v39 offset0:2 offset1:3
	v_mov_b32_e32 v156, 0
	ds_read2_b32 v[152:153], v41 offset0:42 offset1:43
	ds_read2_b32 v[154:155], v41 offset0:40 offset1:41
	s_waitcnt lgkmcnt(4)
	v_dot4c_i32_i8_e32 v156, v150, v18
	v_dot4c_i32_i8_e32 v156, v151, v19
	;; [unrolled: 1-line block ×4, first 2 shown]
	v_mov_b32_e32 v149, 0
	v_dot4c_i32_i8_e32 v149, v136, v10
	v_dot4c_i32_i8_e32 v149, v137, v11
	;; [unrolled: 1-line block ×4, first 2 shown]
	v_mov_b32_e32 v133, 0
	v_dot4c_i32_i8_e32 v133, v146, v6
	v_dot4c_i32_i8_e32 v133, v147, v7
	s_waitcnt lgkmcnt(2)
	v_bfe_i32 v132, v134, 8, 8
	v_dot4c_i32_i8_e32 v133, v138, v8
	v_mul_lo_u32 v132, v149, v132
	v_dot4c_i32_i8_e32 v133, v139, v9
	v_bfe_i32 v136, v134, 0, 8
	v_mov_b32_e32 v148, 0
	s_waitcnt lgkmcnt(0)
	v_dot4c_i32_i8_e32 v148, v154, v14
	v_mad_u64_u32 v[132:133], s[2:3], v133, v136, v[132:133]
	v_cvt_f32_i32_e32 v132, v132
	v_dot4c_i32_i8_e32 v148, v155, v15
	v_dot4c_i32_i8_e32 v148, v152, v16
	;; [unrolled: 1-line block ×3, first 2 shown]
	v_fma_f32 v160, v2, v132, 0
	v_ashrrev_i32_e32 v132, 24, v134
	v_bfe_i32 v133, v134, 16, 8
	v_mul_lo_u32 v132, v156, v132
	v_mad_u64_u32 v[132:133], s[2:3], v148, v133, v[132:133]
	v_add_u32_e32 v136, 0x2110, v41
	v_add_u32_e32 v146, 0x2108, v41
	;; [unrolled: 1-line block ×5, first 2 shown]
	v_cvt_f32_i32_e32 v161, v132
	ds_read2_b32 v[132:133], v51 offset0:2 offset1:3
	ds_read_b32 v164, v49 offset:128
	ds_read2_b32 v[138:139], v47 offset0:2 offset1:3
	ds_read2_b32 v[136:137], v136 offset1:1
	ds_read2_b32 v[146:147], v146 offset1:1
	;; [unrolled: 1-line block ×5, first 2 shown]
	v_mov_b32_e32 v162, 0
	v_add_u32_e32 v134, 0x2118, v41
	v_add_u32_e32 v154, 0x2128, v41
	;; [unrolled: 1-line block ×3, first 2 shown]
	s_waitcnt lgkmcnt(0)
	v_dot4c_i32_i8_e32 v162, v152, v18
	v_dot4c_i32_i8_e32 v162, v153, v19
	v_add_u32_e32 v158, 0x4198, v41
	v_dot4c_i32_i8_e32 v162, v150, v20
	ds_read2_b32 v[154:155], v154 offset1:1
	ds_read2_b32 v[156:157], v156 offset1:1
	;; [unrolled: 1-line block ×3, first 2 shown]
	v_dot4c_i32_i8_e32 v162, v151, v21
	ds_read2_b32 v[150:151], v134 offset1:1
	v_mov_b32_e32 v153, 0
	v_dot4c_i32_i8_e32 v153, v136, v10
	v_dot4c_i32_i8_e32 v153, v137, v11
	v_mov_b32_e32 v137, 0
	v_dot4c_i32_i8_e32 v137, v148, v6
	s_waitcnt lgkmcnt(0)
	v_dot4c_i32_i8_e32 v153, v150, v12
	v_dot4c_i32_i8_e32 v137, v149, v7
	v_mov_b32_e32 v152, 0
	v_dot4c_i32_i8_e32 v153, v151, v13
	v_bfe_i32 v136, v138, 8, 8
	v_dot4c_i32_i8_e32 v137, v146, v8
	v_dot4c_i32_i8_e32 v152, v156, v14
	v_mul_lo_u32 v136, v153, v136
	v_dot4c_i32_i8_e32 v137, v147, v9
	v_bfe_i32 v146, v138, 0, 8
	v_dot4c_i32_i8_e32 v152, v157, v15
	v_dot4c_i32_i8_e32 v152, v154, v16
	v_mad_u64_u32 v[136:137], s[2:3], v137, v146, v[136:137]
	v_cvt_f32_i32_e32 v146, v136
	v_ashrrev_i32_e32 v136, 24, v138
	v_dot4c_i32_i8_e32 v152, v155, v17
	v_bfe_i32 v137, v138, 16, 8
	v_mul_lo_u32 v136, v162, v136
	v_add_u32_e32 v148, 0x4180, v41
	v_mad_u64_u32 v[136:137], s[2:3], v152, v137, v[136:137]
	v_cvt_f32_i32_e32 v136, v136
	v_fma_f32 v137, v2, v146, 0
	v_add_u32_e32 v146, 0x4188, v41
	v_add_u32_e32 v150, 0x41b8, v41
	v_fmac_f32_e32 v137, v3, v136
	v_add_u32_e32 v136, 0x4190, v41
	v_add_u32_e32 v152, 0x41b0, v41
	ds_read_b32 v134, v57 offset:384
	ds_read_b32 v138, v53 offset:256
	v_fmac_f32_e32 v143, v164, v137
	ds_read2_b32 v[136:137], v136 offset1:1
	ds_read2_b32 v[146:147], v146 offset1:1
	;; [unrolled: 1-line block ×5, first 2 shown]
	v_mov_b32_e32 v162, 0
	v_fmac_f32_e32 v160, v3, v161
	v_fmac_f32_e32 v25, v23, v160
	v_add_u32_e32 v154, 0x41a8, v41
	s_waitcnt lgkmcnt(0)
	v_dot4c_i32_i8_e32 v162, v152, v18
	v_dot4c_i32_i8_e32 v162, v153, v19
	;; [unrolled: 1-line block ×4, first 2 shown]
	v_mov_b32_e32 v151, 0
	v_dot4c_i32_i8_e32 v151, v136, v10
	v_dot4c_i32_i8_e32 v151, v137, v11
	v_mov_b32_e32 v137, 0
	v_dot4c_i32_i8_e32 v137, v148, v6
	v_dot4c_i32_i8_e32 v151, v158, v12
	;; [unrolled: 1-line block ×3, first 2 shown]
	v_add_u32_e32 v156, 0x41a0, v41
	v_add_u32_e32 v160, 0x6218, v41
	v_dot4c_i32_i8_e32 v151, v159, v13
	v_bfe_i32 v136, v132, 8, 8
	v_dot4c_i32_i8_e32 v137, v146, v8
	ds_read2_b32 v[154:155], v154 offset1:1
	ds_read2_b32 v[156:157], v156 offset1:1
	;; [unrolled: 1-line block ×3, first 2 shown]
	v_mul_lo_u32 v136, v151, v136
	v_dot4c_i32_i8_e32 v137, v147, v9
	v_bfe_i32 v146, v132, 0, 8
	v_mov_b32_e32 v150, 0
	s_waitcnt lgkmcnt(1)
	v_dot4c_i32_i8_e32 v150, v156, v14
	v_mad_u64_u32 v[136:137], s[2:3], v137, v146, v[136:137]
	v_cvt_f32_i32_e32 v136, v136
	v_dot4c_i32_i8_e32 v150, v157, v15
	v_dot4c_i32_i8_e32 v150, v154, v16
	v_dot4c_i32_i8_e32 v150, v155, v17
	v_fma_f32 v165, v2, v136, 0
	v_bfe_i32 v136, v132, 16, 8
	v_ashrrev_i32_e32 v132, 24, v132
	v_mul_lo_u32 v132, v162, v132
	v_mad_u64_u32 v[136:137], s[2:3], v150, v136, v[132:133]
	v_add_u32_e32 v146, 0x6210, v41
	v_add_u32_e32 v148, 0x6208, v41
	;; [unrolled: 1-line block ×5, first 2 shown]
	v_cvt_f32_i32_e32 v132, v136
	ds_read2_b32 v[136:137], v55 offset0:2 offset1:3
	ds_read2_b32 v[146:147], v146 offset1:1
	ds_read2_b32 v[148:149], v148 offset1:1
	;; [unrolled: 1-line block ×5, first 2 shown]
	v_add_u32_e32 v156, 0x6228, v41
	v_add_u32_e32 v158, 0x6220, v41
	;; [unrolled: 1-line block ×3, first 2 shown]
	ds_read2_b32 v[156:157], v156 offset1:1
	ds_read2_b32 v[158:159], v158 offset1:1
	;; [unrolled: 1-line block ×3, first 2 shown]
	v_mov_b32_e32 v166, 0
	s_waitcnt lgkmcnt(3)
	v_dot4c_i32_i8_e32 v166, v154, v18
	v_mov_b32_e32 v18, 0
	s_waitcnt lgkmcnt(1)
	v_dot4c_i32_i8_e32 v18, v158, v14
	v_mov_b32_e32 v14, 0
	v_dot4c_i32_i8_e32 v14, v146, v10
	v_dot4c_i32_i8_e32 v14, v147, v11
	v_mov_b32_e32 v11, 0
	v_dot4c_i32_i8_e32 v11, v150, v6
	v_dot4c_i32_i8_e32 v14, v160, v12
	;; [unrolled: 1-line block ×4, first 2 shown]
	v_bfe_i32 v10, v136, 8, 8
	v_dot4c_i32_i8_e32 v11, v148, v8
	v_dot4c_i32_i8_e32 v166, v155, v19
	v_mul_lo_u32 v10, v14, v10
	v_dot4c_i32_i8_e32 v11, v149, v9
	v_bfe_i32 v6, v136, 0, 8
	v_dot4c_i32_i8_e32 v166, v152, v20
	v_dot4c_i32_i8_e32 v18, v159, v15
	v_mad_u64_u32 v[6:7], s[2:3], v11, v6, v[10:11]
	v_dot4c_i32_i8_e32 v166, v153, v21
	v_dot4c_i32_i8_e32 v18, v156, v16
	v_cvt_f32_i32_e32 v8, v6
	v_ashrrev_i32_e32 v6, 24, v136
	v_dot4c_i32_i8_e32 v18, v157, v17
	v_bfe_i32 v7, v136, 16, 8
	v_mul_lo_u32 v6, v166, v6
	v_fma_f32 v2, v2, v8, 0
	v_mad_u64_u32 v[6:7], s[2:3], v18, v7, v[6:7]
	v_cvt_f32_i32_e32 v6, v6
	v_fmac_f32_e32 v165, v3, v132
	v_mov_b32_e32 v132, 0
	v_mov_b32_e32 v136, 0
	v_fmac_f32_e32 v2, v3, v6
	v_fmac_f32_e32 v145, v134, v2
	ds_read_b128 v[10:13], v35 offset:80
	ds_read_b128 v[6:9], v35 offset:64
	;; [unrolled: 1-line block ×4, first 2 shown]
	ds_read2_b32 v[2:3], v41 offset0:62 offset1:63
	ds_read2_b32 v[146:147], v41 offset0:60 offset1:61
	;; [unrolled: 1-line block ×6, first 2 shown]
	s_waitcnt lgkmcnt(4)
	v_dot4c_i32_i8_e32 v132, v146, v18
	v_dot4c_i32_i8_e32 v132, v147, v19
	;; [unrolled: 1-line block ×3, first 2 shown]
	v_mov_b32_e32 v2, 0
	s_waitcnt lgkmcnt(2)
	v_dot4c_i32_i8_e32 v2, v150, v10
	v_dot4c_i32_i8_e32 v2, v151, v11
	v_dot4c_i32_i8_e32 v2, v148, v12
	v_dot4c_i32_i8_e32 v132, v3, v21
	v_dot4c_i32_i8_e32 v2, v149, v13
	v_bfe_i32 v3, v135, 8, 8
	ds_read2_b32 v[156:157], v41 offset0:58 offset1:59
	ds_read2_b32 v[158:159], v41 offset0:56 offset1:57
	v_mul_lo_u32 v2, v2, v3
	v_mov_b32_e32 v3, 0
	s_waitcnt lgkmcnt(2)
	v_dot4c_i32_i8_e32 v3, v154, v6
	v_dot4c_i32_i8_e32 v3, v155, v7
	;; [unrolled: 1-line block ×4, first 2 shown]
	v_bfe_i32 v146, v135, 0, 8
	s_waitcnt lgkmcnt(0)
	v_dot4c_i32_i8_e32 v136, v158, v14
	v_dot4c_i32_i8_e32 v136, v159, v15
	v_mad_u64_u32 v[2:3], s[2:3], v3, v146, v[2:3]
	v_cvt_f32_i32_e32 v2, v2
	v_dot4c_i32_i8_e32 v136, v156, v16
	v_dot4c_i32_i8_e32 v136, v157, v17
	v_bfe_i32 v3, v135, 16, 8
	v_fma_f32 v160, v4, v2, 0
	v_ashrrev_i32_e32 v2, 24, v135
	v_mul_lo_u32 v2, v132, v2
	v_mad_u64_u32 v[2:3], s[2:3], v136, v3, v[2:3]
	v_cvt_f32_i32_e32 v132, v2
	v_add_u32_e32 v2, 0x2150, v41
	v_add_u32_e32 v135, 0x2148, v41
	;; [unrolled: 1-line block ×4, first 2 shown]
	ds_read2_b32 v[2:3], v2 offset1:1
	ds_read2_b32 v[146:147], v135 offset1:1
	;; [unrolled: 1-line block ×4, first 2 shown]
	v_add_u32_e32 v135, 0x2170, v41
	ds_read2_b32 v[152:153], v135 offset1:1
	v_mov_b32_e32 v136, 0
	v_add_u32_e32 v154, 0x2168, v41
	v_add_u32_e32 v156, 0x2160, v41
	v_add_u32_e32 v135, 0x41d8, v41
	s_waitcnt lgkmcnt(0)
	v_dot4c_i32_i8_e32 v136, v152, v18
	v_dot4c_i32_i8_e32 v136, v153, v19
	v_dot4c_i32_i8_e32 v136, v150, v20
	v_mov_b32_e32 v150, 0
	v_dot4c_i32_i8_e32 v150, v2, v10
	ds_read2_b32 v[154:155], v154 offset1:1
	ds_read2_b32 v[156:157], v156 offset1:1
	;; [unrolled: 1-line block ×3, first 2 shown]
	v_dot4c_i32_i8_e32 v150, v3, v11
	v_mov_b32_e32 v3, 0
	v_dot4c_i32_i8_e32 v3, v148, v6
	v_dot4c_i32_i8_e32 v150, v162, v12
	;; [unrolled: 1-line block ×3, first 2 shown]
	v_mov_b32_e32 v135, 0
	v_dot4c_i32_i8_e32 v150, v163, v13
	v_bfe_i32 v2, v139, 8, 8
	v_dot4c_i32_i8_e32 v3, v146, v8
	s_waitcnt lgkmcnt(1)
	v_dot4c_i32_i8_e32 v135, v156, v14
	v_mul_lo_u32 v2, v150, v2
	v_dot4c_i32_i8_e32 v3, v147, v9
	v_bfe_i32 v146, v139, 0, 8
	v_dot4c_i32_i8_e32 v135, v157, v15
	v_dot4c_i32_i8_e32 v136, v151, v21
	v_mad_u64_u32 v[2:3], s[2:3], v3, v146, v[2:3]
	v_dot4c_i32_i8_e32 v135, v154, v16
	v_cvt_f32_i32_e32 v146, v2
	v_ashrrev_i32_e32 v2, 24, v139
	v_dot4c_i32_i8_e32 v135, v155, v17
	v_bfe_i32 v3, v139, 16, 8
	v_mul_lo_u32 v2, v136, v2
	v_fmac_f32_e32 v160, v5, v132
	v_mad_u64_u32 v[2:3], s[2:3], v135, v3, v[2:3]
	v_cvt_f32_i32_e32 v2, v2
	v_fma_f32 v3, v4, v146, 0
	v_fmac_f32_e32 v25, v23, v160
	v_add_u32_e32 v23, 0x41c8, v41
	v_fmac_f32_e32 v3, v5, v2
	v_add_u32_e32 v2, 0x41d0, v41
	v_add_u32_e32 v135, 0x41f8, v41
	v_fmac_f32_e32 v143, v164, v3
	v_add_u32_e32 v132, 0x41c0, v41
	ds_read2_b32 v[2:3], v2 offset1:1
	ds_read2_b32 v[146:147], v23 offset1:1
	;; [unrolled: 1-line block ×4, first 2 shown]
	v_add_u32_e32 v23, 0x41f0, v41
	v_add_u32_e32 v135, 0x41e8, v41
	;; [unrolled: 1-line block ×3, first 2 shown]
	ds_read2_b32 v[152:153], v23 offset1:1
	v_add_u32_e32 v23, 0x6258, v41
	ds_read2_b32 v[154:155], v135 offset1:1
	ds_read2_b32 v[156:157], v136 offset1:1
	ds_read2_b32 v[160:161], v23 offset1:1
	v_mov_b32_e32 v135, 0
	s_waitcnt lgkmcnt(7)
	v_dot4c_i32_i8_e32 v135, v2, v10
	v_dot4c_i32_i8_e32 v135, v3, v11
	v_mov_b32_e32 v3, 0
	s_waitcnt lgkmcnt(5)
	v_dot4c_i32_i8_e32 v3, v148, v6
	v_dot4c_i32_i8_e32 v135, v158, v12
	;; [unrolled: 1-line block ×4, first 2 shown]
	v_bfe_i32 v2, v133, 8, 8
	v_dot4c_i32_i8_e32 v3, v146, v8
	v_dot4c_i32_i8_e32 v3, v147, v9
	v_mul_lo_u32 v2, v135, v2
	v_bfe_i32 v135, v133, 0, 8
	v_mov_b32_e32 v132, 0
	v_mad_u64_u32 v[2:3], s[2:3], v3, v135, v[2:3]
	v_cvt_f32_i32_e32 v2, v2
	s_waitcnt lgkmcnt(3)
	v_dot4c_i32_i8_e32 v132, v152, v18
	v_mov_b32_e32 v23, 0
	v_dot4c_i32_i8_e32 v132, v153, v19
	s_waitcnt lgkmcnt(1)
	v_dot4c_i32_i8_e32 v23, v156, v14
	v_dot4c_i32_i8_e32 v132, v150, v20
	;; [unrolled: 1-line block ×5, first 2 shown]
	v_fma_f32 v135, v4, v2, 0
	v_ashrrev_i32_e32 v2, 24, v133
	v_dot4c_i32_i8_e32 v23, v155, v17
	v_bfe_i32 v3, v133, 16, 8
	v_mul_lo_u32 v2, v132, v2
	v_add_u32_e32 v132, 0x6248, v41
	v_mad_u64_u32 v[2:3], s[2:3], v23, v3, v[2:3]
	v_cvt_f32_i32_e32 v23, v2
	v_add_u32_e32 v2, 0x6250, v41
	v_add_u32_e32 v136, 0x6240, v41
	;; [unrolled: 1-line block ×3, first 2 shown]
	ds_read2_b32 v[2:3], v2 offset1:1
	ds_read2_b32 v[132:133], v132 offset1:1
	;; [unrolled: 1-line block ×4, first 2 shown]
	v_add_u32_e32 v136, 0x6270, v41
	ds_read2_b32 v[150:151], v136 offset1:1
	v_add_u32_e32 v136, 0x6268, v41
	v_add_u32_e32 v154, 0x6260, v41
	ds_read2_b32 v[152:153], v136 offset1:1
	ds_read2_b32 v[154:155], v154 offset1:1
	v_mov_b32_e32 v139, 0
	s_waitcnt lgkmcnt(2)
	v_dot4c_i32_i8_e32 v139, v150, v18
	v_mov_b32_e32 v18, 0
	v_dot4c_i32_i8_e32 v139, v151, v19
	s_waitcnt lgkmcnt(0)
	v_dot4c_i32_i8_e32 v18, v154, v14
	v_mov_b32_e32 v14, 0
	v_dot4c_i32_i8_e32 v14, v2, v10
	v_dot4c_i32_i8_e32 v14, v3, v11
	v_mov_b32_e32 v3, 0
	v_dot4c_i32_i8_e32 v3, v146, v6
	v_dot4c_i32_i8_e32 v14, v160, v12
	;; [unrolled: 1-line block ×4, first 2 shown]
	v_bfe_i32 v2, v137, 8, 8
	v_dot4c_i32_i8_e32 v3, v132, v8
	v_dot4c_i32_i8_e32 v3, v133, v9
	v_mul_lo_u32 v2, v14, v2
	v_bfe_i32 v6, v137, 0, 8
	v_dot4c_i32_i8_e32 v139, v148, v20
	v_dot4c_i32_i8_e32 v18, v155, v15
	v_mad_u64_u32 v[2:3], s[2:3], v3, v6, v[2:3]
	v_dot4c_i32_i8_e32 v139, v149, v21
	v_dot4c_i32_i8_e32 v18, v152, v16
	v_cvt_f32_i32_e32 v6, v2
	v_ashrrev_i32_e32 v2, 24, v137
	v_dot4c_i32_i8_e32 v18, v153, v17
	v_bfe_i32 v3, v137, 16, 8
	v_mul_lo_u32 v2, v139, v2
	v_fmac_f32_e32 v144, v138, v165
	v_mad_u64_u32 v[2:3], s[2:3], v18, v3, v[2:3]
	v_cvt_f32_i32_e32 v2, v2
	v_fma_f32 v3, v4, v6, 0
	v_fmac_f32_e32 v135, v5, v23
	v_fmac_f32_e32 v144, v138, v135
	;; [unrolled: 1-line block ×4, first 2 shown]
	s_barrier
.LBB216_5:                              ;   in Loop: Header=BB216_6 Depth=1
	s_add_i32 s24, s24, -1
	s_addk_i32 s4, 0x100
	v_add_u32_e32 v22, 8, v22
	v_add_u32_e32 v45, 8, v45
	;; [unrolled: 1-line block ×3, first 2 shown]
	v_lshl_add_u64 v[62:63], v[62:63], 0, s[12:13]
	v_lshl_add_u64 v[64:65], v[64:65], 0, s[12:13]
	;; [unrolled: 1-line block ×34, first 2 shown]
	s_cmp_eq_u32 s24, 0
	v_lshl_add_u64 v[130:131], v[130:131], 0, s[12:13]
	s_cbranch_scc1 .LBB216_20
.LBB216_6:                              ; =>This Inner Loop Header: Depth=1
	v_lshl_add_u64 v[2:3], v[66:67], 0, s[18:19]
	global_load_dword v10, v[2:3], off offset:-2
	v_lshl_add_u64 v[2:3], v[62:63], 0, s[18:19]
	global_load_dword v11, v[2:3], off
	v_lshl_add_u64 v[2:3], v[72:73], 0, s[18:19]
	global_load_dword v12, v[2:3], off offset:-2
	v_lshl_add_u64 v[2:3], v[68:69], 0, s[18:19]
	global_load_dword v13, v[2:3], off
	;; [unrolled: 4-line block ×3, first 2 shown]
	v_lshl_add_u64 v[2:3], v[84:85], 0, s[18:19]
	v_lshl_add_u64 v[4:5], v[80:81], 0, s[18:19]
	v_lshl_add_u64 v[6:7], v[90:91], 0, s[18:19]
	v_lshl_add_u64 v[8:9], v[86:87], 0, s[18:19]
	global_load_dword v16, v[2:3], off offset:-2
	s_nop 0
	global_load_dword v4, v[4:5], off
	s_nop 0
	global_load_dword v5, v[6:7], off offset:-2
	s_nop 0
	global_load_dword v6, v[8:9], off
	s_add_i32 s2, s4, 0xffffff80
	s_cmp_lt_i32 s2, s5
	s_waitcnt vmcnt(9)
	v_and_b32_e32 v2, 0xf0f0f0f, v10
	v_lshrrev_b32_e32 v3, 4, v10
	s_waitcnt vmcnt(8)
	v_ashrrev_i32_e32 v7, v140, v11
	s_waitcnt vmcnt(7)
	v_and_b32_e32 v8, 0xf0f0f0f, v12
	v_lshrrev_b32_e32 v9, 4, v12
	s_waitcnt vmcnt(6)
	v_ashrrev_i32_e32 v10, v140, v13
	;; [unrolled: 5-line block ×3, first 2 shown]
	v_lshlrev_b32_e32 v14, 4, v7
	v_and_b32_e32 v7, 0x30303030, v7
	v_lshlrev_b32_e32 v15, 4, v10
	v_and_b32_e32 v10, 0x30303030, v10
	v_lshlrev_b32_e32 v17, 4, v13
	v_and_or_b32 v2, v14, s25, v2
	v_and_or_b32 v3, v3, s6, v7
	;; [unrolled: 1-line block ×5, first 2 shown]
	v_and_b32_e32 v10, 0x3f00, v2
	v_lshlrev_b16_e32 v11, 8, v2
	v_and_b32_sdwa v14, v2, s26 dst_sel:DWORD dst_unused:UNUSED_PAD src0_sel:WORD_1 src1_sel:DWORD
	v_lshlrev_b16_sdwa v2, v142, v2 dst_sel:DWORD dst_unused:UNUSED_PAD src0_sel:DWORD src1_sel:WORD_1
	v_and_b32_e32 v15, 0x3f00, v3
	v_lshlrev_b16_e32 v17, 8, v3
	v_and_b32_sdwa v18, v3, s26 dst_sel:DWORD dst_unused:UNUSED_PAD src0_sel:WORD_1 src1_sel:DWORD
	v_lshlrev_b16_sdwa v3, v142, v3 dst_sel:DWORD dst_unused:UNUSED_PAD src0_sel:DWORD src1_sel:WORD_1
	;; [unrolled: 4-line block ×4, first 2 shown]
	v_add_u16_e32 v11, 0xe000, v11
	v_add_u16_e32 v2, 0xe000, v2
	;; [unrolled: 1-line block ×8, first 2 shown]
	v_or_b32_sdwa v10, v10, v11 dst_sel:DWORD dst_unused:UNUSED_PAD src0_sel:DWORD src1_sel:BYTE_1
	v_or_b32_sdwa v2, v14, v2 dst_sel:DWORD dst_unused:UNUSED_PAD src0_sel:DWORD src1_sel:BYTE_1
	;; [unrolled: 1-line block ×8, first 2 shown]
	v_add_u16_e32 v10, 0xe000, v10
	v_add_u16_sdwa v2, v2, s27 dst_sel:WORD_1 dst_unused:UNUSED_PAD src0_sel:DWORD src1_sel:DWORD
	v_add_u16_e32 v11, 0xe000, v11
	v_add_u16_sdwa v3, v3, s27 dst_sel:WORD_1 dst_unused:UNUSED_PAD src0_sel:DWORD src1_sel:DWORD
	v_add_u16_e32 v14, 0xe000, v14
	v_add_u16_sdwa v7, v7, s27 dst_sel:WORD_1 dst_unused:UNUSED_PAD src0_sel:DWORD src1_sel:DWORD
	v_add_u16_e32 v15, 0xe000, v15
	v_add_u16_sdwa v8, v8, s27 dst_sel:WORD_1 dst_unused:UNUSED_PAD src0_sel:DWORD src1_sel:DWORD
	v_or_b32_e32 v2, v10, v2
	v_or_b32_e32 v3, v11, v3
	;; [unrolled: 1-line block ×3, first 2 shown]
	v_lshlrev_b16_e32 v135, 8, v9
	v_or_b32_e32 v8, v15, v8
	ds_write2_b32 v26, v2, v3 offset1:16
	ds_write2_b32 v28, v7, v8 offset1:16
	v_lshlrev_b16_sdwa v7, v142, v9 dst_sel:DWORD dst_unused:UNUSED_PAD src0_sel:DWORD src1_sel:WORD_1
	v_and_b32_e32 v134, 0x3f00, v9
	v_add_u16_e32 v135, 0xe000, v135
	v_and_b32_sdwa v3, v9, s26 dst_sel:DWORD dst_unused:UNUSED_PAD src0_sel:WORD_1 src1_sel:DWORD
	v_add_u16_e32 v7, 0xe000, v7
	v_and_b32_e32 v13, 0x30303030, v13
	v_or_b32_sdwa v17, v134, v135 dst_sel:DWORD dst_unused:UNUSED_PAD src0_sel:DWORD src1_sel:BYTE_1
	v_or_b32_sdwa v3, v3, v7 dst_sel:DWORD dst_unused:UNUSED_PAD src0_sel:DWORD src1_sel:BYTE_1
	v_add_u16_e32 v2, 0xe000, v17
	v_add_u16_sdwa v3, v3, s27 dst_sel:WORD_1 dst_unused:UNUSED_PAD src0_sel:DWORD src1_sel:DWORD
	v_and_or_b32 v8, v12, s6, v13
	v_or_b32_e32 v7, v2, v3
	v_lshlrev_b16_e32 v2, 8, v8
	v_add_u16_e32 v10, 0xe000, v2
	v_lshl_add_u64 v[2:3], v[96:97], 0, s[18:19]
	global_load_dword v11, v[2:3], off offset:-2
	v_lshl_add_u64 v[2:3], v[92:93], 0, s[18:19]
	global_load_dword v12, v[2:3], off
	v_and_b32_e32 v9, 0x3f00, v8
	v_and_b32_sdwa v3, v8, s26 dst_sel:DWORD dst_unused:UNUSED_PAD src0_sel:WORD_1 src1_sel:DWORD
	v_lshlrev_b16_sdwa v8, v142, v8 dst_sel:DWORD dst_unused:UNUSED_PAD src0_sel:DWORD src1_sel:WORD_1
	v_add_u16_e32 v8, 0xe000, v8
	v_or_b32_sdwa v2, v9, v10 dst_sel:DWORD dst_unused:UNUSED_PAD src0_sel:DWORD src1_sel:BYTE_1
	v_or_b32_sdwa v3, v3, v8 dst_sel:DWORD dst_unused:UNUSED_PAD src0_sel:DWORD src1_sel:BYTE_1
	v_add_u16_e32 v2, 0xe000, v2
	v_add_u16_sdwa v3, v3, s27 dst_sel:WORD_1 dst_unused:UNUSED_PAD src0_sel:DWORD src1_sel:DWORD
	s_waitcnt vmcnt(4)
	v_ashrrev_i32_e32 v4, v140, v4
	v_or_b32_e32 v2, v2, v3
	ds_write2_b32 v30, v7, v2 offset1:16
	v_and_b32_e32 v2, 0xf0f0f0f, v16
	v_lshlrev_b32_e32 v7, 4, v4
	v_and_or_b32 v2, v7, s25, v2
	v_lshlrev_b16_e32 v8, 8, v2
	v_and_b32_e32 v7, 0x3f00, v2
	v_add_u16_e32 v8, 0xe000, v8
	v_or_b32_sdwa v7, v7, v8 dst_sel:DWORD dst_unused:UNUSED_PAD src0_sel:DWORD src1_sel:BYTE_1
	v_and_b32_sdwa v8, v2, s26 dst_sel:DWORD dst_unused:UNUSED_PAD src0_sel:WORD_1 src1_sel:DWORD
	v_lshlrev_b16_sdwa v2, v142, v2 dst_sel:DWORD dst_unused:UNUSED_PAD src0_sel:DWORD src1_sel:WORD_1
	v_add_u16_e32 v2, 0xe000, v2
	v_lshrrev_b32_e32 v3, 4, v16
	v_and_b32_e32 v4, 0x30303030, v4
	v_or_b32_sdwa v2, v8, v2 dst_sel:DWORD dst_unused:UNUSED_PAD src0_sel:DWORD src1_sel:BYTE_1
	v_add_u16_e32 v7, 0xe000, v7
	v_add_u16_sdwa v2, v2, s27 dst_sel:WORD_1 dst_unused:UNUSED_PAD src0_sel:DWORD src1_sel:DWORD
	v_and_or_b32 v4, v3, s6, v4
	v_or_b32_e32 v7, v7, v2
	v_lshlrev_b16_e32 v2, 8, v4
	v_add_u16_e32 v9, 0xe000, v2
	v_lshl_add_u64 v[2:3], v[102:103], 0, s[18:19]
	global_load_dword v10, v[2:3], off offset:-2
	v_lshl_add_u64 v[2:3], v[98:99], 0, s[18:19]
	v_and_b32_e32 v8, 0x3f00, v4
	global_load_dword v13, v[2:3], off
	v_and_b32_sdwa v3, v4, s26 dst_sel:DWORD dst_unused:UNUSED_PAD src0_sel:WORD_1 src1_sel:DWORD
	v_lshlrev_b16_sdwa v4, v142, v4 dst_sel:DWORD dst_unused:UNUSED_PAD src0_sel:DWORD src1_sel:WORD_1
	v_add_u16_e32 v4, 0xe000, v4
	v_or_b32_sdwa v2, v8, v9 dst_sel:DWORD dst_unused:UNUSED_PAD src0_sel:DWORD src1_sel:BYTE_1
	v_or_b32_sdwa v3, v3, v4 dst_sel:DWORD dst_unused:UNUSED_PAD src0_sel:DWORD src1_sel:BYTE_1
	v_add_u16_e32 v2, 0xe000, v2
	v_add_u16_sdwa v3, v3, s27 dst_sel:WORD_1 dst_unused:UNUSED_PAD src0_sel:DWORD src1_sel:DWORD
	s_waitcnt vmcnt(4)
	v_ashrrev_i32_e32 v4, v140, v6
	v_or_b32_e32 v2, v2, v3
	ds_write2_b32 v32, v7, v2 offset1:16
	v_and_b32_e32 v2, 0xf0f0f0f, v5
	v_lshrrev_b32_e32 v3, 4, v5
	v_lshlrev_b32_e32 v5, 4, v4
	v_and_or_b32 v2, v5, s25, v2
	v_lshlrev_b16_e32 v6, 8, v2
	v_and_b32_e32 v5, 0x3f00, v2
	v_add_u16_e32 v6, 0xe000, v6
	v_or_b32_sdwa v5, v5, v6 dst_sel:DWORD dst_unused:UNUSED_PAD src0_sel:DWORD src1_sel:BYTE_1
	v_and_b32_sdwa v6, v2, s26 dst_sel:DWORD dst_unused:UNUSED_PAD src0_sel:WORD_1 src1_sel:DWORD
	v_lshlrev_b16_sdwa v2, v142, v2 dst_sel:DWORD dst_unused:UNUSED_PAD src0_sel:DWORD src1_sel:WORD_1
	v_add_u16_e32 v2, 0xe000, v2
	v_and_b32_e32 v4, 0x30303030, v4
	v_or_b32_sdwa v2, v6, v2 dst_sel:DWORD dst_unused:UNUSED_PAD src0_sel:DWORD src1_sel:BYTE_1
	v_add_u16_e32 v5, 0xe000, v5
	v_add_u16_sdwa v2, v2, s27 dst_sel:WORD_1 dst_unused:UNUSED_PAD src0_sel:DWORD src1_sel:DWORD
	v_and_or_b32 v4, v3, s6, v4
	v_or_b32_e32 v5, v5, v2
	v_lshlrev_b16_e32 v2, 8, v4
	v_add_u16_e32 v7, 0xe000, v2
	v_lshl_add_u64 v[2:3], v[108:109], 0, s[18:19]
	global_load_dword v8, v[2:3], off offset:-2
	v_lshl_add_u64 v[2:3], v[104:105], 0, s[18:19]
	global_load_dword v9, v[2:3], off
	v_and_b32_e32 v6, 0x3f00, v4
	v_and_b32_sdwa v3, v4, s26 dst_sel:DWORD dst_unused:UNUSED_PAD src0_sel:WORD_1 src1_sel:DWORD
	v_lshlrev_b16_sdwa v4, v142, v4 dst_sel:DWORD dst_unused:UNUSED_PAD src0_sel:DWORD src1_sel:WORD_1
	v_add_u16_e32 v4, 0xe000, v4
	v_or_b32_sdwa v2, v6, v7 dst_sel:DWORD dst_unused:UNUSED_PAD src0_sel:DWORD src1_sel:BYTE_1
	v_or_b32_sdwa v3, v3, v4 dst_sel:DWORD dst_unused:UNUSED_PAD src0_sel:DWORD src1_sel:BYTE_1
	v_add_u16_e32 v2, 0xe000, v2
	v_add_u16_sdwa v3, v3, s27 dst_sel:WORD_1 dst_unused:UNUSED_PAD src0_sel:DWORD src1_sel:DWORD
	s_waitcnt vmcnt(4)
	v_ashrrev_i32_e32 v4, v140, v12
	v_or_b32_e32 v2, v2, v3
	ds_write2_b32 v34, v5, v2 offset1:16
	v_and_b32_e32 v2, 0xf0f0f0f, v11
	v_lshlrev_b32_e32 v5, 4, v4
	v_and_or_b32 v2, v5, s25, v2
	v_lshlrev_b16_e32 v6, 8, v2
	v_and_b32_e32 v5, 0x3f00, v2
	v_add_u16_e32 v6, 0xe000, v6
	v_or_b32_sdwa v5, v5, v6 dst_sel:DWORD dst_unused:UNUSED_PAD src0_sel:DWORD src1_sel:BYTE_1
	v_and_b32_sdwa v6, v2, s26 dst_sel:DWORD dst_unused:UNUSED_PAD src0_sel:WORD_1 src1_sel:DWORD
	v_lshlrev_b16_sdwa v2, v142, v2 dst_sel:DWORD dst_unused:UNUSED_PAD src0_sel:DWORD src1_sel:WORD_1
	v_add_u16_e32 v2, 0xe000, v2
	v_lshrrev_b32_e32 v3, 4, v11
	v_and_b32_e32 v4, 0x30303030, v4
	v_or_b32_sdwa v2, v6, v2 dst_sel:DWORD dst_unused:UNUSED_PAD src0_sel:DWORD src1_sel:BYTE_1
	v_add_u16_e32 v5, 0xe000, v5
	v_add_u16_sdwa v2, v2, s27 dst_sel:WORD_1 dst_unused:UNUSED_PAD src0_sel:DWORD src1_sel:DWORD
	v_and_or_b32 v4, v3, s6, v4
	v_or_b32_e32 v5, v5, v2
	v_lshlrev_b16_e32 v2, 8, v4
	v_add_u16_e32 v7, 0xe000, v2
	v_lshl_add_u64 v[2:3], v[114:115], 0, s[18:19]
	global_load_dword v11, v[2:3], off offset:-2
	v_lshl_add_u64 v[2:3], v[110:111], 0, s[18:19]
	global_load_dword v12, v[2:3], off
	v_and_b32_e32 v6, 0x3f00, v4
	v_and_b32_sdwa v3, v4, s26 dst_sel:DWORD dst_unused:UNUSED_PAD src0_sel:WORD_1 src1_sel:DWORD
	v_lshlrev_b16_sdwa v4, v142, v4 dst_sel:DWORD dst_unused:UNUSED_PAD src0_sel:DWORD src1_sel:WORD_1
	v_add_u16_e32 v4, 0xe000, v4
	v_or_b32_sdwa v2, v6, v7 dst_sel:DWORD dst_unused:UNUSED_PAD src0_sel:DWORD src1_sel:BYTE_1
	v_or_b32_sdwa v3, v3, v4 dst_sel:DWORD dst_unused:UNUSED_PAD src0_sel:DWORD src1_sel:BYTE_1
	v_add_u16_e32 v2, 0xe000, v2
	v_add_u16_sdwa v3, v3, s27 dst_sel:WORD_1 dst_unused:UNUSED_PAD src0_sel:DWORD src1_sel:DWORD
	s_waitcnt vmcnt(4)
	v_ashrrev_i32_e32 v4, v140, v13
	v_or_b32_e32 v2, v2, v3
	ds_write2_b32 v36, v5, v2 offset1:16
	v_and_b32_e32 v2, 0xf0f0f0f, v10
	v_lshlrev_b32_e32 v5, 4, v4
	v_and_or_b32 v2, v5, s25, v2
	v_lshlrev_b16_e32 v6, 8, v2
	v_and_b32_e32 v5, 0x3f00, v2
	v_add_u16_e32 v6, 0xe000, v6
	v_or_b32_sdwa v5, v5, v6 dst_sel:DWORD dst_unused:UNUSED_PAD src0_sel:DWORD src1_sel:BYTE_1
	v_and_b32_sdwa v6, v2, s26 dst_sel:DWORD dst_unused:UNUSED_PAD src0_sel:WORD_1 src1_sel:DWORD
	v_lshlrev_b16_sdwa v2, v142, v2 dst_sel:DWORD dst_unused:UNUSED_PAD src0_sel:DWORD src1_sel:WORD_1
	v_add_u16_e32 v2, 0xe000, v2
	v_lshrrev_b32_e32 v3, 4, v10
	v_and_b32_e32 v4, 0x30303030, v4
	v_or_b32_sdwa v2, v6, v2 dst_sel:DWORD dst_unused:UNUSED_PAD src0_sel:DWORD src1_sel:BYTE_1
	v_add_u16_e32 v5, 0xe000, v5
	v_add_u16_sdwa v2, v2, s27 dst_sel:WORD_1 dst_unused:UNUSED_PAD src0_sel:DWORD src1_sel:DWORD
	v_and_or_b32 v4, v3, s6, v4
	v_or_b32_e32 v5, v5, v2
	v_lshlrev_b16_e32 v2, 8, v4
	v_add_u16_e32 v7, 0xe000, v2
	v_lshl_add_u64 v[2:3], v[120:121], 0, s[18:19]
	global_load_dword v10, v[2:3], off offset:-2
	v_lshl_add_u64 v[2:3], v[116:117], 0, s[18:19]
	v_and_b32_e32 v6, 0x3f00, v4
	global_load_dword v13, v[2:3], off
	v_and_b32_sdwa v3, v4, s26 dst_sel:DWORD dst_unused:UNUSED_PAD src0_sel:WORD_1 src1_sel:DWORD
	v_lshlrev_b16_sdwa v4, v142, v4 dst_sel:DWORD dst_unused:UNUSED_PAD src0_sel:DWORD src1_sel:WORD_1
	v_add_u16_e32 v4, 0xe000, v4
	v_or_b32_sdwa v2, v6, v7 dst_sel:DWORD dst_unused:UNUSED_PAD src0_sel:DWORD src1_sel:BYTE_1
	v_or_b32_sdwa v3, v3, v4 dst_sel:DWORD dst_unused:UNUSED_PAD src0_sel:DWORD src1_sel:BYTE_1
	v_add_u16_e32 v2, 0xe000, v2
	v_add_u16_sdwa v3, v3, s27 dst_sel:WORD_1 dst_unused:UNUSED_PAD src0_sel:DWORD src1_sel:DWORD
	s_waitcnt vmcnt(4)
	v_ashrrev_i32_e32 v4, v140, v9
	v_or_b32_e32 v2, v2, v3
	ds_write2_b32 v38, v5, v2 offset1:16
	v_and_b32_e32 v2, 0xf0f0f0f, v8
	v_lshlrev_b32_e32 v5, 4, v4
	v_and_or_b32 v2, v5, s25, v2
	v_lshlrev_b16_e32 v6, 8, v2
	v_and_b32_e32 v5, 0x3f00, v2
	v_add_u16_e32 v6, 0xe000, v6
	v_or_b32_sdwa v5, v5, v6 dst_sel:DWORD dst_unused:UNUSED_PAD src0_sel:DWORD src1_sel:BYTE_1
	v_and_b32_sdwa v6, v2, s26 dst_sel:DWORD dst_unused:UNUSED_PAD src0_sel:WORD_1 src1_sel:DWORD
	v_lshlrev_b16_sdwa v2, v142, v2 dst_sel:DWORD dst_unused:UNUSED_PAD src0_sel:DWORD src1_sel:WORD_1
	v_add_u16_e32 v2, 0xe000, v2
	v_lshrrev_b32_e32 v3, 4, v8
	v_and_b32_e32 v4, 0x30303030, v4
	v_or_b32_sdwa v2, v6, v2 dst_sel:DWORD dst_unused:UNUSED_PAD src0_sel:DWORD src1_sel:BYTE_1
	v_add_u16_e32 v5, 0xe000, v5
	v_add_u16_sdwa v2, v2, s27 dst_sel:WORD_1 dst_unused:UNUSED_PAD src0_sel:DWORD src1_sel:DWORD
	v_and_or_b32 v4, v3, s6, v4
	v_or_b32_e32 v5, v5, v2
	v_lshlrev_b16_e32 v2, 8, v4
	v_add_u16_e32 v7, 0xe000, v2
	v_lshl_add_u64 v[2:3], v[126:127], 0, s[18:19]
	global_load_dword v8, v[2:3], off offset:-2
	v_lshl_add_u64 v[2:3], v[122:123], 0, s[18:19]
	global_load_dword v9, v[2:3], off
	v_and_b32_e32 v6, 0x3f00, v4
	v_and_b32_sdwa v3, v4, s26 dst_sel:DWORD dst_unused:UNUSED_PAD src0_sel:WORD_1 src1_sel:DWORD
	v_lshlrev_b16_sdwa v4, v142, v4 dst_sel:DWORD dst_unused:UNUSED_PAD src0_sel:DWORD src1_sel:WORD_1
	v_add_u16_e32 v4, 0xe000, v4
	v_or_b32_sdwa v2, v6, v7 dst_sel:DWORD dst_unused:UNUSED_PAD src0_sel:DWORD src1_sel:BYTE_1
	v_or_b32_sdwa v3, v3, v4 dst_sel:DWORD dst_unused:UNUSED_PAD src0_sel:DWORD src1_sel:BYTE_1
	v_add_u16_e32 v2, 0xe000, v2
	v_add_u16_sdwa v3, v3, s27 dst_sel:WORD_1 dst_unused:UNUSED_PAD src0_sel:DWORD src1_sel:DWORD
	s_waitcnt vmcnt(4)
	v_ashrrev_i32_e32 v4, v140, v12
	v_or_b32_e32 v2, v2, v3
	ds_write2_b32 v40, v5, v2 offset1:16
	v_and_b32_e32 v2, 0xf0f0f0f, v11
	v_lshlrev_b32_e32 v5, 4, v4
	v_and_or_b32 v2, v5, s25, v2
	v_lshlrev_b16_e32 v6, 8, v2
	v_and_b32_e32 v5, 0x3f00, v2
	v_add_u16_e32 v6, 0xe000, v6
	v_or_b32_sdwa v5, v5, v6 dst_sel:DWORD dst_unused:UNUSED_PAD src0_sel:DWORD src1_sel:BYTE_1
	v_and_b32_sdwa v6, v2, s26 dst_sel:DWORD dst_unused:UNUSED_PAD src0_sel:WORD_1 src1_sel:DWORD
	v_lshlrev_b16_sdwa v2, v142, v2 dst_sel:DWORD dst_unused:UNUSED_PAD src0_sel:DWORD src1_sel:WORD_1
	v_add_u16_e32 v2, 0xe000, v2
	v_lshrrev_b32_e32 v3, 4, v11
	v_and_b32_e32 v4, 0x30303030, v4
	v_or_b32_sdwa v2, v6, v2 dst_sel:DWORD dst_unused:UNUSED_PAD src0_sel:DWORD src1_sel:BYTE_1
	v_add_u16_e32 v5, 0xe000, v5
	v_add_u16_sdwa v2, v2, s27 dst_sel:WORD_1 dst_unused:UNUSED_PAD src0_sel:DWORD src1_sel:DWORD
	v_and_or_b32 v4, v3, s6, v4
	v_or_b32_e32 v5, v5, v2
	v_lshlrev_b16_e32 v2, 8, v4
	v_add_u16_e32 v7, 0xe000, v2
	v_lshl_add_u64 v[2:3], v[130:131], 0, s[18:19]
	global_load_dword v11, v[2:3], off offset:-2
	v_lshl_add_u64 v[2:3], v[128:129], 0, s[18:19]
	global_load_dword v12, v[2:3], off
	v_and_b32_e32 v6, 0x3f00, v4
	v_and_b32_sdwa v3, v4, s26 dst_sel:DWORD dst_unused:UNUSED_PAD src0_sel:WORD_1 src1_sel:DWORD
	v_lshlrev_b16_sdwa v4, v142, v4 dst_sel:DWORD dst_unused:UNUSED_PAD src0_sel:DWORD src1_sel:WORD_1
	v_add_u16_e32 v4, 0xe000, v4
	v_or_b32_sdwa v2, v6, v7 dst_sel:DWORD dst_unused:UNUSED_PAD src0_sel:DWORD src1_sel:BYTE_1
	v_or_b32_sdwa v3, v3, v4 dst_sel:DWORD dst_unused:UNUSED_PAD src0_sel:DWORD src1_sel:BYTE_1
	v_add_u16_e32 v2, 0xe000, v2
	v_add_u16_sdwa v3, v3, s27 dst_sel:WORD_1 dst_unused:UNUSED_PAD src0_sel:DWORD src1_sel:DWORD
	s_waitcnt vmcnt(4)
	v_ashrrev_i32_e32 v4, v140, v13
	v_or_b32_e32 v2, v2, v3
	ds_write2_b32 v42, v5, v2 offset1:16
	v_and_b32_e32 v2, 0xf0f0f0f, v10
	v_lshlrev_b32_e32 v5, 4, v4
	v_and_or_b32 v2, v5, s25, v2
	v_lshlrev_b16_e32 v6, 8, v2
	v_and_b32_e32 v5, 0x3f00, v2
	v_add_u16_e32 v6, 0xe000, v6
	v_or_b32_sdwa v5, v5, v6 dst_sel:DWORD dst_unused:UNUSED_PAD src0_sel:DWORD src1_sel:BYTE_1
	v_and_b32_sdwa v6, v2, s26 dst_sel:DWORD dst_unused:UNUSED_PAD src0_sel:WORD_1 src1_sel:DWORD
	v_lshlrev_b16_sdwa v2, v142, v2 dst_sel:DWORD dst_unused:UNUSED_PAD src0_sel:DWORD src1_sel:WORD_1
	v_add_u16_e32 v2, 0xe000, v2
	v_lshrrev_b32_e32 v3, 4, v10
	v_and_b32_e32 v4, 0x30303030, v4
	v_or_b32_sdwa v2, v6, v2 dst_sel:DWORD dst_unused:UNUSED_PAD src0_sel:DWORD src1_sel:BYTE_1
	v_add_u16_e32 v5, 0xe000, v5
	v_add_u16_sdwa v2, v2, s27 dst_sel:WORD_1 dst_unused:UNUSED_PAD src0_sel:DWORD src1_sel:DWORD
	v_and_or_b32 v4, v3, s6, v4
	v_or_b32_e32 v5, v5, v2
	v_lshlrev_b16_e32 v2, 8, v4
	v_add_u16_e32 v7, 0xe000, v2
	v_lshl_add_u64 v[2:3], v[118:119], 0, s[18:19]
	global_load_dword v10, v[2:3], off
	v_lshl_add_u64 v[2:3], v[124:125], 0, s[18:19]
	v_and_b32_e32 v6, 0x3f00, v4
	global_load_dword v13, v[2:3], off
	v_and_b32_sdwa v3, v4, s26 dst_sel:DWORD dst_unused:UNUSED_PAD src0_sel:WORD_1 src1_sel:DWORD
	v_lshlrev_b16_sdwa v4, v142, v4 dst_sel:DWORD dst_unused:UNUSED_PAD src0_sel:DWORD src1_sel:WORD_1
	v_add_u16_e32 v4, 0xe000, v4
	v_or_b32_sdwa v2, v6, v7 dst_sel:DWORD dst_unused:UNUSED_PAD src0_sel:DWORD src1_sel:BYTE_1
	v_or_b32_sdwa v3, v3, v4 dst_sel:DWORD dst_unused:UNUSED_PAD src0_sel:DWORD src1_sel:BYTE_1
	v_add_u16_e32 v2, 0xe000, v2
	v_add_u16_sdwa v3, v3, s27 dst_sel:WORD_1 dst_unused:UNUSED_PAD src0_sel:DWORD src1_sel:DWORD
	s_waitcnt vmcnt(4)
	v_ashrrev_i32_e32 v4, v140, v9
	v_or_b32_e32 v2, v2, v3
	ds_write2_b32 v44, v5, v2 offset1:16
	v_and_b32_e32 v2, 0xf0f0f0f, v8
	v_lshlrev_b32_e32 v5, 4, v4
	v_and_or_b32 v2, v5, s25, v2
	v_lshlrev_b16_e32 v6, 8, v2
	v_and_b32_e32 v5, 0x3f00, v2
	v_add_u16_e32 v6, 0xe000, v6
	v_or_b32_sdwa v5, v5, v6 dst_sel:DWORD dst_unused:UNUSED_PAD src0_sel:DWORD src1_sel:BYTE_1
	v_and_b32_sdwa v6, v2, s26 dst_sel:DWORD dst_unused:UNUSED_PAD src0_sel:WORD_1 src1_sel:DWORD
	v_lshlrev_b16_sdwa v2, v142, v2 dst_sel:DWORD dst_unused:UNUSED_PAD src0_sel:DWORD src1_sel:WORD_1
	v_add_u16_e32 v2, 0xe000, v2
	v_lshrrev_b32_e32 v3, 4, v8
	v_and_b32_e32 v4, 0x30303030, v4
	v_or_b32_sdwa v2, v6, v2 dst_sel:DWORD dst_unused:UNUSED_PAD src0_sel:DWORD src1_sel:BYTE_1
	v_add_u16_e32 v5, 0xe000, v5
	v_add_u16_sdwa v2, v2, s27 dst_sel:WORD_1 dst_unused:UNUSED_PAD src0_sel:DWORD src1_sel:DWORD
	v_and_or_b32 v4, v3, s6, v4
	v_or_b32_e32 v5, v5, v2
	v_lshlrev_b16_e32 v2, 8, v4
	v_add_u16_e32 v7, 0xe000, v2
	v_lshl_add_u64 v[2:3], v[106:107], 0, s[18:19]
	global_load_dword v8, v[2:3], off
	v_lshl_add_u64 v[2:3], v[112:113], 0, s[18:19]
	global_load_dword v9, v[2:3], off
	v_and_b32_e32 v6, 0x3f00, v4
	v_and_b32_sdwa v3, v4, s26 dst_sel:DWORD dst_unused:UNUSED_PAD src0_sel:WORD_1 src1_sel:DWORD
	v_lshlrev_b16_sdwa v4, v142, v4 dst_sel:DWORD dst_unused:UNUSED_PAD src0_sel:DWORD src1_sel:WORD_1
	v_add_u16_e32 v4, 0xe000, v4
	v_or_b32_sdwa v2, v6, v7 dst_sel:DWORD dst_unused:UNUSED_PAD src0_sel:DWORD src1_sel:BYTE_1
	v_or_b32_sdwa v3, v3, v4 dst_sel:DWORD dst_unused:UNUSED_PAD src0_sel:DWORD src1_sel:BYTE_1
	v_add_u16_e32 v2, 0xe000, v2
	v_add_u16_sdwa v3, v3, s27 dst_sel:WORD_1 dst_unused:UNUSED_PAD src0_sel:DWORD src1_sel:DWORD
	s_waitcnt vmcnt(4)
	v_ashrrev_i32_e32 v4, v140, v12
	v_or_b32_e32 v2, v2, v3
	ds_write2_b32 v46, v5, v2 offset1:16
	v_and_b32_e32 v2, 0xf0f0f0f, v11
	v_lshlrev_b32_e32 v5, 4, v4
	v_and_or_b32 v2, v5, s25, v2
	v_lshlrev_b16_e32 v6, 8, v2
	v_and_b32_e32 v5, 0x3f00, v2
	v_add_u16_e32 v6, 0xe000, v6
	v_or_b32_sdwa v5, v5, v6 dst_sel:DWORD dst_unused:UNUSED_PAD src0_sel:DWORD src1_sel:BYTE_1
	v_and_b32_sdwa v6, v2, s26 dst_sel:DWORD dst_unused:UNUSED_PAD src0_sel:WORD_1 src1_sel:DWORD
	v_lshlrev_b16_sdwa v2, v142, v2 dst_sel:DWORD dst_unused:UNUSED_PAD src0_sel:DWORD src1_sel:WORD_1
	v_lshrrev_b32_e32 v3, 4, v11
	v_and_b32_e32 v4, 0x30303030, v4
	v_add_u16_e32 v2, 0xe000, v2
	v_or_b32_sdwa v2, v6, v2 dst_sel:DWORD dst_unused:UNUSED_PAD src0_sel:DWORD src1_sel:BYTE_1
	v_and_or_b32 v4, v3, s6, v4
	v_add_u16_e32 v5, 0xe000, v5
	v_add_u16_sdwa v2, v2, s27 dst_sel:WORD_1 dst_unused:UNUSED_PAD src0_sel:DWORD src1_sel:DWORD
	v_lshlrev_b16_e32 v3, 8, v4
	v_or_b32_e32 v5, v5, v2
	v_and_b32_e32 v2, 0x3f00, v4
	v_add_u16_e32 v3, 0xe000, v3
	v_or_b32_sdwa v2, v2, v3 dst_sel:DWORD dst_unused:UNUSED_PAD src0_sel:DWORD src1_sel:BYTE_1
	v_add_u16_e32 v6, 0xe000, v2
	v_lshl_add_u64 v[2:3], v[94:95], 0, s[18:19]
	global_load_dword v7, v[2:3], off
	v_lshl_add_u64 v[2:3], v[100:101], 0, s[18:19]
	global_load_dword v11, v[2:3], off
	v_lshlrev_b16_sdwa v3, v142, v4 dst_sel:DWORD dst_unused:UNUSED_PAD src0_sel:DWORD src1_sel:WORD_1
	v_and_b32_sdwa v2, v4, s26 dst_sel:DWORD dst_unused:UNUSED_PAD src0_sel:WORD_1 src1_sel:DWORD
	v_add_u16_e32 v3, 0xe000, v3
	v_or_b32_sdwa v2, v2, v3 dst_sel:DWORD dst_unused:UNUSED_PAD src0_sel:DWORD src1_sel:BYTE_1
	v_add_u16_sdwa v2, v2, s27 dst_sel:WORD_1 dst_unused:UNUSED_PAD src0_sel:DWORD src1_sel:DWORD
	s_waitcnt vmcnt(5)
	v_lshrrev_b32_e32 v3, 4, v10
	v_or_b32_e32 v2, v6, v2
	ds_write2_b32 v48, v5, v2 offset1:16
	s_waitcnt vmcnt(4)
	v_ashrrev_i32_e32 v4, v140, v13
	v_and_b32_e32 v2, 0xf0f0f0f, v10
	v_lshlrev_b32_e32 v5, 4, v4
	v_and_or_b32 v2, v5, s25, v2
	v_lshlrev_b16_e32 v6, 8, v2
	v_and_b32_e32 v5, 0x3f00, v2
	v_add_u16_e32 v6, 0xe000, v6
	v_or_b32_sdwa v5, v5, v6 dst_sel:DWORD dst_unused:UNUSED_PAD src0_sel:DWORD src1_sel:BYTE_1
	v_and_b32_sdwa v6, v2, s26 dst_sel:DWORD dst_unused:UNUSED_PAD src0_sel:WORD_1 src1_sel:DWORD
	v_lshlrev_b16_sdwa v2, v142, v2 dst_sel:DWORD dst_unused:UNUSED_PAD src0_sel:DWORD src1_sel:WORD_1
	v_add_u16_e32 v2, 0xe000, v2
	v_or_b32_sdwa v2, v6, v2 dst_sel:DWORD dst_unused:UNUSED_PAD src0_sel:DWORD src1_sel:BYTE_1
	v_and_b32_e32 v4, 0x30303030, v4
	v_add_u16_e32 v5, 0xe000, v5
	v_add_u16_sdwa v2, v2, s27 dst_sel:WORD_1 dst_unused:UNUSED_PAD src0_sel:DWORD src1_sel:DWORD
	v_and_or_b32 v4, v3, s6, v4
	v_or_b32_e32 v5, v5, v2
	v_lshl_add_u64 v[2:3], v[82:83], 0, s[18:19]
	global_load_dword v10, v[2:3], off
	v_lshl_add_u64 v[2:3], v[88:89], 0, s[18:19]
	global_load_dword v12, v[2:3], off
	v_and_b32_e32 v6, 0x3f00, v4
	v_lshlrev_b16_e32 v2, 8, v4
	v_and_b32_sdwa v3, v4, s26 dst_sel:DWORD dst_unused:UNUSED_PAD src0_sel:WORD_1 src1_sel:DWORD
	v_lshlrev_b16_sdwa v4, v142, v4 dst_sel:DWORD dst_unused:UNUSED_PAD src0_sel:DWORD src1_sel:WORD_1
	v_add_u16_e32 v2, 0xe000, v2
	v_add_u16_e32 v4, 0xe000, v4
	v_or_b32_sdwa v2, v6, v2 dst_sel:DWORD dst_unused:UNUSED_PAD src0_sel:DWORD src1_sel:BYTE_1
	v_or_b32_sdwa v3, v3, v4 dst_sel:DWORD dst_unused:UNUSED_PAD src0_sel:DWORD src1_sel:BYTE_1
	v_add_u16_e32 v2, 0xe000, v2
	v_add_u16_sdwa v3, v3, s27 dst_sel:WORD_1 dst_unused:UNUSED_PAD src0_sel:DWORD src1_sel:DWORD
	s_waitcnt vmcnt(5)
	v_lshrrev_b32_e32 v4, 4, v8
	v_or_b32_e32 v2, v2, v3
	s_waitcnt vmcnt(4)
	v_ashrrev_i32_e32 v3, v140, v9
	ds_write2_b32 v50, v5, v2 offset1:16
	v_and_b32_e32 v2, 0xf0f0f0f, v8
	v_lshlrev_b32_e32 v5, 4, v3
	v_and_or_b32 v5, v5, s25, v2
	v_and_b32_e32 v6, 0x30303030, v3
	v_lshlrev_b16_e32 v3, 8, v5
	v_and_b32_e32 v2, 0x3f00, v5
	v_add_u16_e32 v3, 0xe000, v3
	v_or_b32_sdwa v2, v2, v3 dst_sel:DWORD dst_unused:UNUSED_PAD src0_sel:DWORD src1_sel:BYTE_1
	v_add_u16_e32 v8, 0xe000, v2
	v_lshl_add_u64 v[2:3], v[76:77], 0, s[18:19]
	global_load_ushort v13, v[2:3], off
	v_lshlrev_b16_sdwa v2, v142, v5 dst_sel:DWORD dst_unused:UNUSED_PAD src0_sel:DWORD src1_sel:WORD_1
	v_and_b32_sdwa v9, v5, s26 dst_sel:DWORD dst_unused:UNUSED_PAD src0_sel:WORD_1 src1_sel:DWORD
	v_add_u16_e32 v2, 0xe000, v2
	v_or_b32_sdwa v5, v9, v2 dst_sel:DWORD dst_unused:UNUSED_PAD src0_sel:DWORD src1_sel:BYTE_1
	v_lshl_add_u64 v[2:3], v[70:71], 0, s[18:19]
	global_load_dword v9, v[2:3], off
	v_lshl_add_u64 v[2:3], v[64:65], 0, s[18:19]
	global_load_dword v2, v[2:3], off
	v_and_or_b32 v4, v4, s6, v6
	v_add_u16_sdwa v5, v5, s27 dst_sel:WORD_1 dst_unused:UNUSED_PAD src0_sel:DWORD src1_sel:DWORD
	v_lshlrev_b16_e32 v6, 8, v4
	v_or_b32_e32 v3, v8, v5
	v_and_b32_e32 v5, 0x3f00, v4
	v_add_u16_e32 v6, 0xe000, v6
	v_or_b32_sdwa v5, v5, v6 dst_sel:DWORD dst_unused:UNUSED_PAD src0_sel:DWORD src1_sel:BYTE_1
	v_and_b32_sdwa v6, v4, s26 dst_sel:DWORD dst_unused:UNUSED_PAD src0_sel:WORD_1 src1_sel:DWORD
	v_lshlrev_b16_sdwa v4, v142, v4 dst_sel:DWORD dst_unused:UNUSED_PAD src0_sel:DWORD src1_sel:WORD_1
	v_add_u16_e32 v4, 0xe000, v4
	v_or_b32_sdwa v4, v6, v4 dst_sel:DWORD dst_unused:UNUSED_PAD src0_sel:DWORD src1_sel:BYTE_1
	v_add_u16_e32 v5, 0xe000, v5
	v_add_u16_sdwa v4, v4, s27 dst_sel:WORD_1 dst_unused:UNUSED_PAD src0_sel:DWORD src1_sel:DWORD
	s_nop 0
	v_or_b32_e32 v4, v5, v4
	ds_write2_b32 v52, v3, v4 offset1:16
	s_waitcnt vmcnt(6)
	v_and_b32_e32 v3, 0xf0f0f0f, v7
	s_waitcnt vmcnt(5)
	v_ashrrev_i32_e32 v5, v140, v11
	v_lshlrev_b32_e32 v6, 4, v5
	v_and_or_b32 v3, v6, s25, v3
	v_lshrrev_b32_e32 v4, 4, v7
	v_lshlrev_b16_e32 v7, 8, v3
	v_and_b32_e32 v6, 0x3f00, v3
	v_add_u16_e32 v7, 0xe000, v7
	v_or_b32_sdwa v6, v6, v7 dst_sel:DWORD dst_unused:UNUSED_PAD src0_sel:DWORD src1_sel:BYTE_1
	v_and_b32_sdwa v7, v3, s26 dst_sel:DWORD dst_unused:UNUSED_PAD src0_sel:WORD_1 src1_sel:DWORD
	v_lshlrev_b16_sdwa v3, v142, v3 dst_sel:DWORD dst_unused:UNUSED_PAD src0_sel:DWORD src1_sel:WORD_1
	v_add_u16_e32 v3, 0xe000, v3
	v_and_b32_e32 v5, 0x30303030, v5
	v_or_b32_sdwa v3, v7, v3 dst_sel:DWORD dst_unused:UNUSED_PAD src0_sel:DWORD src1_sel:BYTE_1
	v_add_u16_e32 v6, 0xe000, v6
	v_add_u16_sdwa v3, v3, s27 dst_sel:WORD_1 dst_unused:UNUSED_PAD src0_sel:DWORD src1_sel:DWORD
	v_and_or_b32 v4, v4, s6, v5
	v_or_b32_e32 v3, v6, v3
	v_lshlrev_b16_e32 v6, 8, v4
	v_and_b32_e32 v5, 0x3f00, v4
	v_add_u16_e32 v6, 0xe000, v6
	v_or_b32_sdwa v5, v5, v6 dst_sel:DWORD dst_unused:UNUSED_PAD src0_sel:DWORD src1_sel:BYTE_1
	v_and_b32_sdwa v6, v4, s26 dst_sel:DWORD dst_unused:UNUSED_PAD src0_sel:WORD_1 src1_sel:DWORD
	v_lshlrev_b16_sdwa v4, v142, v4 dst_sel:DWORD dst_unused:UNUSED_PAD src0_sel:DWORD src1_sel:WORD_1
	v_add_u16_e32 v4, 0xe000, v4
	v_or_b32_sdwa v4, v6, v4 dst_sel:DWORD dst_unused:UNUSED_PAD src0_sel:DWORD src1_sel:BYTE_1
	v_add_u16_e32 v5, 0xe000, v5
	v_add_u16_sdwa v4, v4, s27 dst_sel:WORD_1 dst_unused:UNUSED_PAD src0_sel:DWORD src1_sel:DWORD
	s_nop 0
	v_or_b32_e32 v4, v5, v4
	s_waitcnt vmcnt(3)
	v_ashrrev_i32_e32 v5, v140, v12
	ds_write2_b32 v54, v3, v4 offset1:16
	v_and_b32_e32 v3, 0xf0f0f0f, v10
	v_lshlrev_b32_e32 v6, 4, v5
	v_and_or_b32 v3, v6, s25, v3
	v_lshlrev_b16_e32 v7, 8, v3
	v_and_b32_e32 v6, 0x3f00, v3
	v_add_u16_e32 v7, 0xe000, v7
	v_or_b32_sdwa v6, v6, v7 dst_sel:DWORD dst_unused:UNUSED_PAD src0_sel:DWORD src1_sel:BYTE_1
	v_and_b32_sdwa v7, v3, s26 dst_sel:DWORD dst_unused:UNUSED_PAD src0_sel:WORD_1 src1_sel:DWORD
	v_lshlrev_b16_sdwa v3, v142, v3 dst_sel:DWORD dst_unused:UNUSED_PAD src0_sel:DWORD src1_sel:WORD_1
	v_add_u16_e32 v3, 0xe000, v3
	v_lshrrev_b32_e32 v4, 4, v10
	v_and_b32_e32 v5, 0x30303030, v5
	v_or_b32_sdwa v3, v7, v3 dst_sel:DWORD dst_unused:UNUSED_PAD src0_sel:DWORD src1_sel:BYTE_1
	v_add_u16_e32 v6, 0xe000, v6
	v_add_u16_sdwa v3, v3, s27 dst_sel:WORD_1 dst_unused:UNUSED_PAD src0_sel:DWORD src1_sel:DWORD
	v_and_or_b32 v4, v4, s6, v5
	v_or_b32_e32 v3, v6, v3
	v_lshlrev_b16_e32 v6, 8, v4
	v_and_b32_e32 v5, 0x3f00, v4
	v_add_u16_e32 v6, 0xe000, v6
	v_or_b32_sdwa v5, v5, v6 dst_sel:DWORD dst_unused:UNUSED_PAD src0_sel:DWORD src1_sel:BYTE_1
	v_and_b32_sdwa v6, v4, s26 dst_sel:DWORD dst_unused:UNUSED_PAD src0_sel:WORD_1 src1_sel:DWORD
	v_lshlrev_b16_sdwa v4, v142, v4 dst_sel:DWORD dst_unused:UNUSED_PAD src0_sel:DWORD src1_sel:WORD_1
	v_add_u16_e32 v4, 0xe000, v4
	v_or_b32_sdwa v4, v6, v4 dst_sel:DWORD dst_unused:UNUSED_PAD src0_sel:DWORD src1_sel:BYTE_1
	s_waitcnt vmcnt(2)
	v_cvt_f32_f16_e32 v6, v13
	v_add_u16_e32 v5, 0xe000, v5
	v_add_u16_sdwa v4, v4, s27 dst_sel:WORD_1 dst_unused:UNUSED_PAD src0_sel:DWORD src1_sel:DWORD
	s_nop 0
	v_or_b32_e32 v4, v5, v4
	ds_write2_b32 v56, v3, v4 offset1:16
	ds_write_b32 v27, v6
	s_waitcnt vmcnt(1)
	ds_write_b32 v24, v9
	s_waitcnt vmcnt(0)
	ds_write_b32 v141, v2
	s_cbranch_scc0 .LBB216_5
; %bb.7:                                ;   in Loop: Header=BB216_6 Depth=1
	v_cmp_gt_i32_e64 s[2:3], s8, v33
	s_and_b64 s[22:23], s[0:1], s[2:3]
	s_and_saveexec_b64 s[2:3], s[22:23]
	s_cbranch_execz .LBB216_9
; %bb.8:                                ;   in Loop: Header=BB216_6 Depth=1
	v_add_u32_e32 v2, v60, v33
	v_mad_i64_i32 v[2:3], s[22:23], v2, 36, v[58:59]
	global_load_dword v2, v[2:3], off offset:4
	s_waitcnt vmcnt(0)
	ds_write_b32 v29, v2
.LBB216_9:                              ;   in Loop: Header=BB216_6 Depth=1
	s_or_b64 exec, exec, s[2:3]
	s_and_saveexec_b64 s[22:23], vcc
	s_cbranch_execz .LBB216_12
; %bb.10:                               ;   in Loop: Header=BB216_6 Depth=1
	v_cmp_gt_i32_e64 s[2:3], s8, v22
	s_and_b64 s[2:3], s[0:1], s[2:3]
	s_and_b64 exec, exec, s[2:3]
	s_cbranch_execz .LBB216_12
; %bb.11:                               ;   in Loop: Header=BB216_6 Depth=1
	v_add_u32_e32 v2, v60, v22
	v_mad_i64_i32 v[2:3], s[2:3], v2, 36, s[14:15]
	global_load_dword v2, v[2:3], off
	s_waitcnt vmcnt(0)
	v_cvt_f32_f16_e32 v2, v2
	ds_write_b32 v31, v2
.LBB216_12:                             ;   in Loop: Header=BB216_6 Depth=1
	s_or_b64 exec, exec, s[22:23]
	s_waitcnt lgkmcnt(0)
	s_barrier
	ds_read_b128 v[6:9], v35
	ds_read_b128 v[10:13], v35 offset:16
	ds_read_b128 v[14:17], v35 offset:32
	;; [unrolled: 1-line block ×3, first 2 shown]
	ds_read_b32 v23, v43
	ds_read2_b32 v[132:133], v41 offset0:6 offset1:7
	ds_read2_b32 v[136:137], v41 offset0:4 offset1:5
	;; [unrolled: 1-line block ×3, first 2 shown]
	ds_read2_b32 v[146:147], v41 offset1:1
	ds_read2_b32 v[148:149], v41 offset0:14 offset1:15
	ds_read2_b32 v[150:151], v41 offset0:12 offset1:13
	ds_read_b128 v[2:5], v37 offset:36944
	ds_read2_b32 v[134:135], v39 offset1:1
	v_mov_b32_e32 v156, 0
	ds_read2_b32 v[152:153], v41 offset0:10 offset1:11
	ds_read2_b32 v[154:155], v41 offset0:8 offset1:9
	s_waitcnt lgkmcnt(4)
	v_dot4c_i32_i8_e32 v156, v150, v18
	v_dot4c_i32_i8_e32 v156, v151, v19
	;; [unrolled: 1-line block ×4, first 2 shown]
	v_mov_b32_e32 v149, 0
	v_dot4c_i32_i8_e32 v149, v136, v10
	v_dot4c_i32_i8_e32 v149, v137, v11
	;; [unrolled: 1-line block ×4, first 2 shown]
	v_mov_b32_e32 v133, 0
	v_dot4c_i32_i8_e32 v133, v146, v6
	v_dot4c_i32_i8_e32 v133, v147, v7
	s_waitcnt lgkmcnt(2)
	v_bfe_i32 v132, v134, 8, 8
	v_dot4c_i32_i8_e32 v133, v138, v8
	v_mul_lo_u32 v132, v149, v132
	v_dot4c_i32_i8_e32 v133, v139, v9
	v_bfe_i32 v136, v134, 0, 8
	v_mov_b32_e32 v148, 0
	s_waitcnt lgkmcnt(0)
	v_dot4c_i32_i8_e32 v148, v154, v14
	v_mad_u64_u32 v[132:133], s[2:3], v133, v136, v[132:133]
	v_cvt_f32_i32_e32 v132, v132
	v_dot4c_i32_i8_e32 v148, v155, v15
	v_dot4c_i32_i8_e32 v148, v152, v16
	;; [unrolled: 1-line block ×3, first 2 shown]
	v_fma_f32 v160, v2, v132, 0
	v_ashrrev_i32_e32 v132, 24, v134
	v_bfe_i32 v133, v134, 16, 8
	v_mul_lo_u32 v132, v156, v132
	v_mad_u64_u32 v[132:133], s[2:3], v148, v133, v[132:133]
	v_add_u32_e32 v136, 0x2090, v41
	v_add_u32_e32 v146, 0x2088, v41
	;; [unrolled: 1-line block ×5, first 2 shown]
	v_cvt_f32_i32_e32 v161, v132
	ds_read2_b32 v[132:133], v51 offset1:1
	ds_read_b32 v164, v49 offset:128
	ds_read2_b32 v[138:139], v47 offset1:1
	ds_read2_b32 v[136:137], v136 offset1:1
	;; [unrolled: 1-line block ×6, first 2 shown]
	v_mov_b32_e32 v162, 0
	v_add_u32_e32 v134, 0x2098, v41
	v_add_u32_e32 v154, 0x20a8, v41
	;; [unrolled: 1-line block ×3, first 2 shown]
	s_waitcnt lgkmcnt(0)
	v_dot4c_i32_i8_e32 v162, v152, v18
	v_dot4c_i32_i8_e32 v162, v153, v19
	v_add_u32_e32 v158, 0x4118, v41
	v_dot4c_i32_i8_e32 v162, v150, v20
	ds_read2_b32 v[154:155], v154 offset1:1
	ds_read2_b32 v[156:157], v156 offset1:1
	;; [unrolled: 1-line block ×3, first 2 shown]
	v_dot4c_i32_i8_e32 v162, v151, v21
	ds_read2_b32 v[150:151], v134 offset1:1
	v_mov_b32_e32 v153, 0
	v_dot4c_i32_i8_e32 v153, v136, v10
	v_dot4c_i32_i8_e32 v153, v137, v11
	v_mov_b32_e32 v137, 0
	v_dot4c_i32_i8_e32 v137, v148, v6
	s_waitcnt lgkmcnt(0)
	v_dot4c_i32_i8_e32 v153, v150, v12
	v_dot4c_i32_i8_e32 v137, v149, v7
	v_mov_b32_e32 v152, 0
	v_dot4c_i32_i8_e32 v153, v151, v13
	v_bfe_i32 v136, v138, 8, 8
	v_dot4c_i32_i8_e32 v137, v146, v8
	v_dot4c_i32_i8_e32 v152, v156, v14
	v_mul_lo_u32 v136, v153, v136
	v_dot4c_i32_i8_e32 v137, v147, v9
	v_bfe_i32 v146, v138, 0, 8
	v_dot4c_i32_i8_e32 v152, v157, v15
	v_dot4c_i32_i8_e32 v152, v154, v16
	v_mad_u64_u32 v[136:137], s[2:3], v137, v146, v[136:137]
	v_cvt_f32_i32_e32 v146, v136
	v_ashrrev_i32_e32 v136, 24, v138
	v_dot4c_i32_i8_e32 v152, v155, v17
	v_bfe_i32 v137, v138, 16, 8
	v_mul_lo_u32 v136, v162, v136
	v_add_u32_e32 v148, 0x4100, v41
	v_mad_u64_u32 v[136:137], s[2:3], v152, v137, v[136:137]
	v_cvt_f32_i32_e32 v136, v136
	v_fma_f32 v137, v2, v146, 0
	v_add_u32_e32 v146, 0x4108, v41
	v_add_u32_e32 v150, 0x4138, v41
	v_fmac_f32_e32 v137, v3, v136
	v_add_u32_e32 v136, 0x4110, v41
	v_add_u32_e32 v152, 0x4130, v41
	ds_read_b32 v134, v57 offset:384
	ds_read_b32 v138, v53 offset:256
	v_fmac_f32_e32 v143, v164, v137
	ds_read2_b32 v[136:137], v136 offset1:1
	ds_read2_b32 v[146:147], v146 offset1:1
	;; [unrolled: 1-line block ×5, first 2 shown]
	v_mov_b32_e32 v162, 0
	v_fmac_f32_e32 v160, v3, v161
	v_fmac_f32_e32 v25, v23, v160
	v_add_u32_e32 v154, 0x4128, v41
	s_waitcnt lgkmcnt(0)
	v_dot4c_i32_i8_e32 v162, v152, v18
	v_dot4c_i32_i8_e32 v162, v153, v19
	;; [unrolled: 1-line block ×4, first 2 shown]
	v_mov_b32_e32 v151, 0
	v_dot4c_i32_i8_e32 v151, v136, v10
	v_dot4c_i32_i8_e32 v151, v137, v11
	v_mov_b32_e32 v137, 0
	v_dot4c_i32_i8_e32 v137, v148, v6
	v_dot4c_i32_i8_e32 v151, v158, v12
	;; [unrolled: 1-line block ×3, first 2 shown]
	v_add_u32_e32 v156, 0x4120, v41
	v_add_u32_e32 v160, 0x6198, v41
	v_dot4c_i32_i8_e32 v151, v159, v13
	v_bfe_i32 v136, v132, 8, 8
	v_dot4c_i32_i8_e32 v137, v146, v8
	ds_read2_b32 v[154:155], v154 offset1:1
	ds_read2_b32 v[156:157], v156 offset1:1
	;; [unrolled: 1-line block ×3, first 2 shown]
	v_mul_lo_u32 v136, v151, v136
	v_dot4c_i32_i8_e32 v137, v147, v9
	v_bfe_i32 v146, v132, 0, 8
	v_mov_b32_e32 v150, 0
	s_waitcnt lgkmcnt(1)
	v_dot4c_i32_i8_e32 v150, v156, v14
	v_mad_u64_u32 v[136:137], s[2:3], v137, v146, v[136:137]
	v_cvt_f32_i32_e32 v136, v136
	v_dot4c_i32_i8_e32 v150, v157, v15
	v_dot4c_i32_i8_e32 v150, v154, v16
	;; [unrolled: 1-line block ×3, first 2 shown]
	v_fma_f32 v165, v2, v136, 0
	v_bfe_i32 v136, v132, 16, 8
	v_ashrrev_i32_e32 v132, 24, v132
	v_mul_lo_u32 v132, v162, v132
	v_mad_u64_u32 v[136:137], s[2:3], v150, v136, v[132:133]
	v_add_u32_e32 v146, 0x6190, v41
	v_add_u32_e32 v148, 0x6188, v41
	;; [unrolled: 1-line block ×5, first 2 shown]
	v_cvt_f32_i32_e32 v132, v136
	ds_read2_b32 v[136:137], v55 offset1:1
	ds_read2_b32 v[146:147], v146 offset1:1
	;; [unrolled: 1-line block ×6, first 2 shown]
	v_add_u32_e32 v156, 0x61a8, v41
	v_add_u32_e32 v158, 0x61a0, v41
	;; [unrolled: 1-line block ×3, first 2 shown]
	ds_read2_b32 v[156:157], v156 offset1:1
	ds_read2_b32 v[158:159], v158 offset1:1
	ds_read2_b32 v[162:163], v162 offset1:1
	v_mov_b32_e32 v166, 0
	s_waitcnt lgkmcnt(3)
	v_dot4c_i32_i8_e32 v166, v154, v18
	v_mov_b32_e32 v18, 0
	s_waitcnt lgkmcnt(1)
	v_dot4c_i32_i8_e32 v18, v158, v14
	v_mov_b32_e32 v14, 0
	v_dot4c_i32_i8_e32 v14, v146, v10
	v_dot4c_i32_i8_e32 v14, v147, v11
	v_mov_b32_e32 v11, 0
	v_dot4c_i32_i8_e32 v11, v150, v6
	v_dot4c_i32_i8_e32 v14, v160, v12
	v_dot4c_i32_i8_e32 v11, v151, v7
	v_dot4c_i32_i8_e32 v14, v161, v13
	v_bfe_i32 v10, v136, 8, 8
	v_dot4c_i32_i8_e32 v11, v148, v8
	v_dot4c_i32_i8_e32 v166, v155, v19
	v_mul_lo_u32 v10, v14, v10
	v_dot4c_i32_i8_e32 v11, v149, v9
	v_bfe_i32 v6, v136, 0, 8
	v_dot4c_i32_i8_e32 v166, v152, v20
	v_dot4c_i32_i8_e32 v18, v159, v15
	v_mad_u64_u32 v[6:7], s[2:3], v11, v6, v[10:11]
	v_dot4c_i32_i8_e32 v166, v153, v21
	v_dot4c_i32_i8_e32 v18, v156, v16
	v_cvt_f32_i32_e32 v8, v6
	v_ashrrev_i32_e32 v6, 24, v136
	v_dot4c_i32_i8_e32 v18, v157, v17
	v_bfe_i32 v7, v136, 16, 8
	v_mul_lo_u32 v6, v166, v6
	v_fma_f32 v2, v2, v8, 0
	v_mad_u64_u32 v[6:7], s[2:3], v18, v7, v[6:7]
	v_cvt_f32_i32_e32 v6, v6
	v_fmac_f32_e32 v165, v3, v132
	v_mov_b32_e32 v132, 0
	v_mov_b32_e32 v136, 0
	v_fmac_f32_e32 v2, v3, v6
	v_fmac_f32_e32 v145, v134, v2
	ds_read_b128 v[10:13], v35 offset:80
	ds_read_b128 v[6:9], v35 offset:64
	;; [unrolled: 1-line block ×4, first 2 shown]
	ds_read2_b32 v[2:3], v41 offset0:30 offset1:31
	ds_read2_b32 v[146:147], v41 offset0:28 offset1:29
	;; [unrolled: 1-line block ×6, first 2 shown]
	s_waitcnt lgkmcnt(4)
	v_dot4c_i32_i8_e32 v132, v146, v18
	v_dot4c_i32_i8_e32 v132, v147, v19
	v_dot4c_i32_i8_e32 v132, v2, v20
	v_mov_b32_e32 v2, 0
	s_waitcnt lgkmcnt(2)
	v_dot4c_i32_i8_e32 v2, v150, v10
	v_dot4c_i32_i8_e32 v2, v151, v11
	;; [unrolled: 1-line block ×5, first 2 shown]
	v_bfe_i32 v3, v135, 8, 8
	ds_read2_b32 v[156:157], v41 offset0:26 offset1:27
	ds_read2_b32 v[158:159], v41 offset0:24 offset1:25
	v_mul_lo_u32 v2, v2, v3
	v_mov_b32_e32 v3, 0
	s_waitcnt lgkmcnt(2)
	v_dot4c_i32_i8_e32 v3, v154, v6
	v_dot4c_i32_i8_e32 v3, v155, v7
	;; [unrolled: 1-line block ×4, first 2 shown]
	v_bfe_i32 v146, v135, 0, 8
	s_waitcnt lgkmcnt(0)
	v_dot4c_i32_i8_e32 v136, v158, v14
	v_dot4c_i32_i8_e32 v136, v159, v15
	v_mad_u64_u32 v[2:3], s[2:3], v3, v146, v[2:3]
	v_cvt_f32_i32_e32 v2, v2
	v_dot4c_i32_i8_e32 v136, v156, v16
	v_dot4c_i32_i8_e32 v136, v157, v17
	v_bfe_i32 v3, v135, 16, 8
	v_fma_f32 v160, v4, v2, 0
	v_ashrrev_i32_e32 v2, 24, v135
	v_mul_lo_u32 v2, v132, v2
	v_mad_u64_u32 v[2:3], s[2:3], v136, v3, v[2:3]
	v_cvt_f32_i32_e32 v132, v2
	v_add_u32_e32 v2, 0x20d0, v41
	v_add_u32_e32 v135, 0x20c8, v41
	;; [unrolled: 1-line block ×4, first 2 shown]
	ds_read2_b32 v[2:3], v2 offset1:1
	ds_read2_b32 v[146:147], v135 offset1:1
	;; [unrolled: 1-line block ×4, first 2 shown]
	v_add_u32_e32 v135, 0x20f0, v41
	ds_read2_b32 v[152:153], v135 offset1:1
	v_mov_b32_e32 v136, 0
	v_add_u32_e32 v154, 0x20e8, v41
	v_add_u32_e32 v156, 0x20e0, v41
	;; [unrolled: 1-line block ×3, first 2 shown]
	s_waitcnt lgkmcnt(0)
	v_dot4c_i32_i8_e32 v136, v152, v18
	v_dot4c_i32_i8_e32 v136, v153, v19
	;; [unrolled: 1-line block ×3, first 2 shown]
	v_mov_b32_e32 v150, 0
	v_dot4c_i32_i8_e32 v150, v2, v10
	ds_read2_b32 v[154:155], v154 offset1:1
	ds_read2_b32 v[156:157], v156 offset1:1
	;; [unrolled: 1-line block ×3, first 2 shown]
	v_dot4c_i32_i8_e32 v150, v3, v11
	v_mov_b32_e32 v3, 0
	v_dot4c_i32_i8_e32 v3, v148, v6
	v_dot4c_i32_i8_e32 v150, v162, v12
	;; [unrolled: 1-line block ×3, first 2 shown]
	v_mov_b32_e32 v135, 0
	v_dot4c_i32_i8_e32 v150, v163, v13
	v_bfe_i32 v2, v139, 8, 8
	v_dot4c_i32_i8_e32 v3, v146, v8
	s_waitcnt lgkmcnt(1)
	v_dot4c_i32_i8_e32 v135, v156, v14
	v_mul_lo_u32 v2, v150, v2
	v_dot4c_i32_i8_e32 v3, v147, v9
	v_bfe_i32 v146, v139, 0, 8
	v_dot4c_i32_i8_e32 v135, v157, v15
	v_dot4c_i32_i8_e32 v136, v151, v21
	v_mad_u64_u32 v[2:3], s[2:3], v3, v146, v[2:3]
	v_dot4c_i32_i8_e32 v135, v154, v16
	v_cvt_f32_i32_e32 v146, v2
	v_ashrrev_i32_e32 v2, 24, v139
	v_dot4c_i32_i8_e32 v135, v155, v17
	v_bfe_i32 v3, v139, 16, 8
	v_mul_lo_u32 v2, v136, v2
	v_fmac_f32_e32 v160, v5, v132
	v_mad_u64_u32 v[2:3], s[2:3], v135, v3, v[2:3]
	v_cvt_f32_i32_e32 v2, v2
	v_fma_f32 v3, v4, v146, 0
	v_fmac_f32_e32 v25, v23, v160
	v_add_u32_e32 v23, 0x4148, v41
	v_fmac_f32_e32 v3, v5, v2
	v_add_u32_e32 v2, 0x4150, v41
	v_add_u32_e32 v135, 0x4178, v41
	v_fmac_f32_e32 v143, v164, v3
	v_add_u32_e32 v132, 0x4140, v41
	ds_read2_b32 v[2:3], v2 offset1:1
	ds_read2_b32 v[146:147], v23 offset1:1
	;; [unrolled: 1-line block ×4, first 2 shown]
	v_add_u32_e32 v23, 0x4170, v41
	v_add_u32_e32 v135, 0x4168, v41
	;; [unrolled: 1-line block ×3, first 2 shown]
	ds_read2_b32 v[152:153], v23 offset1:1
	v_add_u32_e32 v23, 0x61d8, v41
	ds_read2_b32 v[154:155], v135 offset1:1
	ds_read2_b32 v[156:157], v136 offset1:1
	;; [unrolled: 1-line block ×3, first 2 shown]
	v_mov_b32_e32 v135, 0
	s_waitcnt lgkmcnt(7)
	v_dot4c_i32_i8_e32 v135, v2, v10
	v_dot4c_i32_i8_e32 v135, v3, v11
	v_mov_b32_e32 v3, 0
	s_waitcnt lgkmcnt(5)
	v_dot4c_i32_i8_e32 v3, v148, v6
	v_dot4c_i32_i8_e32 v135, v158, v12
	;; [unrolled: 1-line block ×4, first 2 shown]
	v_bfe_i32 v2, v133, 8, 8
	v_dot4c_i32_i8_e32 v3, v146, v8
	v_dot4c_i32_i8_e32 v3, v147, v9
	v_mul_lo_u32 v2, v135, v2
	v_bfe_i32 v135, v133, 0, 8
	v_mov_b32_e32 v132, 0
	v_mad_u64_u32 v[2:3], s[2:3], v3, v135, v[2:3]
	v_cvt_f32_i32_e32 v2, v2
	s_waitcnt lgkmcnt(3)
	v_dot4c_i32_i8_e32 v132, v152, v18
	v_mov_b32_e32 v23, 0
	v_dot4c_i32_i8_e32 v132, v153, v19
	s_waitcnt lgkmcnt(1)
	v_dot4c_i32_i8_e32 v23, v156, v14
	v_dot4c_i32_i8_e32 v132, v150, v20
	;; [unrolled: 1-line block ×5, first 2 shown]
	v_fma_f32 v135, v4, v2, 0
	v_ashrrev_i32_e32 v2, 24, v133
	v_dot4c_i32_i8_e32 v23, v155, v17
	v_bfe_i32 v3, v133, 16, 8
	v_mul_lo_u32 v2, v132, v2
	v_add_u32_e32 v132, 0x61c8, v41
	v_mad_u64_u32 v[2:3], s[2:3], v23, v3, v[2:3]
	v_cvt_f32_i32_e32 v23, v2
	v_add_u32_e32 v2, 0x61d0, v41
	v_add_u32_e32 v136, 0x61c0, v41
	;; [unrolled: 1-line block ×3, first 2 shown]
	ds_read2_b32 v[2:3], v2 offset1:1
	ds_read2_b32 v[132:133], v132 offset1:1
	;; [unrolled: 1-line block ×4, first 2 shown]
	v_add_u32_e32 v136, 0x61f0, v41
	ds_read2_b32 v[150:151], v136 offset1:1
	v_add_u32_e32 v136, 0x61e8, v41
	v_add_u32_e32 v154, 0x61e0, v41
	ds_read2_b32 v[152:153], v136 offset1:1
	ds_read2_b32 v[154:155], v154 offset1:1
	v_mov_b32_e32 v139, 0
	s_waitcnt lgkmcnt(2)
	v_dot4c_i32_i8_e32 v139, v150, v18
	v_mov_b32_e32 v18, 0
	v_dot4c_i32_i8_e32 v139, v151, v19
	s_waitcnt lgkmcnt(0)
	v_dot4c_i32_i8_e32 v18, v154, v14
	v_mov_b32_e32 v14, 0
	v_dot4c_i32_i8_e32 v14, v2, v10
	v_dot4c_i32_i8_e32 v14, v3, v11
	v_mov_b32_e32 v3, 0
	v_dot4c_i32_i8_e32 v3, v146, v6
	v_dot4c_i32_i8_e32 v14, v160, v12
	v_dot4c_i32_i8_e32 v3, v147, v7
	v_dot4c_i32_i8_e32 v14, v161, v13
	v_bfe_i32 v2, v137, 8, 8
	v_dot4c_i32_i8_e32 v3, v132, v8
	v_dot4c_i32_i8_e32 v3, v133, v9
	v_mul_lo_u32 v2, v14, v2
	v_bfe_i32 v6, v137, 0, 8
	v_dot4c_i32_i8_e32 v139, v148, v20
	v_dot4c_i32_i8_e32 v18, v155, v15
	v_mad_u64_u32 v[2:3], s[2:3], v3, v6, v[2:3]
	v_dot4c_i32_i8_e32 v139, v149, v21
	v_dot4c_i32_i8_e32 v18, v152, v16
	v_cvt_f32_i32_e32 v6, v2
	v_ashrrev_i32_e32 v2, 24, v137
	v_dot4c_i32_i8_e32 v18, v153, v17
	v_bfe_i32 v3, v137, 16, 8
	v_mul_lo_u32 v2, v139, v2
	v_fmac_f32_e32 v144, v138, v165
	v_mad_u64_u32 v[2:3], s[2:3], v18, v3, v[2:3]
	v_cvt_f32_i32_e32 v2, v2
	v_fma_f32 v3, v4, v6, 0
	v_fmac_f32_e32 v135, v5, v23
	v_fmac_f32_e32 v144, v138, v135
	;; [unrolled: 1-line block ×4, first 2 shown]
	s_cmp_ge_i32 s4, s5
	s_barrier
	s_cbranch_scc1 .LBB216_5
; %bb.13:                               ;   in Loop: Header=BB216_6 Depth=1
	v_cmp_gt_i32_e64 s[2:3], s8, v45
	s_and_b64 s[22:23], s[0:1], s[2:3]
	s_and_saveexec_b64 s[2:3], s[22:23]
	s_cbranch_execz .LBB216_15
; %bb.14:                               ;   in Loop: Header=BB216_6 Depth=1
	v_add_u32_e32 v2, v60, v45
	v_mad_i64_i32 v[2:3], s[22:23], v2, 36, v[58:59]
	global_load_dword v2, v[2:3], off offset:4
	s_waitcnt vmcnt(0)
	ds_write_b32 v29, v2
.LBB216_15:                             ;   in Loop: Header=BB216_6 Depth=1
	s_or_b64 exec, exec, s[2:3]
	s_and_saveexec_b64 s[22:23], vcc
	s_cbranch_execz .LBB216_4
; %bb.16:                               ;   in Loop: Header=BB216_6 Depth=1
	v_add_u32_e32 v2, 4, v22
	v_cmp_gt_i32_e64 s[2:3], s8, v2
	s_and_b64 s[2:3], s[0:1], s[2:3]
	s_and_b64 exec, exec, s[2:3]
	s_cbranch_execz .LBB216_4
; %bb.17:                               ;   in Loop: Header=BB216_6 Depth=1
	v_ashrrev_i32_e32 v23, 31, v22
	v_lshl_add_u64 v[2:3], v[60:61], 0, v[22:23]
	v_mad_u64_u32 v[4:5], s[2:3], v2, 36, s[20:21]
	v_mad_i32_i24 v5, v3, 36, v5
	global_load_dword v2, v[4:5], off
	s_waitcnt vmcnt(0)
	v_cvt_f32_f16_e32 v2, v2
	ds_write_b32 v31, v2
	s_branch .LBB216_4
.LBB216_18:
	v_mov_b32_e32 v2, 0
	v_mov_b32_e32 v4, 0
	;; [unrolled: 1-line block ×3, first 2 shown]
	s_mul_i32 s0, s10, s7
	s_waitcnt vmcnt(0)
	v_cmp_gt_i32_e32 vcc, s0, v1
	s_and_saveexec_b64 s[0:1], vcc
	s_cbranch_execnz .LBB216_21
.LBB216_19:
	s_endpgm
.LBB216_20:
	v_cvt_f16_f32_e32 v6, v25
	v_cvt_f16_f32_e32 v4, v143
	;; [unrolled: 1-line block ×4, first 2 shown]
	s_mul_i32 s0, s10, s7
	v_cmp_gt_i32_e32 vcc, s0, v1
	s_and_saveexec_b64 s[0:1], vcc
	s_cbranch_execz .LBB216_19
.LBB216_21:
	v_and_b32_e32 v0, 0x3ff, v0
	v_add_u32_e32 v5, s11, v0
	v_mul_lo_u32 v0, v1, s9
	v_cmp_gt_u32_e32 vcc, s9, v5
	s_and_saveexec_b64 s[0:1], vcc
	s_cbranch_execz .LBB216_23
; %bb.22:
	v_add_u32_e32 v8, v0, v5
	v_mov_b32_e32 v9, 0
	v_lshl_add_u64 v[8:9], v[8:9], 1, s[16:17]
	global_store_short v[8:9], v6, off
.LBB216_23:
	s_or_b64 exec, exec, s[0:1]
	v_add_u32_e32 v1, 32, v5
	v_cmp_gt_u32_e32 vcc, s9, v1
	s_and_saveexec_b64 s[0:1], vcc
	s_cbranch_execz .LBB216_25
; %bb.24:
	v_add_u32_e32 v6, v0, v1
	v_mov_b32_e32 v7, 0
	v_lshl_add_u64 v[6:7], v[6:7], 1, s[16:17]
	global_store_short v[6:7], v4, off
.LBB216_25:
	s_or_b64 exec, exec, s[0:1]
	v_add_u32_e32 v1, 64, v5
	;; [unrolled: 11-line block ×3, first 2 shown]
	v_cmp_gt_u32_e32 vcc, s9, v1
	s_and_b64 exec, exec, vcc
	s_cbranch_execz .LBB216_19
; %bb.28:
	v_add_u32_e32 v0, v0, v1
	v_mov_b32_e32 v1, 0
	v_lshl_add_u64 v[0:1], v[0:1], 1, s[16:17]
	global_store_short v[0:1], v3, off
	s_endpgm
	.section	.rodata,"a",@progbits
	.p2align	6, 0x0
	.amdhsa_kernel _ZL8moe_q6_KIN3c104HalfELb1EEvPKvS3_PT_PKiS7_S7_iiiiiii
		.amdhsa_group_segment_fixed_size 37072
		.amdhsa_private_segment_fixed_size 0
		.amdhsa_kernarg_size 76
		.amdhsa_user_sgpr_count 2
		.amdhsa_user_sgpr_dispatch_ptr 0
		.amdhsa_user_sgpr_queue_ptr 0
		.amdhsa_user_sgpr_kernarg_segment_ptr 1
		.amdhsa_user_sgpr_dispatch_id 0
		.amdhsa_user_sgpr_kernarg_preload_length 0
		.amdhsa_user_sgpr_kernarg_preload_offset 0
		.amdhsa_user_sgpr_private_segment_size 0
		.amdhsa_uses_dynamic_stack 0
		.amdhsa_enable_private_segment 0
		.amdhsa_system_sgpr_workgroup_id_x 1
		.amdhsa_system_sgpr_workgroup_id_y 1
		.amdhsa_system_sgpr_workgroup_id_z 0
		.amdhsa_system_sgpr_workgroup_info 0
		.amdhsa_system_vgpr_workitem_id 1
		.amdhsa_next_free_vgpr 167
		.amdhsa_next_free_sgpr 30
		.amdhsa_accum_offset 168
		.amdhsa_reserve_vcc 1
		.amdhsa_float_round_mode_32 0
		.amdhsa_float_round_mode_16_64 0
		.amdhsa_float_denorm_mode_32 3
		.amdhsa_float_denorm_mode_16_64 3
		.amdhsa_dx10_clamp 1
		.amdhsa_ieee_mode 1
		.amdhsa_fp16_overflow 0
		.amdhsa_tg_split 0
		.amdhsa_exception_fp_ieee_invalid_op 0
		.amdhsa_exception_fp_denorm_src 0
		.amdhsa_exception_fp_ieee_div_zero 0
		.amdhsa_exception_fp_ieee_overflow 0
		.amdhsa_exception_fp_ieee_underflow 0
		.amdhsa_exception_fp_ieee_inexact 0
		.amdhsa_exception_int_div_zero 0
	.end_amdhsa_kernel
	.section	.text._ZL8moe_q6_KIN3c104HalfELb1EEvPKvS3_PT_PKiS7_S7_iiiiiii,"axG",@progbits,_ZL8moe_q6_KIN3c104HalfELb1EEvPKvS3_PT_PKiS7_S7_iiiiiii,comdat
.Lfunc_end216:
	.size	_ZL8moe_q6_KIN3c104HalfELb1EEvPKvS3_PT_PKiS7_S7_iiiiiii, .Lfunc_end216-_ZL8moe_q6_KIN3c104HalfELb1EEvPKvS3_PT_PKiS7_S7_iiiiiii
                                        ; -- End function
	.section	.AMDGPU.csdata,"",@progbits
; Kernel info:
; codeLenInByte = 12300
; NumSgprs: 36
; NumVgprs: 167
; NumAgprs: 0
; TotalNumVgprs: 167
; ScratchSize: 0
; MemoryBound: 0
; FloatMode: 240
; IeeeMode: 1
; LDSByteSize: 37072 bytes/workgroup (compile time only)
; SGPRBlocks: 4
; VGPRBlocks: 20
; NumSGPRsForWavesPerEU: 36
; NumVGPRsForWavesPerEU: 167
; AccumOffset: 168
; Occupancy: 1
; WaveLimiterHint : 1
; COMPUTE_PGM_RSRC2:SCRATCH_EN: 0
; COMPUTE_PGM_RSRC2:USER_SGPR: 2
; COMPUTE_PGM_RSRC2:TRAP_HANDLER: 0
; COMPUTE_PGM_RSRC2:TGID_X_EN: 1
; COMPUTE_PGM_RSRC2:TGID_Y_EN: 1
; COMPUTE_PGM_RSRC2:TGID_Z_EN: 0
; COMPUTE_PGM_RSRC2:TIDIG_COMP_CNT: 1
; COMPUTE_PGM_RSRC3_GFX90A:ACCUM_OFFSET: 41
; COMPUTE_PGM_RSRC3_GFX90A:TG_SPLIT: 0
	.section	.text._ZL8moe_q4_0IN3c108BFloat16ELb0EEvPKvS3_PT_PKiS7_S7_iiiiiii,"axG",@progbits,_ZL8moe_q4_0IN3c108BFloat16ELb0EEvPKvS3_PT_PKiS7_S7_iiiiiii,comdat
	.globl	_ZL8moe_q4_0IN3c108BFloat16ELb0EEvPKvS3_PT_PKiS7_S7_iiiiiii ; -- Begin function _ZL8moe_q4_0IN3c108BFloat16ELb0EEvPKvS3_PT_PKiS7_S7_iiiiiii
	.p2align	8
	.type	_ZL8moe_q4_0IN3c108BFloat16ELb0EEvPKvS3_PT_PKiS7_S7_iiiiiii,@function
_ZL8moe_q4_0IN3c108BFloat16ELb0EEvPKvS3_PT_PKiS7_S7_iiiiiii: ; @_ZL8moe_q4_0IN3c108BFloat16ELb0EEvPKvS3_PT_PKiS7_S7_iiiiiii
; %bb.0:
	s_load_dwordx4 s[4:7], s[0:1], 0x18
	s_mov_b32 s8, s3
	s_mov_b32 s9, 0
	s_lshl_b64 s[10:11], s[8:9], 2
	s_waitcnt lgkmcnt(0)
	s_add_u32 s6, s6, s10
	s_addc_u32 s7, s7, s11
	s_load_dword s3, s[6:7], 0x0
	s_waitcnt lgkmcnt(0)
	s_cmpk_gt_u32 s3, 0xff
	s_cbranch_scc1 .LBB217_28
; %bb.1:
	s_load_dwordx2 s[6:7], s[0:1], 0x28
	s_waitcnt lgkmcnt(0)
	s_load_dword s7, s[6:7], 0x0
	s_lshl_b32 s6, s8, 3
	s_waitcnt lgkmcnt(0)
	s_cmp_gt_u32 s6, s7
	s_cbranch_scc1 .LBB217_28
; %bb.2:
	v_bfe_u32 v2, v0, 10, 10
	v_mov_b32_e32 v4, s4
	v_mov_b32_e32 v5, s5
	v_add_u32_e32 v62, s6, v2
	v_mov_b32_e32 v63, 0
	v_lshl_add_u64 v[4:5], v[62:63], 2, v[4:5]
	global_load_dword v1, v[4:5], off
	s_load_dwordx2 s[14:15], s[0:1], 0x30
	s_load_dwordx2 s[12:13], s[0:1], 0x10
	s_load_dwordx4 s[4:7], s[0:1], 0x3c
	s_lshl_b32 s22, s2, 7
	s_waitcnt lgkmcnt(0)
	s_cmp_lt_i32 s15, 32
	s_cbranch_scc1 .LBB217_18
; %bb.3:
	s_load_dwordx4 s[8:11], s[0:1], 0x0
	s_ashr_i32 s0, s15, 31
	s_ashr_i32 s1, s5, 31
	s_lshr_b32 s0, s0, 27
	s_lshr_b32 s1, s1, 27
	s_add_i32 s0, s15, s0
	s_add_i32 s1, s5, s1
	v_and_b32_e32 v24, 0x3ff, v0
	s_ashr_i32 s23, s0, 5
	s_ashr_i32 s5, s1, 5
	v_lshlrev_b32_e32 v3, 2, v24
	s_movk_i32 s1, 0x84
	v_mul_lo_u32 v9, s23, v2
	v_mad_u32_u24 v73, v2, s1, v3
	s_lshl_b32 s1, s23, 3
	v_add_u32_e32 v10, s1, v9
	v_add_u32_e32 v11, s1, v10
	;; [unrolled: 1-line block ×13, first 2 shown]
	v_lshlrev_b32_e32 v6, 2, v2
	v_lshrrev_b32_e32 v101, 3, v24
	v_add_u32_e32 v58, s1, v56
	v_and_b32_e32 v62, 7, v24
	v_add_u32_e32 v4, v101, v6
	v_add_u32_e32 v60, s1, v58
	v_and_b32_e32 v5, 0x1ffc, v4
	v_lshlrev_b32_e32 v7, 2, v62
	s_movk_i32 s1, 0x4200
	v_add3_u32 v72, v5, v7, s1
	v_add_u32_e32 v5, 32, v4
	v_mul_lo_u32 v63, s23, v4
	v_lshlrev_b32_e32 v74, 5, v4
	v_and_b32_e32 v25, 0x3ffc, v5
	v_lshlrev_b32_e32 v76, 5, v5
	v_add_u32_e32 v5, 64, v4
	v_add_u32_e32 v4, 0x60, v4
	v_mov_b32_e32 v23, 0
	v_add3_u32 v75, v25, v7, s1
	v_and_b32_e32 v25, 0x3ffc, v5
	v_lshlrev_b32_e32 v78, 5, v5
	v_and_b32_e32 v5, 0x3ffc, v4
	v_add3_u32 v79, v5, v7, s1
	v_lshlrev_b32_e32 v80, 5, v4
	v_and_b32_e32 v4, 28, v3
	v_mov_b32_e32 v5, v23
	v_and_b32_e32 v22, 12, v3
	v_add3_u32 v77, v25, v7, s1
	v_and_b32_e32 v7, 31, v24
	s_waitcnt lgkmcnt(0)
	v_lshl_add_u64 v[26:27], s[10:11], 0, v[4:5]
	v_lshlrev_b32_e32 v3, 7, v2
	v_mov_b32_e32 v5, 0x5680
	v_lshl_or_b32 v4, v7, 2, v3
	v_add_u32_e32 v104, 0x5280, v3
	v_lshl_add_u32 v105, v2, 4, v5
	v_and_b32_e32 v2, 0xfc, v24
	v_lshlrev_b32_e32 v3, 5, v24
	v_add_u32_e32 v102, 0x5280, v4
	v_or_b32_e32 v4, v6, v24
	v_add3_u32 v107, v3, v2, s1
	v_add_u32_e32 v2, 32, v24
	v_lshl_add_u32 v103, v4, 2, v5
	v_and_b32_e32 v3, 0x1fc, v2
	v_lshlrev_b32_e32 v4, 5, v2
	v_add3_u32 v108, v4, v3, s1
	v_add_u32_e32 v3, 64, v24
	s_mul_i32 s16, s3, s14
	v_and_b32_e32 v4, 0x1fc, v3
	v_lshlrev_b32_e32 v3, 5, v3
	s_abs_i32 s3, s7
	v_add3_u32 v109, v3, v4, s1
	v_cvt_f32_u32_e32 v4, s3
	v_add_u32_e32 v3, 0x60, v24
	v_and_b32_e32 v5, 0x1fc, v3
	v_lshlrev_b32_e32 v3, 5, v3
	v_add3_u32 v110, v3, v5, s1
	v_rcp_iflag_f32_e32 v3, v4
	s_andn2_b32 s0, s0, 31
	v_add_u32_e32 v66, s0, v63
	v_add_u32_e32 v68, s0, v66
	v_mul_f32_e32 v3, 0x4f7ffffe, v3
	v_cvt_u32_f32_e32 v3, v3
	v_add_u32_e32 v70, s0, v68
	s_sub_i32 s0, 0, s3
	s_waitcnt vmcnt(0)
	v_sub_u32_e32 v4, 0, v1
	v_mul_lo_u32 v5, s0, v3
	v_mul_hi_u32 v5, v3, v5
	v_max_i32_e32 v4, v1, v4
	v_add_u32_e32 v3, v3, v5
	v_mul_hi_u32 v3, v4, v3
	v_mul_lo_u32 v5, v3, s3
	v_sub_u32_e32 v4, v4, v5
	v_add_u32_e32 v5, 1, v3
	v_cmp_le_u32_e64 s[0:1], s3, v4
	v_lshrrev_b32_e32 v111, 3, v2
	v_xor_b32_e32 v2, s7, v1
	v_cndmask_b32_e64 v3, v3, v5, s[0:1]
	v_subrev_u32_e32 v5, s3, v4
	v_cndmask_b32_e64 v4, v4, v5, s[0:1]
	v_add_u32_e32 v5, 1, v3
	v_cmp_le_u32_e64 s[0:1], s3, v4
	v_ashrrev_i32_e32 v2, 31, v2
	s_mul_i32 s2, s23, s22
	v_cndmask_b32_e64 v3, v3, v5, s[0:1]
	v_xor_b32_e32 v3, v3, v2
	v_sub_u32_e32 v2, v3, v2
	v_cmp_gt_i32_e64 s[0:1], s4, v2
	v_mul_lo_u32 v2, v2, s5
	v_ashrrev_i32_e32 v3, 31, v2
	v_mov_b32_e32 v25, v23
	s_mul_hi_i32 s3, s2, 18
	s_mul_i32 s20, s2, 18
	v_lshrrev_b32_e32 v8, 2, v24
	v_lshl_add_u64 v[4:5], v[2:3], 0, v[24:25]
	v_add_u32_e32 v25, v24, v2
	v_add_u32_e32 v112, v111, v2
	;; [unrolled: 1-line block ×3, first 2 shown]
	v_mov_b32_e32 v2, s20
	v_mov_b32_e32 v3, s3
	v_mad_u64_u32 v[6:7], s[18:19], v4, 36, s[10:11]
	v_mad_u64_u32 v[2:3], s[20:21], v8, 18, v[2:3]
	v_mad_i32_i24 v7, v5, 36, v7
	v_mad_u64_u32 v[4:5], s[20:21], v9, 18, v[2:3]
	v_lshl_add_u64 v[4:5], v[4:5], 0, v[22:23]
	v_lshl_add_u64 v[4:5], v[4:5], 0, s[8:9]
	v_lshl_add_u64 v[30:31], v[4:5], 0, 2
	v_mad_u64_u32 v[4:5], s[20:21], v10, 18, v[2:3]
	v_lshl_add_u64 v[4:5], v[4:5], 0, v[22:23]
	v_lshl_add_u64 v[4:5], v[4:5], 0, s[8:9]
	v_lshl_add_u64 v[32:33], v[4:5], 0, 2
	;; [unrolled: 4-line block ×14, first 2 shown]
	v_mad_u64_u32 v[4:5], s[20:21], v58, 18, v[2:3]
	v_mad_u64_u32 v[2:3], s[20:21], v60, 18, v[2:3]
	v_lshl_add_u64 v[2:3], v[2:3], 0, v[22:23]
	v_lshl_add_u64 v[2:3], v[2:3], 0, s[8:9]
	;; [unrolled: 1-line block ×3, first 2 shown]
	v_mad_u64_u32 v[2:3], s[20:21], v63, 18, 0
	v_mad_i64_i32 v[2:3], s[20:21], s2, 18, v[2:3]
	v_mad_u64_u32 v[2:3], s[20:21], v62, 18, v[2:3]
	v_lshl_add_u64 v[64:65], s[8:9], 0, v[2:3]
	v_mad_u64_u32 v[2:3], s[20:21], v66, 18, 0
	v_mad_i64_i32 v[2:3], s[20:21], s2, 18, v[2:3]
	v_mad_u64_u32 v[2:3], s[20:21], v62, 18, v[2:3]
	v_lshl_add_u64 v[66:67], s[8:9], 0, v[2:3]
	;; [unrolled: 4-line block ×3, first 2 shown]
	v_mad_u64_u32 v[2:3], s[20:21], v70, 18, 0
	v_lshl_add_u64 v[4:5], v[4:5], 0, v[22:23]
	v_mad_i64_i32 v[2:3], s[2:3], s2, 18, v[2:3]
	v_mul_u32_u24_e32 v106, 0x84, v24
	s_mov_b64 s[18:19], 0x90
	v_lshl_add_u64 v[4:5], v[4:5], 0, s[8:9]
	v_mad_u64_u32 v[2:3], s[2:3], v62, 18, v[2:3]
	s_ashr_i32 s17, s16, 31
	s_mov_b32 s14, 0
	v_add_u32_e32 v86, 0x420, v73
	v_add_u32_e32 v87, 0x840, v73
	;; [unrolled: 1-line block ×15, first 2 shown]
	v_cmp_gt_u32_e32 vcc, 4, v24
	v_lshl_add_u64 v[28:29], v[6:7], 0, s[18:19]
	v_lshl_add_u64 v[58:59], v[4:5], 0, 2
	;; [unrolled: 1-line block ×3, first 2 shown]
	s_movk_i32 s24, 0x80
	v_add_u32_e32 v114, v72, v74
	v_add_u32_e32 v115, v75, v76
	;; [unrolled: 1-line block ×28, first 2 shown]
	s_mov_b64 s[8:9], 0x120
	v_mov_b32_e32 v22, v23
	v_mov_b32_e32 v62, v23
	;; [unrolled: 1-line block ×3, first 2 shown]
	s_branch .LBB217_6
.LBB217_4:                              ;   in Loop: Header=BB217_6 Depth=1
	s_or_b64 exec, exec, s[20:21]
	s_waitcnt lgkmcnt(0)
	s_barrier
	ds_read_b128 v[2:5], v105
	ds_read_b128 v[14:17], v104
	ds_read_b128 v[18:21], v104 offset:16
	ds_read2_b32 v[74:75], v106 offset0:16 offset1:17
	v_mov_b32_e32 v82, 0
	ds_read_b128 v[6:9], v104 offset:32
	ds_read_b128 v[10:13], v104 offset:48
	v_mov_b32_e32 v161, 0
	v_add_u32_e32 v142, 0x2140, v106
	s_waitcnt lgkmcnt(2)
	v_and_b32_e32 v76, 0xf0f0f0f, v74
	v_lshrrev_b32_e32 v74, 4, v74
	v_and_b32_e32 v74, 0xf0f0f0f, v74
	v_dot4c_i32_i8_e32 v82, v76, v14
	v_dot4c_i32_i8_e32 v82, v74, v18
	v_and_b32_e32 v74, 0xf0f0f0f, v75
	v_lshrrev_b32_e32 v75, 4, v75
	v_and_b32_e32 v76, 0xf0f0f0f, v75
	v_dot4c_i32_i8_e32 v82, v74, v15
	ds_read2_b32 v[74:75], v106 offset0:18 offset1:19
	v_dot4c_i32_i8_e32 v82, v76, v19
	ds_read2_b32 v[76:77], v106 offset0:20 offset1:21
	ds_read2_b32 v[78:79], v106 offset0:22 offset1:23
	;; [unrolled: 1-line block ×3, first 2 shown]
	v_add_u32_e32 v144, 0x2148, v106
	v_mov_b32_e32 v162, 0
	s_waitcnt lgkmcnt(3)
	v_and_b32_e32 v83, 0xf0f0f0f, v74
	v_dot4c_i32_i8_e32 v82, v83, v16
	v_add_u32_e32 v83, 0x10c0, v106
	ds_read2_b32 v[84:85], v83 offset1:1
	v_lshrrev_b32_e32 v74, 4, v74
	v_and_b32_e32 v74, 0xf0f0f0f, v74
	v_dot4c_i32_i8_e32 v82, v74, v20
	v_and_b32_e32 v74, 0xf0f0f0f, v75
	v_lshrrev_b32_e32 v75, 4, v75
	v_and_b32_e32 v75, 0xf0f0f0f, v75
	v_dot4c_i32_i8_e32 v82, v74, v17
	v_dot4c_i32_i8_e32 v82, v75, v21
	ds_read2_b32 v[74:75], v110 offset0:6 offset1:7
	s_waitcnt lgkmcnt(1)
	v_and_b32_e32 v83, 0xf0f0f0f, v84
	v_lshrrev_b32_e32 v84, 4, v84
	v_and_b32_e32 v84, 0xf0f0f0f, v84
	v_dot4c_i32_i8_e32 v161, v83, v14
	v_dot4c_i32_i8_e32 v161, v84, v18
	v_and_b32_e32 v83, 0xf0f0f0f, v85
	v_lshrrev_b32_e32 v84, 4, v85
	v_and_b32_e32 v84, 0xf0f0f0f, v84
	v_dot4c_i32_i8_e32 v161, v83, v15
	v_add_u32_e32 v83, 0x10c8, v106
	v_dot4c_i32_i8_e32 v161, v84, v19
	ds_read2_b32 v[84:85], v83 offset1:1
	v_add_u32_e32 v83, 0x31c0, v106
	ds_read2_b32 v[142:143], v142 offset1:1
	ds_read2_b32 v[144:145], v144 offset1:1
	;; [unrolled: 1-line block ×3, first 2 shown]
	v_mov_b32_e32 v163, 0
	v_mov_b32_e32 v164, 0
	s_waitcnt lgkmcnt(3)
	v_and_b32_e32 v83, 0xf0f0f0f, v84
	v_lshrrev_b32_e32 v84, 4, v84
	v_and_b32_e32 v84, 0xf0f0f0f, v84
	v_dot4c_i32_i8_e32 v161, v83, v16
	v_dot4c_i32_i8_e32 v161, v84, v20
	v_and_b32_e32 v83, 0xf0f0f0f, v85
	v_lshrrev_b32_e32 v84, 4, v85
	v_and_b32_e32 v84, 0xf0f0f0f, v84
	v_dot4c_i32_i8_e32 v161, v83, v17
	s_waitcnt lgkmcnt(2)
	v_lshrrev_b32_e32 v83, 4, v142
	v_dot4c_i32_i8_e32 v161, v84, v21
	v_and_b32_e32 v84, 0xf0f0f0f, v142
	v_and_b32_e32 v85, 0xf0f0f0f, v83
	v_mov_b32_e32 v83, 0
	v_dot4c_i32_i8_e32 v83, v84, v14
	v_dot4c_i32_i8_e32 v83, v85, v18
	v_and_b32_e32 v84, 0xf0f0f0f, v143
	v_lshrrev_b32_e32 v85, 4, v143
	v_and_b32_e32 v85, 0xf0f0f0f, v85
	v_dot4c_i32_i8_e32 v83, v84, v15
	v_dot4c_i32_i8_e32 v83, v85, v19
	s_waitcnt lgkmcnt(1)
	v_and_b32_e32 v84, 0xf0f0f0f, v144
	v_lshrrev_b32_e32 v85, 4, v144
	v_and_b32_e32 v85, 0xf0f0f0f, v85
	v_dot4c_i32_i8_e32 v83, v84, v16
	v_dot4c_i32_i8_e32 v83, v85, v20
	v_and_b32_e32 v84, 0xf0f0f0f, v145
	v_lshrrev_b32_e32 v85, 4, v145
	v_and_b32_e32 v85, 0xf0f0f0f, v85
	v_dot4c_i32_i8_e32 v83, v84, v17
	s_waitcnt lgkmcnt(0)
	v_lshrrev_b32_e32 v84, 4, v146
	v_dot4c_i32_i8_e32 v83, v85, v21
	v_and_b32_e32 v85, 0xf0f0f0f, v146
	v_and_b32_e32 v142, 0xf0f0f0f, v84
	v_mov_b32_e32 v84, 0
	v_dot4c_i32_i8_e32 v84, v85, v14
	v_dot4c_i32_i8_e32 v84, v142, v18
	v_and_b32_e32 v14, 0xf0f0f0f, v147
	v_dot4c_i32_i8_e32 v84, v14, v15
	v_add_u32_e32 v14, 0x31c8, v106
	ds_read2_b32 v[14:15], v14 offset1:1
	v_lshrrev_b32_e32 v18, 4, v147
	v_and_b32_e32 v18, 0xf0f0f0f, v18
	v_dot4c_i32_i8_e32 v84, v18, v19
	v_add_u32_e32 v18, 0x10d0, v106
	v_add_u32_e32 v85, 0x10d8, v106
	;; [unrolled: 1-line block ×3, first 2 shown]
	ds_read2_b32 v[18:19], v18 offset1:1
	ds_read2_b32 v[142:143], v85 offset1:1
	;; [unrolled: 1-line block ×3, first 2 shown]
	s_waitcnt lgkmcnt(3)
	v_and_b32_e32 v85, 0xf0f0f0f, v14
	v_lshrrev_b32_e32 v14, 4, v14
	v_and_b32_e32 v14, 0xf0f0f0f, v14
	v_dot4c_i32_i8_e32 v84, v85, v16
	v_dot4c_i32_i8_e32 v84, v14, v20
	v_and_b32_e32 v14, 0xf0f0f0f, v15
	v_lshrrev_b32_e32 v15, 4, v15
	v_and_b32_e32 v15, 0xf0f0f0f, v15
	v_dot4c_i32_i8_e32 v84, v14, v17
	v_cvt_f32_f16_sdwa v16, v3 dst_sel:DWORD dst_unused:UNUSED_PAD src0_sel:WORD_1
	v_dot4c_i32_i8_e32 v84, v15, v21
	v_cvt_f32_f16_e32 v14, v3
	v_and_b32_e32 v3, 0xf0f0f0f, v76
	v_lshrrev_b32_e32 v15, 4, v76
	v_mov_b32_e32 v17, 0
	v_and_b32_e32 v15, 0xf0f0f0f, v15
	v_dot4c_i32_i8_e32 v17, v3, v6
	v_dot4c_i32_i8_e32 v17, v15, v10
	v_and_b32_e32 v3, 0xf0f0f0f, v77
	v_lshrrev_b32_e32 v15, 4, v77
	v_and_b32_e32 v15, 0xf0f0f0f, v15
	v_dot4c_i32_i8_e32 v17, v3, v7
	v_dot4c_i32_i8_e32 v17, v15, v11
	v_and_b32_e32 v3, 0xf0f0f0f, v78
	v_lshrrev_b32_e32 v15, 4, v78
	;; [unrolled: 5-line block ×3, first 2 shown]
	v_and_b32_e32 v15, 0xf0f0f0f, v15
	v_dot4c_i32_i8_e32 v17, v3, v9
	v_dot4c_i32_i8_e32 v17, v15, v13
	s_waitcnt lgkmcnt(2)
	v_and_b32_e32 v3, 0xf0f0f0f, v18
	v_lshrrev_b32_e32 v15, 4, v18
	v_mov_b32_e32 v85, 0
	v_and_b32_e32 v15, 0xf0f0f0f, v15
	v_dot4c_i32_i8_e32 v85, v3, v6
	v_dot4c_i32_i8_e32 v85, v15, v10
	v_and_b32_e32 v3, 0xf0f0f0f, v19
	v_lshrrev_b32_e32 v15, 4, v19
	v_and_b32_e32 v15, 0xf0f0f0f, v15
	v_dot4c_i32_i8_e32 v85, v3, v7
	v_dot4c_i32_i8_e32 v85, v15, v11
	s_waitcnt lgkmcnt(1)
	v_and_b32_e32 v3, 0xf0f0f0f, v142
	v_lshrrev_b32_e32 v15, 4, v142
	v_and_b32_e32 v15, 0xf0f0f0f, v15
	v_dot4c_i32_i8_e32 v85, v3, v8
	v_dot4c_i32_i8_e32 v85, v15, v12
	v_and_b32_e32 v3, 0xf0f0f0f, v143
	v_lshrrev_b32_e32 v15, 4, v143
	v_and_b32_e32 v15, 0xf0f0f0f, v15
	v_dot4c_i32_i8_e32 v85, v3, v9
	v_dot4c_i32_i8_e32 v85, v15, v13
	s_waitcnt lgkmcnt(0)
	v_and_b32_e32 v3, 0xf0f0f0f, v144
	v_lshrrev_b32_e32 v15, 4, v144
	v_and_b32_e32 v15, 0xf0f0f0f, v15
	v_dot4c_i32_i8_e32 v162, v3, v6
	v_dot4c_i32_i8_e32 v162, v15, v10
	v_and_b32_e32 v3, 0xf0f0f0f, v145
	v_dot4c_i32_i8_e32 v162, v3, v7
	v_add_u32_e32 v3, 0x2158, v106
	ds_read2_b32 v[18:19], v3 offset1:1
	v_lshrrev_b32_e32 v15, 4, v145
	v_and_b32_e32 v15, 0xf0f0f0f, v15
	v_dot4c_i32_i8_e32 v162, v15, v11
	v_add_u32_e32 v15, 0x31d0, v106
	v_add_u32_e32 v76, 0x31d8, v106
	;; [unrolled: 1-line block ×3, first 2 shown]
	ds_read2_b32 v[20:21], v15 offset1:1
	ds_read2_b32 v[76:77], v76 offset1:1
	;; [unrolled: 1-line block ×3, first 2 shown]
	s_waitcnt lgkmcnt(3)
	v_and_b32_e32 v3, 0xf0f0f0f, v18
	v_lshrrev_b32_e32 v15, 4, v18
	v_and_b32_e32 v15, 0xf0f0f0f, v15
	v_dot4c_i32_i8_e32 v162, v3, v8
	v_dot4c_i32_i8_e32 v162, v15, v12
	v_and_b32_e32 v3, 0xf0f0f0f, v19
	v_lshrrev_b32_e32 v15, 4, v19
	v_and_b32_e32 v15, 0xf0f0f0f, v15
	v_dot4c_i32_i8_e32 v162, v3, v9
	v_dot4c_i32_i8_e32 v162, v15, v13
	s_waitcnt lgkmcnt(2)
	v_and_b32_e32 v3, 0xf0f0f0f, v20
	v_lshrrev_b32_e32 v15, 4, v20
	v_and_b32_e32 v15, 0xf0f0f0f, v15
	v_dot4c_i32_i8_e32 v163, v3, v6
	v_dot4c_i32_i8_e32 v163, v15, v10
	v_and_b32_e32 v3, 0xf0f0f0f, v21
	v_lshrrev_b32_e32 v6, 4, v21
	v_and_b32_e32 v6, 0xf0f0f0f, v6
	v_dot4c_i32_i8_e32 v163, v3, v7
	v_dot4c_i32_i8_e32 v163, v6, v11
	s_waitcnt lgkmcnt(1)
	v_and_b32_e32 v3, 0xf0f0f0f, v76
	v_lshrrev_b32_e32 v6, 4, v76
	v_and_b32_e32 v6, 0xf0f0f0f, v6
	v_dot4c_i32_i8_e32 v163, v3, v8
	v_dot4c_i32_i8_e32 v163, v6, v12
	v_and_b32_e32 v3, 0xf0f0f0f, v77
	v_dot4c_i32_i8_e32 v163, v3, v9
	v_cvt_f32_f16_sdwa v3, v4 dst_sel:DWORD dst_unused:UNUSED_PAD src0_sel:WORD_1
	ds_read_b128 v[142:145], v104 offset:64
	ds_read_b128 v[146:149], v104 offset:80
	v_lshrrev_b32_e32 v6, 4, v77
	v_and_b32_e32 v6, 0xf0f0f0f, v6
	ds_read2_b32 v[8:9], v109 offset0:4 offset1:5
	ds_read2_b32 v[18:19], v108 offset0:6 offset1:7
	;; [unrolled: 1-line block ×5, first 2 shown]
	v_dot4c_i32_i8_e32 v163, v6, v13
	v_mul_f32_e32 v6, 0x41000000, v3
	v_and_b32_e32 v3, 0xf0f0f0f, v80
	v_lshrrev_b32_e32 v7, 4, v80
	v_mov_b32_e32 v15, 0
	v_and_b32_e32 v7, 0xf0f0f0f, v7
	s_waitcnt lgkmcnt(6)
	v_dot4c_i32_i8_e32 v15, v3, v142
	s_waitcnt lgkmcnt(5)
	v_dot4c_i32_i8_e32 v15, v7, v146
	v_and_b32_e32 v3, 0xf0f0f0f, v81
	v_lshrrev_b32_e32 v7, 4, v81
	v_and_b32_e32 v7, 0xf0f0f0f, v7
	v_dot4c_i32_i8_e32 v15, v3, v143
	v_dot4c_i32_i8_e32 v15, v7, v147
	s_waitcnt lgkmcnt(0)
	v_and_b32_e32 v3, 0xf0f0f0f, v10
	v_lshrrev_b32_e32 v7, 4, v10
	v_and_b32_e32 v7, 0xf0f0f0f, v7
	v_dot4c_i32_i8_e32 v15, v3, v144
	v_dot4c_i32_i8_e32 v15, v7, v148
	v_and_b32_e32 v3, 0xf0f0f0f, v11
	v_lshrrev_b32_e32 v7, 4, v11
	v_and_b32_e32 v7, 0xf0f0f0f, v7
	v_dot4c_i32_i8_e32 v15, v3, v145
	v_dot4c_i32_i8_e32 v15, v7, v149
	;; [unrolled: 5-line block ×3, first 2 shown]
	v_and_b32_e32 v3, 0xf0f0f0f, v79
	v_dot4c_i32_i8_e32 v164, v3, v143
	v_add_u32_e32 v3, 0x10e8, v106
	ds_read2_b32 v[150:151], v106 offset0:28 offset1:29
	ds_read2_b32 v[152:153], v107 offset0:4 offset1:5
	;; [unrolled: 1-line block ×3, first 2 shown]
	ds_read2_b32 v[10:11], v3 offset1:1
	v_lshrrev_b32_e32 v7, 4, v79
	v_and_b32_e32 v7, 0xf0f0f0f, v7
	v_dot4c_i32_i8_e32 v164, v7, v147
	v_add_u32_e32 v7, 0x2160, v106
	v_add_u32_e32 v3, 0x31e0, v106
	;; [unrolled: 1-line block ×3, first 2 shown]
	ds_read2_b32 v[78:79], v7 offset1:1
	ds_read2_b32 v[80:81], v12 offset1:1
	;; [unrolled: 1-line block ×3, first 2 shown]
	s_waitcnt lgkmcnt(3)
	v_and_b32_e32 v3, 0xf0f0f0f, v10
	v_lshrrev_b32_e32 v7, 4, v10
	v_and_b32_e32 v7, 0xf0f0f0f, v7
	v_dot4c_i32_i8_e32 v164, v3, v144
	v_dot4c_i32_i8_e32 v164, v7, v148
	v_and_b32_e32 v3, 0xf0f0f0f, v11
	v_lshrrev_b32_e32 v7, 4, v11
	v_and_b32_e32 v7, 0xf0f0f0f, v7
	v_dot4c_i32_i8_e32 v164, v3, v145
	v_dot4c_i32_i8_e32 v164, v7, v149
	s_waitcnt lgkmcnt(2)
	v_and_b32_e32 v3, 0xf0f0f0f, v78
	v_lshrrev_b32_e32 v7, 4, v78
	v_mov_b32_e32 v165, 0
	v_and_b32_e32 v7, 0xf0f0f0f, v7
	v_dot4c_i32_i8_e32 v165, v3, v142
	v_dot4c_i32_i8_e32 v165, v7, v146
	v_and_b32_e32 v3, 0xf0f0f0f, v79
	v_lshrrev_b32_e32 v7, 4, v79
	v_and_b32_e32 v7, 0xf0f0f0f, v7
	v_dot4c_i32_i8_e32 v165, v3, v143
	v_dot4c_i32_i8_e32 v165, v7, v147
	s_waitcnt lgkmcnt(1)
	v_and_b32_e32 v3, 0xf0f0f0f, v80
	v_lshrrev_b32_e32 v7, 4, v80
	v_and_b32_e32 v7, 0xf0f0f0f, v7
	v_dot4c_i32_i8_e32 v165, v3, v144
	v_dot4c_i32_i8_e32 v165, v7, v148
	v_and_b32_e32 v3, 0xf0f0f0f, v81
	v_lshrrev_b32_e32 v7, 4, v81
	v_and_b32_e32 v7, 0xf0f0f0f, v7
	v_dot4c_i32_i8_e32 v165, v3, v145
	v_dot4c_i32_i8_e32 v165, v7, v149
	s_waitcnt lgkmcnt(0)
	v_and_b32_e32 v3, 0xf0f0f0f, v156
	v_lshrrev_b32_e32 v7, 4, v156
	v_mov_b32_e32 v166, 0
	v_and_b32_e32 v7, 0xf0f0f0f, v7
	v_dot4c_i32_i8_e32 v166, v3, v142
	v_dot4c_i32_i8_e32 v166, v7, v146
	v_and_b32_e32 v3, 0xf0f0f0f, v157
	v_dot4c_i32_i8_e32 v166, v3, v143
	v_add_u32_e32 v3, 0x31e8, v106
	ds_read2_b32 v[12:13], v110 offset0:4 offset1:5
	ds_read2_b32 v[10:11], v109 offset0:6 offset1:7
	ds_read2_b32 v[78:79], v3 offset1:1
	v_lshrrev_b32_e32 v7, 4, v157
	v_and_b32_e32 v7, 0xf0f0f0f, v7
	v_dot4c_i32_i8_e32 v166, v7, v147
	v_add_u32_e32 v7, 0x10f0, v106
	v_add_u32_e32 v3, 0x2170, v106
	;; [unrolled: 1-line block ×3, first 2 shown]
	ds_read2_b32 v[146:147], v7 offset1:1
	ds_read2_b32 v[156:157], v80 offset1:1
	;; [unrolled: 1-line block ×3, first 2 shown]
	s_waitcnt lgkmcnt(3)
	v_and_b32_e32 v3, 0xf0f0f0f, v78
	v_lshrrev_b32_e32 v7, 4, v78
	v_and_b32_e32 v7, 0xf0f0f0f, v7
	v_dot4c_i32_i8_e32 v166, v3, v144
	v_dot4c_i32_i8_e32 v166, v7, v148
	v_and_b32_e32 v3, 0xf0f0f0f, v79
	v_dot4c_i32_i8_e32 v166, v3, v145
	v_cvt_f32_f16_sdwa v3, v5 dst_sel:DWORD dst_unused:UNUSED_PAD src0_sel:WORD_1
	v_lshrrev_b32_e32 v7, 4, v79
	ds_read_b128 v[78:81], v104 offset:96
	ds_read_b128 v[142:145], v104 offset:112
	v_and_b32_e32 v7, 0xf0f0f0f, v7
	v_dot4c_i32_i8_e32 v166, v7, v149
	v_cvt_f32_f16_e32 v148, v5
	v_mul_f32_e32 v160, 0x41000000, v3
	v_and_b32_e32 v3, 0xf0f0f0f, v150
	v_lshrrev_b32_e32 v5, 4, v150
	v_mov_b32_e32 v7, 0
	v_and_b32_e32 v5, 0xf0f0f0f, v5
	s_waitcnt lgkmcnt(1)
	v_dot4c_i32_i8_e32 v7, v3, v78
	s_waitcnt lgkmcnt(0)
	v_dot4c_i32_i8_e32 v7, v5, v142
	v_and_b32_e32 v3, 0xf0f0f0f, v151
	v_lshrrev_b32_e32 v5, 4, v151
	v_and_b32_e32 v5, 0xf0f0f0f, v5
	v_dot4c_i32_i8_e32 v7, v3, v79
	v_dot4c_i32_i8_e32 v7, v5, v143
	v_and_b32_e32 v3, 0xf0f0f0f, v154
	v_lshrrev_b32_e32 v5, 4, v154
	v_and_b32_e32 v5, 0xf0f0f0f, v5
	v_dot4c_i32_i8_e32 v7, v3, v80
	;; [unrolled: 5-line block ×3, first 2 shown]
	v_dot4c_i32_i8_e32 v7, v5, v145
	v_and_b32_e32 v3, 0xf0f0f0f, v146
	v_lshrrev_b32_e32 v5, 4, v146
	v_mov_b32_e32 v149, 0
	v_cvt_f32_f16_sdwa v72, v2 dst_sel:DWORD dst_unused:UNUSED_PAD src0_sel:WORD_1
	v_and_b32_e32 v5, 0xf0f0f0f, v5
	v_dot4c_i32_i8_e32 v149, v3, v78
	v_cvt_f32_f16_e32 v2, v2
	v_dot4c_i32_i8_e32 v149, v5, v142
	v_and_b32_e32 v3, 0xf0f0f0f, v147
	v_lshrrev_b32_e32 v5, 4, v147
	v_cvt_f32_i32_e32 v147, v161
	v_cvt_f32_i32_e32 v146, v82
	v_and_b32_e32 v5, 0xf0f0f0f, v5
	v_dot4c_i32_i8_e32 v149, v3, v79
	v_dot4c_i32_i8_e32 v149, v5, v143
	v_and_b32_e32 v3, 0xf0f0f0f, v156
	v_mul_f32_e32 v72, 0x41000000, v72
	v_dot4c_i32_i8_e32 v149, v3, v80
	v_and_b32_e32 v3, 0xf0f0f0f, v157
	v_lshrrev_b32_e32 v5, 4, v156
	v_pk_fma_f32 v[146:147], v[2:3], v[146:147], v[72:73] op_sel_hi:[0,1,0] neg_lo:[0,0,1] neg_hi:[0,0,1]
	v_mov_b32_e32 v150, v152
	v_mov_b32_e32 v151, v76
	v_cvt_f32_i32_e32 v155, v85
	v_cvt_f32_i32_e32 v154, v17
	v_cvt_f32_f16_e32 v4, v4
	v_and_b32_e32 v5, 0xf0f0f0f, v5
	v_pk_fma_f32 v[22:23], v[150:151], v[146:147], v[22:23]
	v_cvt_f32_i32_e32 v147, v164
	v_cvt_f32_i32_e32 v146, v15
	v_dot4c_i32_i8_e32 v149, v5, v144
	v_lshrrev_b32_e32 v5, 4, v157
	v_mul_f32_e32 v16, 0x41000000, v16
	v_and_b32_e32 v5, 0xf0f0f0f, v5
	v_dot4c_i32_i8_e32 v149, v3, v81
	v_dot4c_i32_i8_e32 v149, v5, v145
	v_pk_fma_f32 v[150:151], v[14:15], v[154:155], v[16:17] op_sel_hi:[0,1,0] neg_lo:[0,0,1] neg_hi:[0,0,1]
	v_mov_b32_e32 v76, v153
	v_pk_fma_f32 v[22:23], v[76:77], v[150:151], v[22:23]
	v_pk_fma_f32 v[76:77], v[4:5], v[146:147], v[6:7] op_sel_hi:[0,1,0] neg_lo:[0,0,1] neg_hi:[0,0,1]
	v_cvt_f32_i32_e32 v147, v149
	v_cvt_f32_i32_e32 v146, v7
	v_and_b32_e32 v3, 0xf0f0f0f, v158
	v_lshrrev_b32_e32 v5, 4, v158
	v_mov_b32_e32 v17, 0
	v_and_b32_e32 v5, 0xf0f0f0f, v5
	v_dot4c_i32_i8_e32 v17, v3, v78
	v_mov_b32_e32 v150, v20
	v_mov_b32_e32 v151, v18
	v_dot4c_i32_i8_e32 v17, v5, v142
	v_and_b32_e32 v3, 0xf0f0f0f, v159
	v_pk_fma_f32 v[22:23], v[150:151], v[76:77], v[22:23]
	v_pk_fma_f32 v[76:77], v[148:149], v[146:147], v[160:161] op_sel_hi:[0,1,0] neg_lo:[0,0,1] neg_hi:[0,0,1]
	v_mov_b32_e32 v18, v21
	v_dot4c_i32_i8_e32 v17, v3, v79
	v_add_u32_e32 v3, 0x2178, v106
	v_pk_fma_f32 v[22:23], v[18:19], v[76:77], v[22:23]
	ds_read2_b32 v[18:19], v3 offset1:1
	v_lshrrev_b32_e32 v5, 4, v159
	v_and_b32_e32 v5, 0xf0f0f0f, v5
	v_dot4c_i32_i8_e32 v17, v5, v143
	v_add_u32_e32 v3, 0x31f0, v106
	v_add_u32_e32 v5, 0x31f8, v106
	ds_read2_b32 v[20:21], v3 offset1:1
	ds_read2_b32 v[76:77], v5 offset1:1
	s_waitcnt lgkmcnt(2)
	v_and_b32_e32 v3, 0xf0f0f0f, v18
	v_lshrrev_b32_e32 v5, 4, v18
	v_and_b32_e32 v5, 0xf0f0f0f, v5
	v_dot4c_i32_i8_e32 v17, v3, v80
	v_dot4c_i32_i8_e32 v17, v5, v144
	v_and_b32_e32 v3, 0xf0f0f0f, v19
	v_lshrrev_b32_e32 v5, 4, v19
	v_and_b32_e32 v5, 0xf0f0f0f, v5
	v_dot4c_i32_i8_e32 v17, v3, v81
	v_dot4c_i32_i8_e32 v17, v5, v145
	s_waitcnt lgkmcnt(1)
	v_and_b32_e32 v3, 0xf0f0f0f, v20
	v_lshrrev_b32_e32 v5, 4, v20
	v_mov_b32_e32 v7, 0
	v_and_b32_e32 v5, 0xf0f0f0f, v5
	v_dot4c_i32_i8_e32 v7, v3, v78
	v_dot4c_i32_i8_e32 v7, v5, v142
	v_and_b32_e32 v3, 0xf0f0f0f, v21
	v_lshrrev_b32_e32 v5, 4, v21
	v_and_b32_e32 v5, 0xf0f0f0f, v5
	v_dot4c_i32_i8_e32 v7, v3, v79
	v_cvt_f32_i32_e32 v19, v84
	v_cvt_f32_i32_e32 v18, v83
	v_dot4c_i32_i8_e32 v7, v5, v143
	s_waitcnt lgkmcnt(0)
	v_and_b32_e32 v3, 0xf0f0f0f, v76
	v_lshrrev_b32_e32 v5, 4, v76
	v_and_b32_e32 v5, 0xf0f0f0f, v5
	v_dot4c_i32_i8_e32 v7, v3, v80
	v_dot4c_i32_i8_e32 v7, v5, v144
	v_and_b32_e32 v3, 0xf0f0f0f, v77
	v_dot4c_i32_i8_e32 v7, v3, v81
	v_pk_fma_f32 v[2:3], v[2:3], v[18:19], v[72:73] op_sel_hi:[0,1,0] neg_lo:[0,0,1] neg_hi:[0,0,1]
	v_mov_b32_e32 v18, v8
	v_mov_b32_e32 v19, v12
	v_pk_fma_f32 v[2:3], v[18:19], v[2:3], v[62:63]
	v_cvt_f32_i32_e32 v19, v166
	v_cvt_f32_i32_e32 v18, v165
	v_lshrrev_b32_e32 v5, 4, v77
	v_and_b32_e32 v5, 0xf0f0f0f, v5
	v_cvt_f32_i32_e32 v21, v163
	v_cvt_f32_i32_e32 v20, v162
	v_dot4c_i32_i8_e32 v7, v5, v145
	v_mov_b32_e32 v12, v9
	v_mov_b32_e32 v8, v10
	v_pk_fma_f32 v[14:15], v[14:15], v[20:21], v[16:17] op_sel_hi:[0,1,0] neg_lo:[0,0,1] neg_hi:[0,0,1]
	v_pk_fma_f32 v[4:5], v[4:5], v[18:19], v[6:7] op_sel_hi:[0,1,0] neg_lo:[0,0,1] neg_hi:[0,0,1]
	v_cvt_f32_i32_e32 v7, v7
	v_cvt_f32_i32_e32 v6, v17
	v_pk_fma_f32 v[2:3], v[12:13], v[14:15], v[2:3]
	v_mov_b32_e32 v9, v74
	v_pk_fma_f32 v[2:3], v[8:9], v[4:5], v[2:3]
	v_pk_fma_f32 v[4:5], v[148:149], v[6:7], v[160:161] op_sel_hi:[0,1,0] neg_lo:[0,0,1] neg_hi:[0,0,1]
	v_mov_b32_e32 v74, v11
	v_pk_fma_f32 v[62:63], v[74:75], v[4:5], v[2:3]
	s_barrier
.LBB217_5:                              ;   in Loop: Header=BB217_6 Depth=1
	s_add_i32 s14, s14, 8
	s_addk_i32 s24, 0x100
	v_lshl_add_u64 v[28:29], v[28:29], 0, s[8:9]
	v_lshl_add_u64 v[30:31], v[30:31], 0, s[18:19]
	v_lshl_add_u64 v[32:33], v[32:33], 0, s[18:19]
	v_lshl_add_u64 v[34:35], v[34:35], 0, s[18:19]
	v_lshl_add_u64 v[36:37], v[36:37], 0, s[18:19]
	v_lshl_add_u64 v[38:39], v[38:39], 0, s[18:19]
	v_lshl_add_u64 v[40:41], v[40:41], 0, s[18:19]
	v_lshl_add_u64 v[42:43], v[42:43], 0, s[18:19]
	v_lshl_add_u64 v[44:45], v[44:45], 0, s[18:19]
	v_lshl_add_u64 v[46:47], v[46:47], 0, s[18:19]
	v_lshl_add_u64 v[48:49], v[48:49], 0, s[18:19]
	v_lshl_add_u64 v[50:51], v[50:51], 0, s[18:19]
	v_lshl_add_u64 v[52:53], v[52:53], 0, s[18:19]
	v_lshl_add_u64 v[54:55], v[54:55], 0, s[18:19]
	v_lshl_add_u64 v[56:57], v[56:57], 0, s[18:19]
	v_lshl_add_u64 v[58:59], v[58:59], 0, s[18:19]
	v_lshl_add_u64 v[60:61], v[60:61], 0, s[18:19]
	v_lshl_add_u64 v[64:65], v[64:65], 0, s[18:19]
	v_lshl_add_u64 v[66:67], v[66:67], 0, s[18:19]
	v_lshl_add_u64 v[68:69], v[68:69], 0, s[18:19]
	s_cmp_ge_i32 s14, s23
	v_lshl_add_u64 v[70:71], v[70:71], 0, s[18:19]
	s_cbranch_scc1 .LBB217_19
.LBB217_6:                              ; =>This Inner Loop Header: Depth=1
	v_lshl_add_u64 v[2:3], v[30:31], 0, s[16:17]
	global_load_dword v4, v[2:3], off
	v_lshl_add_u64 v[2:3], v[32:33], 0, s[16:17]
	global_load_dword v5, v[2:3], off
	;; [unrolled: 2-line block ×16, first 2 shown]
	v_lshl_add_u64 v[2:3], v[64:65], 0, s[16:17]
	global_load_ushort v20, v[2:3], off
	v_lshl_add_u64 v[2:3], v[66:67], 0, s[16:17]
	global_load_ushort v21, v[2:3], off
	;; [unrolled: 2-line block ×4, first 2 shown]
	s_add_i32 s2, s24, 0xffffff80
	s_cmp_lt_i32 s2, s15
	s_waitcnt vmcnt(19)
	ds_write_b32 v73, v4
	s_waitcnt vmcnt(18)
	ds_write_b32 v86, v5
	;; [unrolled: 2-line block ×16, first 2 shown]
	s_waitcnt vmcnt(3)
	v_cvt_f32_f16_e32 v3, v20
	s_waitcnt vmcnt(2)
	v_cvt_f32_f16_e32 v4, v21
	;; [unrolled: 2-line block ×4, first 2 shown]
	ds_write_b32 v114, v3
	ds_write_b32 v115, v4
	;; [unrolled: 1-line block ×4, first 2 shown]
	s_cbranch_scc0 .LBB217_5
; %bb.7:                                ;   in Loop: Header=BB217_6 Depth=1
	v_add_u32_e32 v2, s14, v101
	v_cmp_gt_i32_e64 s[2:3], s5, v2
	s_and_b64 s[20:21], s[0:1], s[2:3]
	s_and_saveexec_b64 s[2:3], s[20:21]
	s_cbranch_execz .LBB217_9
; %bb.8:                                ;   in Loop: Header=BB217_6 Depth=1
	v_add_u32_e32 v2, s14, v113
	v_mad_i64_i32 v[2:3], s[20:21], v2, 36, v[26:27]
	global_load_dword v2, v[2:3], off offset:4
	s_waitcnt vmcnt(0)
	ds_write_b32 v102, v2
.LBB217_9:                              ;   in Loop: Header=BB217_6 Depth=1
	s_or_b64 exec, exec, s[2:3]
	s_and_saveexec_b64 s[20:21], vcc
	s_cbranch_execz .LBB217_12
; %bb.10:                               ;   in Loop: Header=BB217_6 Depth=1
	v_add_u32_e32 v2, s14, v24
	v_cmp_gt_i32_e64 s[2:3], s5, v2
	s_and_b64 s[2:3], s[0:1], s[2:3]
	s_and_b64 exec, exec, s[2:3]
	s_cbranch_execz .LBB217_12
; %bb.11:                               ;   in Loop: Header=BB217_6 Depth=1
	v_add_u32_e32 v2, s14, v25
	v_mad_i64_i32 v[2:3], s[2:3], v2, 36, s[10:11]
	global_load_dword v2, v[2:3], off
	s_waitcnt vmcnt(0)
	ds_write_b32 v103, v2
.LBB217_12:                             ;   in Loop: Header=BB217_6 Depth=1
	s_or_b64 exec, exec, s[20:21]
	s_waitcnt lgkmcnt(0)
	s_barrier
	ds_read_b128 v[2:5], v105
	ds_read_b128 v[14:17], v104
	ds_read_b128 v[18:21], v104 offset:16
	ds_read2_b32 v[74:75], v106 offset1:1
	v_mov_b32_e32 v146, 0
	ds_read_b128 v[6:9], v104 offset:32
	ds_read_b128 v[10:13], v104 offset:48
	v_mov_b32_e32 v147, 0
	v_mov_b32_e32 v163, 0
	s_waitcnt lgkmcnt(2)
	v_and_b32_e32 v76, 0xf0f0f0f, v74
	v_lshrrev_b32_e32 v74, 4, v74
	v_and_b32_e32 v74, 0xf0f0f0f, v74
	v_dot4c_i32_i8_e32 v146, v76, v14
	v_dot4c_i32_i8_e32 v146, v74, v18
	v_and_b32_e32 v74, 0xf0f0f0f, v75
	v_lshrrev_b32_e32 v75, 4, v75
	v_and_b32_e32 v76, 0xf0f0f0f, v75
	v_dot4c_i32_i8_e32 v146, v74, v15
	ds_read2_b32 v[74:75], v106 offset0:2 offset1:3
	v_dot4c_i32_i8_e32 v146, v76, v19
	ds_read2_b32 v[78:79], v106 offset0:4 offset1:5
	ds_read2_b32 v[80:81], v106 offset0:6 offset1:7
	ds_read2_b32 v[82:83], v106 offset0:8 offset1:9
	v_mov_b32_e32 v165, 0
	v_cvt_f32_f16_e32 v162, v5
	s_waitcnt lgkmcnt(3)
	v_and_b32_e32 v76, 0xf0f0f0f, v74
	v_dot4c_i32_i8_e32 v146, v76, v16
	ds_read2_b32 v[76:77], v118 offset1:1
	v_lshrrev_b32_e32 v74, 4, v74
	v_and_b32_e32 v74, 0xf0f0f0f, v74
	v_dot4c_i32_i8_e32 v146, v74, v20
	v_and_b32_e32 v74, 0xf0f0f0f, v75
	v_lshrrev_b32_e32 v75, 4, v75
	v_and_b32_e32 v75, 0xf0f0f0f, v75
	v_dot4c_i32_i8_e32 v146, v74, v17
	v_dot4c_i32_i8_e32 v146, v75, v21
	ds_read2_b32 v[74:75], v110 offset0:2 offset1:3
	s_waitcnt lgkmcnt(1)
	v_and_b32_e32 v84, 0xf0f0f0f, v76
	v_lshrrev_b32_e32 v76, 4, v76
	v_and_b32_e32 v76, 0xf0f0f0f, v76
	v_dot4c_i32_i8_e32 v147, v84, v14
	v_dot4c_i32_i8_e32 v147, v76, v18
	v_and_b32_e32 v76, 0xf0f0f0f, v77
	v_lshrrev_b32_e32 v77, 4, v77
	v_and_b32_e32 v84, 0xf0f0f0f, v77
	v_dot4c_i32_i8_e32 v147, v76, v15
	ds_read2_b32 v[76:77], v119 offset1:1
	v_dot4c_i32_i8_e32 v147, v84, v19
	ds_read2_b32 v[84:85], v120 offset1:1
	ds_read2_b32 v[142:143], v121 offset1:1
	;; [unrolled: 1-line block ×3, first 2 shown]
	v_cvt_f32_f16_sdwa v72, v2 dst_sel:DWORD dst_unused:UNUSED_PAD src0_sel:WORD_1
	v_cvt_f32_f16_e32 v2, v2
	s_waitcnt lgkmcnt(3)
	v_and_b32_e32 v148, 0xf0f0f0f, v76
	v_lshrrev_b32_e32 v76, 4, v76
	v_and_b32_e32 v76, 0xf0f0f0f, v76
	v_dot4c_i32_i8_e32 v147, v148, v16
	v_dot4c_i32_i8_e32 v147, v76, v20
	v_and_b32_e32 v76, 0xf0f0f0f, v77
	v_lshrrev_b32_e32 v77, 4, v77
	v_and_b32_e32 v77, 0xf0f0f0f, v77
	v_dot4c_i32_i8_e32 v147, v76, v17
	v_dot4c_i32_i8_e32 v147, v77, v21
	v_cvt_f32_i32_e32 v76, v146
	s_waitcnt lgkmcnt(2)
	v_and_b32_e32 v146, 0xf0f0f0f, v84
	v_lshrrev_b32_e32 v84, 4, v84
	v_cvt_f32_i32_e32 v77, v147
	v_mov_b32_e32 v147, 0
	v_and_b32_e32 v84, 0xf0f0f0f, v84
	v_dot4c_i32_i8_e32 v147, v146, v14
	v_dot4c_i32_i8_e32 v147, v84, v18
	v_and_b32_e32 v84, 0xf0f0f0f, v85
	v_lshrrev_b32_e32 v85, 4, v85
	v_and_b32_e32 v85, 0xf0f0f0f, v85
	v_dot4c_i32_i8_e32 v147, v84, v15
	v_dot4c_i32_i8_e32 v147, v85, v19
	s_waitcnt lgkmcnt(1)
	v_and_b32_e32 v84, 0xf0f0f0f, v142
	v_lshrrev_b32_e32 v85, 4, v142
	v_and_b32_e32 v85, 0xf0f0f0f, v85
	v_dot4c_i32_i8_e32 v147, v84, v16
	v_dot4c_i32_i8_e32 v147, v85, v20
	v_and_b32_e32 v84, 0xf0f0f0f, v143
	v_lshrrev_b32_e32 v85, 4, v143
	v_and_b32_e32 v85, 0xf0f0f0f, v85
	v_dot4c_i32_i8_e32 v147, v84, v17
	v_dot4c_i32_i8_e32 v147, v85, v21
	s_waitcnt lgkmcnt(0)
	v_and_b32_e32 v84, 0xf0f0f0f, v144
	v_lshrrev_b32_e32 v85, 4, v144
	v_mov_b32_e32 v146, 0
	v_and_b32_e32 v85, 0xf0f0f0f, v85
	v_dot4c_i32_i8_e32 v146, v84, v14
	v_dot4c_i32_i8_e32 v146, v85, v18
	v_and_b32_e32 v14, 0xf0f0f0f, v145
	v_dot4c_i32_i8_e32 v146, v14, v15
	ds_read2_b32 v[14:15], v123 offset1:1
	v_lshrrev_b32_e32 v18, 4, v145
	v_and_b32_e32 v18, 0xf0f0f0f, v18
	v_dot4c_i32_i8_e32 v146, v18, v19
	ds_read2_b32 v[84:85], v124 offset1:1
	ds_read2_b32 v[142:143], v125 offset1:1
	;; [unrolled: 1-line block ×3, first 2 shown]
	s_waitcnt lgkmcnt(3)
	v_and_b32_e32 v18, 0xf0f0f0f, v14
	v_lshrrev_b32_e32 v14, 4, v14
	v_and_b32_e32 v14, 0xf0f0f0f, v14
	v_dot4c_i32_i8_e32 v146, v18, v16
	v_dot4c_i32_i8_e32 v146, v14, v20
	v_and_b32_e32 v14, 0xf0f0f0f, v15
	v_lshrrev_b32_e32 v15, 4, v15
	v_and_b32_e32 v15, 0xf0f0f0f, v15
	v_dot4c_i32_i8_e32 v146, v14, v17
	v_dot4c_i32_i8_e32 v146, v15, v21
	v_cvt_f32_f16_sdwa v15, v3 dst_sel:DWORD dst_unused:UNUSED_PAD src0_sel:WORD_1
	v_cvt_f32_f16_e32 v14, v3
	v_and_b32_e32 v3, 0xf0f0f0f, v78
	v_mov_b32_e32 v17, 0
	v_mul_f32_e32 v16, 0x41000000, v15
	v_lshrrev_b32_e32 v15, 4, v78
	v_and_b32_e32 v15, 0xf0f0f0f, v15
	v_dot4c_i32_i8_e32 v17, v3, v6
	v_dot4c_i32_i8_e32 v17, v15, v10
	v_and_b32_e32 v3, 0xf0f0f0f, v79
	v_lshrrev_b32_e32 v15, 4, v79
	v_and_b32_e32 v15, 0xf0f0f0f, v15
	v_dot4c_i32_i8_e32 v17, v3, v7
	v_dot4c_i32_i8_e32 v17, v15, v11
	v_and_b32_e32 v3, 0xf0f0f0f, v80
	;; [unrolled: 5-line block ×3, first 2 shown]
	v_lshrrev_b32_e32 v15, 4, v81
	v_and_b32_e32 v15, 0xf0f0f0f, v15
	v_dot4c_i32_i8_e32 v17, v3, v9
	v_dot4c_i32_i8_e32 v17, v15, v13
	s_waitcnt lgkmcnt(2)
	v_and_b32_e32 v3, 0xf0f0f0f, v84
	v_lshrrev_b32_e32 v15, 4, v84
	v_mov_b32_e32 v20, 0
	v_and_b32_e32 v15, 0xf0f0f0f, v15
	v_dot4c_i32_i8_e32 v20, v3, v6
	v_dot4c_i32_i8_e32 v20, v15, v10
	v_and_b32_e32 v3, 0xf0f0f0f, v85
	v_lshrrev_b32_e32 v15, 4, v85
	v_and_b32_e32 v15, 0xf0f0f0f, v15
	v_dot4c_i32_i8_e32 v20, v3, v7
	v_dot4c_i32_i8_e32 v20, v15, v11
	s_waitcnt lgkmcnt(1)
	v_and_b32_e32 v3, 0xf0f0f0f, v142
	v_lshrrev_b32_e32 v15, 4, v142
	v_and_b32_e32 v15, 0xf0f0f0f, v15
	v_dot4c_i32_i8_e32 v20, v3, v8
	v_dot4c_i32_i8_e32 v20, v15, v12
	v_and_b32_e32 v3, 0xf0f0f0f, v143
	v_lshrrev_b32_e32 v15, 4, v143
	v_and_b32_e32 v15, 0xf0f0f0f, v15
	v_dot4c_i32_i8_e32 v20, v3, v9
	v_dot4c_i32_i8_e32 v20, v15, v13
	ds_read2_b32 v[78:79], v127 offset1:1
	s_waitcnt lgkmcnt(1)
	v_and_b32_e32 v3, 0xf0f0f0f, v144
	v_lshrrev_b32_e32 v15, 4, v144
	v_cvt_f32_i32_e32 v21, v20
	v_cvt_f32_i32_e32 v20, v17
	v_mov_b32_e32 v17, 0
	v_and_b32_e32 v15, 0xf0f0f0f, v15
	v_dot4c_i32_i8_e32 v17, v3, v6
	v_dot4c_i32_i8_e32 v17, v15, v10
	v_and_b32_e32 v3, 0xf0f0f0f, v145
	v_lshrrev_b32_e32 v15, 4, v145
	v_and_b32_e32 v15, 0xf0f0f0f, v15
	v_dot4c_i32_i8_e32 v17, v3, v7
	v_dot4c_i32_i8_e32 v17, v15, v11
	s_waitcnt lgkmcnt(0)
	v_and_b32_e32 v3, 0xf0f0f0f, v78
	v_lshrrev_b32_e32 v15, 4, v78
	ds_read2_b32 v[80:81], v128 offset1:1
	ds_read2_b32 v[84:85], v129 offset1:1
	;; [unrolled: 1-line block ×3, first 2 shown]
	v_and_b32_e32 v15, 0xf0f0f0f, v15
	v_dot4c_i32_i8_e32 v17, v3, v8
	v_dot4c_i32_i8_e32 v17, v15, v12
	v_and_b32_e32 v3, 0xf0f0f0f, v79
	v_lshrrev_b32_e32 v15, 4, v79
	v_and_b32_e32 v15, 0xf0f0f0f, v15
	v_dot4c_i32_i8_e32 v17, v3, v9
	v_dot4c_i32_i8_e32 v17, v15, v13
	s_waitcnt lgkmcnt(2)
	v_and_b32_e32 v3, 0xf0f0f0f, v80
	v_lshrrev_b32_e32 v15, 4, v80
	v_mov_b32_e32 v78, 0
	v_and_b32_e32 v15, 0xf0f0f0f, v15
	v_dot4c_i32_i8_e32 v78, v3, v6
	v_dot4c_i32_i8_e32 v78, v15, v10
	v_and_b32_e32 v3, 0xf0f0f0f, v81
	v_lshrrev_b32_e32 v6, 4, v81
	v_and_b32_e32 v6, 0xf0f0f0f, v6
	v_dot4c_i32_i8_e32 v78, v3, v7
	v_dot4c_i32_i8_e32 v78, v6, v11
	s_waitcnt lgkmcnt(1)
	v_and_b32_e32 v3, 0xf0f0f0f, v84
	v_lshrrev_b32_e32 v6, 4, v84
	v_and_b32_e32 v6, 0xf0f0f0f, v6
	v_dot4c_i32_i8_e32 v78, v3, v8
	v_dot4c_i32_i8_e32 v78, v6, v12
	v_and_b32_e32 v3, 0xf0f0f0f, v85
	v_lshrrev_b32_e32 v6, 4, v85
	v_dot4c_i32_i8_e32 v78, v3, v9
	v_cvt_f32_f16_sdwa v3, v4 dst_sel:DWORD dst_unused:UNUSED_PAD src0_sel:WORD_1
	v_cvt_f32_i32_e32 v19, v146
	v_cvt_f32_i32_e32 v18, v147
	v_and_b32_e32 v6, 0xf0f0f0f, v6
	ds_read_b128 v[142:145], v104 offset:64
	ds_read_b128 v[146:149], v104 offset:80
	v_dot4c_i32_i8_e32 v78, v6, v13
	v_mul_f32_e32 v8, 0x41000000, v3
	v_and_b32_e32 v3, 0xf0f0f0f, v82
	v_lshrrev_b32_e32 v9, 4, v82
	v_cvt_f32_i32_e32 v7, v78
	ds_read2_b32 v[10:11], v109 offset1:1
	ds_read2_b32 v[78:79], v108 offset0:2 offset1:3
	ds_read2_b32 v[84:85], v108 offset1:1
	ds_read2_b32 v[80:81], v107 offset0:2 offset1:3
	ds_read2_b32 v[12:13], v106 offset0:10 offset1:11
	v_mov_b32_e32 v15, 0
	v_and_b32_e32 v9, 0xf0f0f0f, v9
	s_waitcnt lgkmcnt(6)
	v_dot4c_i32_i8_e32 v15, v3, v142
	s_waitcnt lgkmcnt(5)
	v_dot4c_i32_i8_e32 v15, v9, v146
	v_and_b32_e32 v3, 0xf0f0f0f, v83
	v_lshrrev_b32_e32 v9, 4, v83
	v_and_b32_e32 v9, 0xf0f0f0f, v9
	v_dot4c_i32_i8_e32 v15, v3, v143
	v_dot4c_i32_i8_e32 v15, v9, v147
	s_waitcnt lgkmcnt(0)
	v_and_b32_e32 v3, 0xf0f0f0f, v12
	v_lshrrev_b32_e32 v9, 4, v12
	v_and_b32_e32 v9, 0xf0f0f0f, v9
	v_dot4c_i32_i8_e32 v15, v3, v144
	v_dot4c_i32_i8_e32 v15, v9, v148
	v_and_b32_e32 v3, 0xf0f0f0f, v13
	v_lshrrev_b32_e32 v9, 4, v13
	ds_read2_b32 v[152:153], v106 offset0:12 offset1:13
	ds_read2_b32 v[154:155], v107 offset1:1
	ds_read2_b32 v[156:157], v106 offset0:14 offset1:15
	v_and_b32_e32 v9, 0xf0f0f0f, v9
	v_dot4c_i32_i8_e32 v15, v3, v145
	ds_read2_b32 v[12:13], v131 offset1:1
	v_cvt_f32_i32_e32 v6, v17
	v_dot4c_i32_i8_e32 v15, v9, v149
	v_and_b32_e32 v3, 0xf0f0f0f, v150
	v_lshrrev_b32_e32 v9, 4, v150
	v_mov_b32_e32 v17, 0
	v_and_b32_e32 v9, 0xf0f0f0f, v9
	v_dot4c_i32_i8_e32 v17, v3, v142
	v_dot4c_i32_i8_e32 v17, v9, v146
	v_and_b32_e32 v3, 0xf0f0f0f, v151
	v_lshrrev_b32_e32 v9, 4, v151
	v_and_b32_e32 v9, 0xf0f0f0f, v9
	v_dot4c_i32_i8_e32 v17, v3, v143
	v_dot4c_i32_i8_e32 v17, v9, v147
	s_waitcnt lgkmcnt(0)
	v_and_b32_e32 v3, 0xf0f0f0f, v12
	v_lshrrev_b32_e32 v9, 4, v12
	ds_read2_b32 v[150:151], v132 offset1:1
	ds_read2_b32 v[158:159], v133 offset1:1
	ds_read2_b32 v[160:161], v134 offset1:1
	v_and_b32_e32 v9, 0xf0f0f0f, v9
	v_dot4c_i32_i8_e32 v17, v3, v144
	v_dot4c_i32_i8_e32 v17, v9, v148
	v_and_b32_e32 v3, 0xf0f0f0f, v13
	v_lshrrev_b32_e32 v9, 4, v13
	v_and_b32_e32 v9, 0xf0f0f0f, v9
	v_dot4c_i32_i8_e32 v17, v3, v145
	v_dot4c_i32_i8_e32 v17, v9, v149
	s_waitcnt lgkmcnt(2)
	v_and_b32_e32 v3, 0xf0f0f0f, v150
	v_lshrrev_b32_e32 v9, 4, v150
	v_and_b32_e32 v9, 0xf0f0f0f, v9
	v_dot4c_i32_i8_e32 v163, v3, v142
	v_dot4c_i32_i8_e32 v163, v9, v146
	v_and_b32_e32 v3, 0xf0f0f0f, v151
	v_lshrrev_b32_e32 v9, 4, v151
	v_and_b32_e32 v9, 0xf0f0f0f, v9
	v_dot4c_i32_i8_e32 v163, v3, v143
	v_dot4c_i32_i8_e32 v163, v9, v147
	s_waitcnt lgkmcnt(1)
	v_and_b32_e32 v3, 0xf0f0f0f, v158
	v_lshrrev_b32_e32 v9, 4, v158
	;; [unrolled: 11-line block ×3, first 2 shown]
	v_and_b32_e32 v9, 0xf0f0f0f, v9
	v_dot4c_i32_i8_e32 v165, v3, v142
	v_dot4c_i32_i8_e32 v165, v9, v146
	v_and_b32_e32 v3, 0xf0f0f0f, v161
	ds_read2_b32 v[82:83], v110 offset1:1
	ds_read2_b32 v[12:13], v109 offset0:2 offset1:3
	v_dot4c_i32_i8_e32 v165, v3, v143
	ds_read2_b32 v[142:143], v135 offset1:1
	v_lshrrev_b32_e32 v9, 4, v161
	v_and_b32_e32 v9, 0xf0f0f0f, v9
	v_dot4c_i32_i8_e32 v165, v9, v147
	ds_read2_b32 v[150:151], v136 offset1:1
	ds_read2_b32 v[158:159], v137 offset1:1
	ds_read2_b32 v[160:161], v138 offset1:1
	s_waitcnt lgkmcnt(3)
	v_and_b32_e32 v3, 0xf0f0f0f, v142
	v_lshrrev_b32_e32 v9, 4, v142
	v_and_b32_e32 v9, 0xf0f0f0f, v9
	v_dot4c_i32_i8_e32 v165, v3, v144
	v_dot4c_i32_i8_e32 v165, v9, v148
	v_and_b32_e32 v3, 0xf0f0f0f, v143
	v_lshrrev_b32_e32 v9, 4, v143
	v_and_b32_e32 v9, 0xf0f0f0f, v9
	v_dot4c_i32_i8_e32 v165, v3, v145
	v_cvt_f32_f16_sdwa v3, v5 dst_sel:DWORD dst_unused:UNUSED_PAD src0_sel:WORD_1
	v_dot4c_i32_i8_e32 v165, v9, v149
	ds_read_b128 v[142:145], v104 offset:96
	ds_read_b128 v[146:149], v104 offset:112
	v_lshrrev_b32_e32 v5, 4, v152
	v_mul_f32_e32 v164, 0x41000000, v3
	v_and_b32_e32 v3, 0xf0f0f0f, v152
	v_mov_b32_e32 v9, 0
	v_and_b32_e32 v5, 0xf0f0f0f, v5
	s_waitcnt lgkmcnt(1)
	v_dot4c_i32_i8_e32 v9, v3, v142
	s_waitcnt lgkmcnt(0)
	v_dot4c_i32_i8_e32 v9, v5, v146
	v_and_b32_e32 v3, 0xf0f0f0f, v153
	v_lshrrev_b32_e32 v5, 4, v153
	v_and_b32_e32 v5, 0xf0f0f0f, v5
	v_dot4c_i32_i8_e32 v9, v3, v143
	v_dot4c_i32_i8_e32 v9, v5, v147
	v_and_b32_e32 v3, 0xf0f0f0f, v156
	v_lshrrev_b32_e32 v5, 4, v156
	v_and_b32_e32 v5, 0xf0f0f0f, v5
	v_dot4c_i32_i8_e32 v9, v3, v144
	;; [unrolled: 5-line block ×3, first 2 shown]
	v_dot4c_i32_i8_e32 v9, v5, v149
	v_and_b32_e32 v3, 0xf0f0f0f, v150
	v_lshrrev_b32_e32 v5, 4, v150
	v_mov_b32_e32 v152, 0
	v_and_b32_e32 v5, 0xf0f0f0f, v5
	v_dot4c_i32_i8_e32 v152, v3, v142
	v_dot4c_i32_i8_e32 v152, v5, v146
	v_and_b32_e32 v3, 0xf0f0f0f, v151
	v_lshrrev_b32_e32 v5, 4, v151
	v_and_b32_e32 v5, 0xf0f0f0f, v5
	v_dot4c_i32_i8_e32 v152, v3, v143
	v_dot4c_i32_i8_e32 v152, v5, v147
	v_and_b32_e32 v3, 0xf0f0f0f, v158
	v_mul_f32_e32 v72, 0x41000000, v72
	v_dot4c_i32_i8_e32 v152, v3, v144
	v_and_b32_e32 v3, 0xf0f0f0f, v159
	v_lshrrev_b32_e32 v5, 4, v158
	v_pk_fma_f32 v[76:77], v[2:3], v[76:77], v[72:73] op_sel_hi:[0,1,0] neg_lo:[0,0,1] neg_hi:[0,0,1]
	v_mov_b32_e32 v150, v154
	v_mov_b32_e32 v151, v84
	v_cvt_f32_f16_e32 v4, v4
	v_and_b32_e32 v5, 0xf0f0f0f, v5
	v_pk_fma_f32 v[22:23], v[150:151], v[76:77], v[22:23]
	v_cvt_f32_i32_e32 v77, v17
	v_cvt_f32_i32_e32 v76, v15
	v_dot4c_i32_i8_e32 v152, v5, v148
	v_lshrrev_b32_e32 v5, 4, v159
	v_and_b32_e32 v5, 0xf0f0f0f, v5
	v_dot4c_i32_i8_e32 v152, v3, v145
	v_dot4c_i32_i8_e32 v152, v5, v149
	v_pk_fma_f32 v[20:21], v[14:15], v[20:21], v[16:17] op_sel_hi:[0,1,0] neg_lo:[0,0,1] neg_hi:[0,0,1]
	v_mov_b32_e32 v84, v155
	v_pk_fma_f32 v[20:21], v[84:85], v[20:21], v[22:23]
	v_pk_fma_f32 v[22:23], v[4:5], v[76:77], v[8:9] op_sel_hi:[0,1,0] neg_lo:[0,0,1] neg_hi:[0,0,1]
	v_cvt_f32_i32_e32 v77, v152
	v_cvt_f32_i32_e32 v76, v9
	v_mov_b32_e32 v84, v80
	v_mov_b32_e32 v85, v78
	v_pk_fma_f32 v[20:21], v[84:85], v[22:23], v[20:21]
	v_pk_fma_f32 v[22:23], v[162:163], v[76:77], v[164:165] op_sel_hi:[0,1,0] neg_lo:[0,0,1] neg_hi:[0,0,1]
	v_mov_b32_e32 v78, v81
	v_pk_fma_f32 v[22:23], v[78:79], v[22:23], v[20:21]
	ds_read2_b32 v[20:21], v139 offset1:1
	v_and_b32_e32 v3, 0xf0f0f0f, v160
	v_lshrrev_b32_e32 v5, 4, v160
	v_mov_b32_e32 v9, 0
	v_and_b32_e32 v5, 0xf0f0f0f, v5
	v_dot4c_i32_i8_e32 v9, v3, v142
	v_dot4c_i32_i8_e32 v9, v5, v146
	v_and_b32_e32 v3, 0xf0f0f0f, v161
	v_lshrrev_b32_e32 v5, 4, v161
	v_and_b32_e32 v5, 0xf0f0f0f, v5
	v_dot4c_i32_i8_e32 v9, v3, v143
	v_dot4c_i32_i8_e32 v9, v5, v147
	ds_read2_b32 v[76:77], v140 offset1:1
	ds_read2_b32 v[78:79], v141 offset1:1
	s_waitcnt lgkmcnt(2)
	v_and_b32_e32 v3, 0xf0f0f0f, v20
	v_lshrrev_b32_e32 v5, 4, v20
	v_and_b32_e32 v5, 0xf0f0f0f, v5
	v_dot4c_i32_i8_e32 v9, v3, v144
	v_dot4c_i32_i8_e32 v9, v5, v148
	v_and_b32_e32 v3, 0xf0f0f0f, v21
	v_lshrrev_b32_e32 v5, 4, v21
	v_and_b32_e32 v5, 0xf0f0f0f, v5
	v_dot4c_i32_i8_e32 v9, v3, v145
	v_dot4c_i32_i8_e32 v9, v5, v149
	s_waitcnt lgkmcnt(1)
	v_and_b32_e32 v3, 0xf0f0f0f, v76
	v_lshrrev_b32_e32 v5, 4, v76
	v_mov_b32_e32 v15, 0
	v_and_b32_e32 v5, 0xf0f0f0f, v5
	v_dot4c_i32_i8_e32 v15, v3, v142
	v_dot4c_i32_i8_e32 v15, v5, v146
	v_and_b32_e32 v3, 0xf0f0f0f, v77
	v_lshrrev_b32_e32 v5, 4, v77
	v_and_b32_e32 v5, 0xf0f0f0f, v5
	v_dot4c_i32_i8_e32 v15, v3, v143
	v_dot4c_i32_i8_e32 v15, v5, v147
	s_waitcnt lgkmcnt(0)
	v_and_b32_e32 v3, 0xf0f0f0f, v78
	v_lshrrev_b32_e32 v5, 4, v78
	v_and_b32_e32 v5, 0xf0f0f0f, v5
	v_dot4c_i32_i8_e32 v15, v3, v144
	v_dot4c_i32_i8_e32 v15, v5, v148
	v_and_b32_e32 v3, 0xf0f0f0f, v79
	v_lshrrev_b32_e32 v5, 4, v79
	v_and_b32_e32 v5, 0xf0f0f0f, v5
	v_dot4c_i32_i8_e32 v15, v3, v145
	v_dot4c_i32_i8_e32 v15, v5, v149
	v_pk_fma_f32 v[2:3], v[2:3], v[18:19], v[72:73] op_sel_hi:[0,1,0] neg_lo:[0,0,1] neg_hi:[0,0,1]
	v_mov_b32_e32 v18, v10
	v_mov_b32_e32 v19, v82
	v_pk_fma_f32 v[2:3], v[18:19], v[2:3], v[62:63]
	v_cvt_f32_i32_e32 v19, v165
	v_cvt_f32_i32_e32 v18, v163
	v_pk_fma_f32 v[6:7], v[14:15], v[6:7], v[16:17] op_sel_hi:[0,1,0] neg_lo:[0,0,1] neg_hi:[0,0,1]
	v_mov_b32_e32 v82, v11
	v_pk_fma_f32 v[2:3], v[82:83], v[6:7], v[2:3]
	v_cvt_f32_i32_e32 v7, v15
	v_cvt_f32_i32_e32 v6, v9
	v_pk_fma_f32 v[4:5], v[4:5], v[18:19], v[8:9] op_sel_hi:[0,1,0] neg_lo:[0,0,1] neg_hi:[0,0,1]
	v_mov_b32_e32 v8, v12
	v_mov_b32_e32 v9, v74
	v_pk_fma_f32 v[2:3], v[8:9], v[4:5], v[2:3]
	v_pk_fma_f32 v[4:5], v[162:163], v[6:7], v[164:165] op_sel_hi:[0,1,0] neg_lo:[0,0,1] neg_hi:[0,0,1]
	v_mov_b32_e32 v74, v13
	v_pk_fma_f32 v[62:63], v[74:75], v[4:5], v[2:3]
	s_cmp_ge_i32 s24, s15
	s_barrier
	s_cbranch_scc1 .LBB217_5
; %bb.13:                               ;   in Loop: Header=BB217_6 Depth=1
	v_add_u32_e32 v2, s14, v111
	v_cmp_gt_i32_e64 s[2:3], s5, v2
	s_and_b64 s[20:21], s[0:1], s[2:3]
	s_and_saveexec_b64 s[2:3], s[20:21]
	s_cbranch_execz .LBB217_15
; %bb.14:                               ;   in Loop: Header=BB217_6 Depth=1
	v_add_u32_e32 v2, s14, v112
	v_mad_i64_i32 v[2:3], s[20:21], v2, 36, v[26:27]
	global_load_dword v2, v[2:3], off offset:4
	s_waitcnt vmcnt(0)
	ds_write_b32 v102, v2
.LBB217_15:                             ;   in Loop: Header=BB217_6 Depth=1
	s_or_b64 exec, exec, s[2:3]
	s_and_saveexec_b64 s[20:21], vcc
	s_cbranch_execz .LBB217_4
; %bb.16:                               ;   in Loop: Header=BB217_6 Depth=1
	v_add3_u32 v2, v24, s14, 4
	v_cmp_gt_i32_e64 s[2:3], s5, v2
	s_and_b64 s[2:3], s[0:1], s[2:3]
	s_and_b64 exec, exec, s[2:3]
	s_cbranch_execz .LBB217_4
; %bb.17:                               ;   in Loop: Header=BB217_6 Depth=1
	global_load_dword v2, v[28:29], off
	s_waitcnt vmcnt(0)
	ds_write_b32 v103, v2
	s_branch .LBB217_4
.LBB217_18:
	v_mov_b32_e32 v62, v63
	v_mov_b32_e32 v23, v63
	;; [unrolled: 1-line block ×3, first 2 shown]
.LBB217_19:
	s_mul_i32 s0, s7, s4
	s_waitcnt vmcnt(0)
	v_cmp_gt_i32_e32 vcc, s0, v1
	s_and_saveexec_b64 s[0:1], vcc
	s_cbranch_execz .LBB217_28
; %bb.20:
	v_and_b32_e32 v0, 0x3ff, v0
	v_add_u32_e32 v2, s22, v0
	v_mul_lo_u32 v0, v1, s6
	v_cmp_gt_u32_e32 vcc, s6, v2
	s_and_saveexec_b64 s[0:1], vcc
	s_cbranch_execz .LBB217_22
; %bb.21:
	v_bfe_u32 v1, v22, 16, 1
	s_movk_i32 s2, 0x7fff
	v_add3_u32 v1, v22, v1, s2
	v_lshrrev_b32_e32 v1, 16, v1
	v_mov_b32_e32 v3, 0x7fc0
	v_cmp_o_f32_e32 vcc, v22, v22
	v_add_u32_e32 v4, v0, v2
	v_mov_b32_e32 v5, 0
	v_cndmask_b32_e32 v1, v3, v1, vcc
	v_lshl_add_u64 v[4:5], v[4:5], 1, s[12:13]
	global_store_short v[4:5], v1, off
.LBB217_22:
	s_or_b64 exec, exec, s[0:1]
	v_add_u32_e32 v1, 32, v2
	v_cmp_gt_u32_e32 vcc, s6, v1
	s_and_saveexec_b64 s[0:1], vcc
	s_cbranch_execz .LBB217_24
; %bb.23:
	v_bfe_u32 v3, v23, 16, 1
	s_movk_i32 s2, 0x7fff
	v_add3_u32 v3, v23, v3, s2
	v_lshrrev_b32_e32 v3, 16, v3
	v_mov_b32_e32 v4, 0x7fc0
	v_cmp_o_f32_e32 vcc, v23, v23
	v_mov_b32_e32 v5, 0
	s_nop 0
	v_cndmask_b32_e32 v3, v4, v3, vcc
	v_add_u32_e32 v4, v0, v1
	v_lshl_add_u64 v[4:5], v[4:5], 1, s[12:13]
	global_store_short v[4:5], v3, off
.LBB217_24:
	s_or_b64 exec, exec, s[0:1]
	v_add_u32_e32 v1, 64, v2
	v_cmp_gt_u32_e32 vcc, s6, v1
	s_and_saveexec_b64 s[0:1], vcc
	s_cbranch_execz .LBB217_26
; %bb.25:
	v_bfe_u32 v3, v62, 16, 1
	s_movk_i32 s2, 0x7fff
	v_add3_u32 v3, v62, v3, s2
	v_lshrrev_b32_e32 v3, 16, v3
	v_mov_b32_e32 v4, 0x7fc0
	v_cmp_o_f32_e32 vcc, v62, v62
	v_mov_b32_e32 v5, 0
	s_nop 0
	v_cndmask_b32_e32 v3, v4, v3, vcc
	v_add_u32_e32 v4, v0, v1
	v_lshl_add_u64 v[4:5], v[4:5], 1, s[12:13]
	global_store_short v[4:5], v3, off
.LBB217_26:
	s_or_b64 exec, exec, s[0:1]
	v_add_u32_e32 v1, 0x60, v2
	v_cmp_gt_u32_e32 vcc, s6, v1
	s_and_b64 exec, exec, vcc
	s_cbranch_execz .LBB217_28
; %bb.27:
	v_bfe_u32 v2, v63, 16, 1
	s_movk_i32 s0, 0x7fff
	v_add3_u32 v2, v63, v2, s0
	v_lshrrev_b32_e32 v2, 16, v2
	v_mov_b32_e32 v3, 0x7fc0
	v_cmp_o_f32_e32 vcc, v63, v63
	v_add_u32_e32 v0, v0, v1
	v_mov_b32_e32 v1, 0
	v_cndmask_b32_e32 v2, v3, v2, vcc
	v_lshl_add_u64 v[0:1], v[0:1], 1, s[12:13]
	global_store_short v[0:1], v2, off
.LBB217_28:
	s_endpgm
	.section	.rodata,"a",@progbits
	.p2align	6, 0x0
	.amdhsa_kernel _ZL8moe_q4_0IN3c108BFloat16ELb0EEvPKvS3_PT_PKiS7_S7_iiiiiii
		.amdhsa_group_segment_fixed_size 22272
		.amdhsa_private_segment_fixed_size 0
		.amdhsa_kernarg_size 76
		.amdhsa_user_sgpr_count 2
		.amdhsa_user_sgpr_dispatch_ptr 0
		.amdhsa_user_sgpr_queue_ptr 0
		.amdhsa_user_sgpr_kernarg_segment_ptr 1
		.amdhsa_user_sgpr_dispatch_id 0
		.amdhsa_user_sgpr_kernarg_preload_length 0
		.amdhsa_user_sgpr_kernarg_preload_offset 0
		.amdhsa_user_sgpr_private_segment_size 0
		.amdhsa_uses_dynamic_stack 0
		.amdhsa_enable_private_segment 0
		.amdhsa_system_sgpr_workgroup_id_x 1
		.amdhsa_system_sgpr_workgroup_id_y 1
		.amdhsa_system_sgpr_workgroup_id_z 0
		.amdhsa_system_sgpr_workgroup_info 0
		.amdhsa_system_vgpr_workitem_id 1
		.amdhsa_next_free_vgpr 167
		.amdhsa_next_free_sgpr 25
		.amdhsa_accum_offset 168
		.amdhsa_reserve_vcc 1
		.amdhsa_float_round_mode_32 0
		.amdhsa_float_round_mode_16_64 0
		.amdhsa_float_denorm_mode_32 3
		.amdhsa_float_denorm_mode_16_64 3
		.amdhsa_dx10_clamp 1
		.amdhsa_ieee_mode 1
		.amdhsa_fp16_overflow 0
		.amdhsa_tg_split 0
		.amdhsa_exception_fp_ieee_invalid_op 0
		.amdhsa_exception_fp_denorm_src 0
		.amdhsa_exception_fp_ieee_div_zero 0
		.amdhsa_exception_fp_ieee_overflow 0
		.amdhsa_exception_fp_ieee_underflow 0
		.amdhsa_exception_fp_ieee_inexact 0
		.amdhsa_exception_int_div_zero 0
	.end_amdhsa_kernel
	.section	.text._ZL8moe_q4_0IN3c108BFloat16ELb0EEvPKvS3_PT_PKiS7_S7_iiiiiii,"axG",@progbits,_ZL8moe_q4_0IN3c108BFloat16ELb0EEvPKvS3_PT_PKiS7_S7_iiiiiii,comdat
.Lfunc_end217:
	.size	_ZL8moe_q4_0IN3c108BFloat16ELb0EEvPKvS3_PT_PKiS7_S7_iiiiiii, .Lfunc_end217-_ZL8moe_q4_0IN3c108BFloat16ELb0EEvPKvS3_PT_PKiS7_S7_iiiiiii
                                        ; -- End function
	.section	.AMDGPU.csdata,"",@progbits
; Kernel info:
; codeLenInByte = 8912
; NumSgprs: 31
; NumVgprs: 167
; NumAgprs: 0
; TotalNumVgprs: 167
; ScratchSize: 0
; MemoryBound: 0
; FloatMode: 240
; IeeeMode: 1
; LDSByteSize: 22272 bytes/workgroup (compile time only)
; SGPRBlocks: 3
; VGPRBlocks: 20
; NumSGPRsForWavesPerEU: 31
; NumVGPRsForWavesPerEU: 167
; AccumOffset: 168
; Occupancy: 2
; WaveLimiterHint : 1
; COMPUTE_PGM_RSRC2:SCRATCH_EN: 0
; COMPUTE_PGM_RSRC2:USER_SGPR: 2
; COMPUTE_PGM_RSRC2:TRAP_HANDLER: 0
; COMPUTE_PGM_RSRC2:TGID_X_EN: 1
; COMPUTE_PGM_RSRC2:TGID_Y_EN: 1
; COMPUTE_PGM_RSRC2:TGID_Z_EN: 0
; COMPUTE_PGM_RSRC2:TIDIG_COMP_CNT: 1
; COMPUTE_PGM_RSRC3_GFX90A:ACCUM_OFFSET: 41
; COMPUTE_PGM_RSRC3_GFX90A:TG_SPLIT: 0
	.section	.text._ZL8moe_q4_0IN3c108BFloat16ELb1EEvPKvS3_PT_PKiS7_S7_iiiiiii,"axG",@progbits,_ZL8moe_q4_0IN3c108BFloat16ELb1EEvPKvS3_PT_PKiS7_S7_iiiiiii,comdat
	.globl	_ZL8moe_q4_0IN3c108BFloat16ELb1EEvPKvS3_PT_PKiS7_S7_iiiiiii ; -- Begin function _ZL8moe_q4_0IN3c108BFloat16ELb1EEvPKvS3_PT_PKiS7_S7_iiiiiii
	.p2align	8
	.type	_ZL8moe_q4_0IN3c108BFloat16ELb1EEvPKvS3_PT_PKiS7_S7_iiiiiii,@function
_ZL8moe_q4_0IN3c108BFloat16ELb1EEvPKvS3_PT_PKiS7_S7_iiiiiii: ; @_ZL8moe_q4_0IN3c108BFloat16ELb1EEvPKvS3_PT_PKiS7_S7_iiiiiii
; %bb.0:
	s_load_dwordx4 s[4:7], s[0:1], 0x18
	s_mov_b32 s8, s3
	s_mov_b32 s9, 0
	s_lshl_b64 s[10:11], s[8:9], 2
	s_waitcnt lgkmcnt(0)
	s_add_u32 s6, s6, s10
	s_addc_u32 s7, s7, s11
	s_load_dword s3, s[6:7], 0x0
	s_waitcnt lgkmcnt(0)
	s_cmpk_gt_u32 s3, 0xff
	s_cbranch_scc1 .LBB218_28
; %bb.1:
	s_load_dwordx2 s[6:7], s[0:1], 0x28
	s_waitcnt lgkmcnt(0)
	s_load_dword s7, s[6:7], 0x0
	s_lshl_b32 s6, s8, 3
	s_waitcnt lgkmcnt(0)
	s_cmp_gt_u32 s6, s7
	s_cbranch_scc1 .LBB218_28
; %bb.2:
	v_bfe_u32 v2, v0, 10, 10
	v_mov_b32_e32 v4, s4
	v_mov_b32_e32 v5, s5
	v_add_u32_e32 v94, s6, v2
	v_mov_b32_e32 v95, 0
	v_lshl_add_u64 v[4:5], v[94:95], 2, v[4:5]
	global_load_dword v1, v[4:5], off
	s_load_dwordx8 s[4:11], s[0:1], 0x30
	s_load_dwordx2 s[16:17], s[0:1], 0x10
	s_waitcnt lgkmcnt(0)
	s_lshl_b32 s11, s2, 7
	s_cmp_lt_i32 s5, 32
	s_cbranch_scc1 .LBB218_18
; %bb.3:
	s_load_dwordx4 s[12:15], s[0:1], 0x0
	s_ashr_i32 s0, s5, 31
	s_lshr_b32 s0, s0, 27
	s_add_i32 s0, s5, s0
	s_ashr_i32 s24, s0, 5
	s_ashr_i32 s0, s8, 31
	s_lshr_b32 s0, s0, 27
	s_add_i32 s0, s8, s0
	s_ashr_i32 s8, s0, 5
	s_not_b32 s0, s11
	s_mul_i32 s18, s3, s4
	s_add_i32 s3, s0, s6
	v_and_b32_e32 v24, 0x3ff, v0
	v_lshlrev_b32_e32 v4, 2, v24
	v_min_i32_e32 v3, s3, v2
	s_movk_i32 s6, 0x84
	v_mul_lo_u32 v9, v3, s24
	v_mad_u64_u32 v[26:27], s[0:1], v3, s6, v[4:5]
	v_add_u32_e32 v3, 8, v2
	v_min_i32_e32 v3, s3, v3
	v_mul_lo_u32 v10, v3, s24
	v_mad_u64_u32 v[28:29], s[0:1], v3, s6, v[4:5]
	v_add_u32_e32 v3, 16, v2
	v_min_i32_e32 v3, s3, v3
	;; [unrolled: 4-line block ×15, first 2 shown]
	v_mul_lo_u32 v55, v3, s24
	v_mad_u64_u32 v[56:57], s[0:1], v3, s6, v[4:5]
	v_lshlrev_b32_e32 v3, 2, v2
	v_lshrrev_b32_e32 v27, 3, v24
	v_add_u32_e32 v5, v27, v3
	v_min_i32_e32 v6, s3, v5
	v_ashrrev_i32_e32 v7, 31, v6
	v_lshrrev_b32_e32 v7, 30, v7
	v_and_b32_e32 v57, 7, v24
	v_mul_lo_u32 v94, v6, s24
	v_add_u32_e32 v7, v6, v7
	v_lshlrev_b32_e32 v104, 5, v6
	v_add_u32_e32 v6, 32, v5
	v_and_b32_e32 v7, -4, v7
	v_lshlrev_b32_e32 v25, 2, v57
	s_movk_i32 s0, 0x4200
	v_min_i32_e32 v6, s3, v6
	v_add3_u32 v95, v7, v25, s0
	v_ashrrev_i32_e32 v7, 31, v6
	v_lshrrev_b32_e32 v7, 30, v7
	v_mul_lo_u32 v98, v6, s24
	v_add_u32_e32 v7, v6, v7
	v_lshlrev_b32_e32 v106, 5, v6
	v_add_u32_e32 v6, 64, v5
	v_and_b32_e32 v7, -4, v7
	v_min_i32_e32 v6, s3, v6
	v_add3_u32 v105, v7, v25, s0
	v_ashrrev_i32_e32 v7, 31, v6
	v_add_u32_e32 v5, 0x60, v5
	v_lshrrev_b32_e32 v7, 30, v7
	v_min_i32_e32 v5, s3, v5
	v_mul_lo_u32 v100, v6, s24
	v_add_u32_e32 v7, v6, v7
	v_lshlrev_b32_e32 v108, 5, v6
	v_ashrrev_i32_e32 v6, 31, v5
	v_lshrrev_b32_e32 v6, 30, v6
	v_mov_b32_e32 v23, 0
	v_add_u32_e32 v6, v5, v6
	v_and_b32_e32 v22, 12, v4
	v_mul_lo_u32 v102, v5, s24
	v_and_b32_e32 v6, -4, v6
	v_lshlrev_b32_e32 v110, 5, v5
	v_and_b32_e32 v4, 28, v4
	v_mov_b32_e32 v5, v23
	v_add3_u32 v109, v6, v25, s0
	v_and_b32_e32 v6, 31, v24
	s_waitcnt lgkmcnt(0)
	v_lshl_add_u64 v[58:59], s[14:15], 0, v[4:5]
	v_lshlrev_b32_e32 v4, 7, v2
	v_lshl_or_b32 v5, v6, 2, v4
	v_add_u32_e32 v29, 0x5280, v5
	v_or_b32_e32 v3, v3, v24
	v_mov_b32_e32 v5, 0x5680
	v_lshl_add_u32 v31, v3, 2, v5
	v_lshl_add_u32 v35, v2, 4, v5
	v_and_b32_e32 v2, 0xfc, v24
	v_lshlrev_b32_e32 v3, 5, v24
	v_add3_u32 v39, v3, v2, s0
	v_add_u32_e32 v2, 32, v24
	v_add_u32_e32 v33, 0x5280, v4
	v_and_b32_e32 v3, 0x1fc, v2
	v_lshlrev_b32_e32 v4, 5, v2
	v_add3_u32 v41, v4, v3, s0
	v_add_u32_e32 v3, 64, v24
	v_and_b32_e32 v4, 0x1fc, v3
	v_lshlrev_b32_e32 v3, 5, v3
	s_abs_i32 s3, s10
	v_add3_u32 v43, v3, v4, s0
	v_cvt_f32_u32_e32 v4, s3
	v_add_u32_e32 v3, 0x60, v24
	v_and_b32_e32 v5, 0x1fc, v3
	v_lshlrev_b32_e32 v3, 5, v3
	v_add3_u32 v45, v3, v5, s0
	v_rcp_iflag_f32_e32 v3, v4
	v_and_b32_e32 v7, -4, v7
	v_add3_u32 v107, v7, v25, s0
	s_sub_i32 s0, 0, s3
	v_mul_f32_e32 v3, 0x4f7ffffe, v3
	v_cvt_u32_f32_e32 v3, v3
	s_waitcnt vmcnt(0)
	v_sub_u32_e32 v4, 0, v1
	v_max_i32_e32 v4, v1, v4
	v_lshrrev_b32_e32 v47, 3, v2
	v_mul_lo_u32 v5, s0, v3
	v_mul_hi_u32 v5, v3, v5
	v_add_u32_e32 v3, v3, v5
	v_mul_hi_u32 v3, v4, v3
	v_mul_lo_u32 v5, v3, s3
	v_sub_u32_e32 v4, v4, v5
	v_add_u32_e32 v5, 1, v3
	v_cmp_le_u32_e64 s[0:1], s3, v4
	v_xor_b32_e32 v2, s10, v1
	v_ashrrev_i32_e32 v2, 31, v2
	v_cndmask_b32_e64 v3, v3, v5, s[0:1]
	v_subrev_u32_e32 v5, s3, v4
	v_cndmask_b32_e64 v4, v4, v5, s[0:1]
	v_add_u32_e32 v5, 1, v3
	v_cmp_le_u32_e64 s[0:1], s3, v4
	s_mul_i32 s2, s24, s11
	v_mov_b32_e32 v25, v23
	v_cndmask_b32_e64 v3, v3, v5, s[0:1]
	v_xor_b32_e32 v3, v3, v2
	v_sub_u32_e32 v2, v3, v2
	v_cmp_gt_i32_e64 s[0:1], s7, v2
	v_mul_lo_u32 v2, v2, s8
	v_ashrrev_i32_e32 v3, 31, v2
	s_mul_hi_i32 s3, s2, 18
	s_mul_i32 s6, s2, 18
	v_lshrrev_b32_e32 v8, 2, v24
	v_lshl_add_u64 v[4:5], v[2:3], 0, v[24:25]
	v_add_u32_e32 v25, v24, v2
	v_add_u32_e32 v49, v47, v2
	;; [unrolled: 1-line block ×3, first 2 shown]
	v_mov_b32_e32 v2, s6
	v_mov_b32_e32 v3, s3
	v_mad_u64_u32 v[6:7], s[20:21], v4, 36, s[14:15]
	v_mad_u64_u32 v[2:3], s[22:23], v8, 18, v[2:3]
	v_mad_i32_i24 v7, v5, 36, v7
	v_mad_i64_i32 v[4:5], s[22:23], v9, 18, v[2:3]
	v_lshl_add_u64 v[4:5], v[4:5], 0, v[22:23]
	v_lshl_add_u64 v[4:5], v[4:5], 0, s[12:13]
	v_lshl_add_u64 v[62:63], v[4:5], 0, 2
	v_mad_i64_i32 v[4:5], s[22:23], v10, 18, v[2:3]
	v_lshl_add_u64 v[4:5], v[4:5], 0, v[22:23]
	v_lshl_add_u64 v[4:5], v[4:5], 0, s[12:13]
	v_lshl_add_u64 v[64:65], v[4:5], 0, 2
	;; [unrolled: 4-line block ×14, first 2 shown]
	v_mad_i64_i32 v[4:5], s[22:23], v53, 18, v[2:3]
	v_mad_i64_i32 v[2:3], s[22:23], v55, 18, v[2:3]
	v_lshl_add_u64 v[2:3], v[2:3], 0, v[22:23]
	v_lshl_add_u64 v[2:3], v[2:3], 0, s[12:13]
	;; [unrolled: 1-line block ×3, first 2 shown]
	v_mad_i64_i32 v[2:3], s[22:23], v94, 18, 0
	v_mad_i64_i32 v[2:3], s[22:23], s2, 18, v[2:3]
	v_mad_u64_u32 v[2:3], s[22:23], v57, 18, v[2:3]
	v_lshl_add_u64 v[96:97], s[12:13], 0, v[2:3]
	v_mad_i64_i32 v[2:3], s[22:23], v98, 18, 0
	v_mad_i64_i32 v[2:3], s[22:23], s2, 18, v[2:3]
	v_mad_u64_u32 v[2:3], s[22:23], v57, 18, v[2:3]
	v_lshl_add_u64 v[98:99], s[12:13], 0, v[2:3]
	;; [unrolled: 4-line block ×3, first 2 shown]
	v_mad_i64_i32 v[2:3], s[22:23], v102, 18, 0
	v_lshl_add_u64 v[4:5], v[4:5], 0, v[22:23]
	v_mad_i64_i32 v[2:3], s[2:3], s2, 18, v[2:3]
	v_mul_u32_u24_e32 v37, 0x84, v24
	s_mov_b64 s[20:21], 0x90
	v_lshl_add_u64 v[4:5], v[4:5], 0, s[12:13]
	v_mad_u64_u32 v[2:3], s[2:3], v57, 18, v[2:3]
	s_ashr_i32 s19, s18, 31
	s_mov_b32 s4, 0
	v_cmp_gt_u32_e32 vcc, 4, v24
	v_lshl_add_u64 v[60:61], v[6:7], 0, s[20:21]
	v_lshl_add_u64 v[90:91], v[4:5], 0, 2
	;; [unrolled: 1-line block ×3, first 2 shown]
	s_movk_i32 s6, 0x80
	v_add_u32_e32 v53, v95, v104
	v_add_u32_e32 v55, v105, v106
	;; [unrolled: 1-line block ×28, first 2 shown]
	s_mov_b64 s[12:13], 0x120
	v_mov_b32_e32 v22, v23
	v_mov_b32_e32 v94, v23
	v_mov_b32_e32 v95, v23
	s_branch .LBB218_6
.LBB218_4:                              ;   in Loop: Header=BB218_6 Depth=1
	s_or_b64 exec, exec, s[22:23]
	s_waitcnt lgkmcnt(0)
	s_barrier
	ds_read_b128 v[2:5], v35
	ds_read_b128 v[14:17], v33
	ds_read_b128 v[18:21], v33 offset:16
	ds_read2_b32 v[106:107], v37 offset0:16 offset1:17
	v_mov_b32_e32 v114, 0
	ds_read_b128 v[6:9], v33 offset:32
	ds_read_b128 v[10:13], v33 offset:48
	v_mov_b32_e32 v161, 0
	v_add_u32_e32 v142, 0x2140, v37
	s_waitcnt lgkmcnt(2)
	v_and_b32_e32 v108, 0xf0f0f0f, v106
	v_lshrrev_b32_e32 v106, 4, v106
	v_and_b32_e32 v106, 0xf0f0f0f, v106
	v_dot4c_i32_i8_e32 v114, v108, v14
	v_dot4c_i32_i8_e32 v114, v106, v18
	v_and_b32_e32 v106, 0xf0f0f0f, v107
	v_lshrrev_b32_e32 v107, 4, v107
	v_and_b32_e32 v108, 0xf0f0f0f, v107
	v_dot4c_i32_i8_e32 v114, v106, v15
	ds_read2_b32 v[106:107], v37 offset0:18 offset1:19
	v_dot4c_i32_i8_e32 v114, v108, v19
	ds_read2_b32 v[108:109], v37 offset0:20 offset1:21
	ds_read2_b32 v[110:111], v37 offset0:22 offset1:23
	ds_read2_b32 v[112:113], v37 offset0:24 offset1:25
	v_add_u32_e32 v144, 0x2148, v37
	v_mov_b32_e32 v162, 0
	s_waitcnt lgkmcnt(3)
	v_and_b32_e32 v115, 0xf0f0f0f, v106
	v_dot4c_i32_i8_e32 v114, v115, v16
	v_add_u32_e32 v115, 0x10c0, v37
	ds_read2_b32 v[116:117], v115 offset1:1
	v_lshrrev_b32_e32 v106, 4, v106
	v_and_b32_e32 v106, 0xf0f0f0f, v106
	v_dot4c_i32_i8_e32 v114, v106, v20
	v_and_b32_e32 v106, 0xf0f0f0f, v107
	v_lshrrev_b32_e32 v107, 4, v107
	v_and_b32_e32 v107, 0xf0f0f0f, v107
	v_dot4c_i32_i8_e32 v114, v106, v17
	v_dot4c_i32_i8_e32 v114, v107, v21
	ds_read2_b32 v[106:107], v45 offset0:6 offset1:7
	s_waitcnt lgkmcnt(1)
	v_and_b32_e32 v115, 0xf0f0f0f, v116
	v_lshrrev_b32_e32 v116, 4, v116
	v_and_b32_e32 v116, 0xf0f0f0f, v116
	v_dot4c_i32_i8_e32 v161, v115, v14
	v_dot4c_i32_i8_e32 v161, v116, v18
	v_and_b32_e32 v115, 0xf0f0f0f, v117
	v_lshrrev_b32_e32 v116, 4, v117
	v_and_b32_e32 v116, 0xf0f0f0f, v116
	v_dot4c_i32_i8_e32 v161, v115, v15
	v_add_u32_e32 v115, 0x10c8, v37
	v_dot4c_i32_i8_e32 v161, v116, v19
	ds_read2_b32 v[116:117], v115 offset1:1
	v_add_u32_e32 v115, 0x31c0, v37
	ds_read2_b32 v[142:143], v142 offset1:1
	ds_read2_b32 v[144:145], v144 offset1:1
	ds_read2_b32 v[146:147], v115 offset1:1
	v_mov_b32_e32 v163, 0
	v_mov_b32_e32 v164, 0
	s_waitcnt lgkmcnt(3)
	v_and_b32_e32 v115, 0xf0f0f0f, v116
	v_lshrrev_b32_e32 v116, 4, v116
	v_and_b32_e32 v116, 0xf0f0f0f, v116
	v_dot4c_i32_i8_e32 v161, v115, v16
	v_dot4c_i32_i8_e32 v161, v116, v20
	v_and_b32_e32 v115, 0xf0f0f0f, v117
	v_lshrrev_b32_e32 v116, 4, v117
	v_and_b32_e32 v116, 0xf0f0f0f, v116
	v_dot4c_i32_i8_e32 v161, v115, v17
	s_waitcnt lgkmcnt(2)
	v_lshrrev_b32_e32 v115, 4, v142
	v_dot4c_i32_i8_e32 v161, v116, v21
	v_and_b32_e32 v116, 0xf0f0f0f, v142
	v_and_b32_e32 v117, 0xf0f0f0f, v115
	v_mov_b32_e32 v115, 0
	v_dot4c_i32_i8_e32 v115, v116, v14
	v_dot4c_i32_i8_e32 v115, v117, v18
	v_and_b32_e32 v116, 0xf0f0f0f, v143
	v_lshrrev_b32_e32 v117, 4, v143
	v_and_b32_e32 v117, 0xf0f0f0f, v117
	v_dot4c_i32_i8_e32 v115, v116, v15
	v_dot4c_i32_i8_e32 v115, v117, v19
	s_waitcnt lgkmcnt(1)
	v_and_b32_e32 v116, 0xf0f0f0f, v144
	v_lshrrev_b32_e32 v117, 4, v144
	v_and_b32_e32 v117, 0xf0f0f0f, v117
	v_dot4c_i32_i8_e32 v115, v116, v16
	v_dot4c_i32_i8_e32 v115, v117, v20
	v_and_b32_e32 v116, 0xf0f0f0f, v145
	v_lshrrev_b32_e32 v117, 4, v145
	v_and_b32_e32 v117, 0xf0f0f0f, v117
	v_dot4c_i32_i8_e32 v115, v116, v17
	s_waitcnt lgkmcnt(0)
	v_lshrrev_b32_e32 v116, 4, v146
	v_dot4c_i32_i8_e32 v115, v117, v21
	v_and_b32_e32 v117, 0xf0f0f0f, v146
	v_and_b32_e32 v142, 0xf0f0f0f, v116
	v_mov_b32_e32 v116, 0
	v_dot4c_i32_i8_e32 v116, v117, v14
	v_dot4c_i32_i8_e32 v116, v142, v18
	v_and_b32_e32 v14, 0xf0f0f0f, v147
	v_dot4c_i32_i8_e32 v116, v14, v15
	v_add_u32_e32 v14, 0x31c8, v37
	ds_read2_b32 v[14:15], v14 offset1:1
	v_lshrrev_b32_e32 v18, 4, v147
	v_and_b32_e32 v18, 0xf0f0f0f, v18
	v_dot4c_i32_i8_e32 v116, v18, v19
	v_add_u32_e32 v18, 0x10d0, v37
	v_add_u32_e32 v117, 0x10d8, v37
	;; [unrolled: 1-line block ×3, first 2 shown]
	ds_read2_b32 v[18:19], v18 offset1:1
	ds_read2_b32 v[142:143], v117 offset1:1
	ds_read2_b32 v[144:145], v144 offset1:1
	s_waitcnt lgkmcnt(3)
	v_and_b32_e32 v117, 0xf0f0f0f, v14
	v_lshrrev_b32_e32 v14, 4, v14
	v_and_b32_e32 v14, 0xf0f0f0f, v14
	v_dot4c_i32_i8_e32 v116, v117, v16
	v_dot4c_i32_i8_e32 v116, v14, v20
	v_and_b32_e32 v14, 0xf0f0f0f, v15
	v_lshrrev_b32_e32 v15, 4, v15
	v_and_b32_e32 v15, 0xf0f0f0f, v15
	v_dot4c_i32_i8_e32 v116, v14, v17
	v_cvt_f32_f16_sdwa v16, v3 dst_sel:DWORD dst_unused:UNUSED_PAD src0_sel:WORD_1
	v_dot4c_i32_i8_e32 v116, v15, v21
	v_cvt_f32_f16_e32 v14, v3
	v_and_b32_e32 v3, 0xf0f0f0f, v108
	v_lshrrev_b32_e32 v15, 4, v108
	v_mov_b32_e32 v17, 0
	v_and_b32_e32 v15, 0xf0f0f0f, v15
	v_dot4c_i32_i8_e32 v17, v3, v6
	v_dot4c_i32_i8_e32 v17, v15, v10
	v_and_b32_e32 v3, 0xf0f0f0f, v109
	v_lshrrev_b32_e32 v15, 4, v109
	v_and_b32_e32 v15, 0xf0f0f0f, v15
	v_dot4c_i32_i8_e32 v17, v3, v7
	v_dot4c_i32_i8_e32 v17, v15, v11
	v_and_b32_e32 v3, 0xf0f0f0f, v110
	v_lshrrev_b32_e32 v15, 4, v110
	;; [unrolled: 5-line block ×3, first 2 shown]
	v_and_b32_e32 v15, 0xf0f0f0f, v15
	v_dot4c_i32_i8_e32 v17, v3, v9
	v_dot4c_i32_i8_e32 v17, v15, v13
	s_waitcnt lgkmcnt(2)
	v_and_b32_e32 v3, 0xf0f0f0f, v18
	v_lshrrev_b32_e32 v15, 4, v18
	v_mov_b32_e32 v117, 0
	v_and_b32_e32 v15, 0xf0f0f0f, v15
	v_dot4c_i32_i8_e32 v117, v3, v6
	v_dot4c_i32_i8_e32 v117, v15, v10
	v_and_b32_e32 v3, 0xf0f0f0f, v19
	v_lshrrev_b32_e32 v15, 4, v19
	v_and_b32_e32 v15, 0xf0f0f0f, v15
	v_dot4c_i32_i8_e32 v117, v3, v7
	v_dot4c_i32_i8_e32 v117, v15, v11
	s_waitcnt lgkmcnt(1)
	v_and_b32_e32 v3, 0xf0f0f0f, v142
	v_lshrrev_b32_e32 v15, 4, v142
	v_and_b32_e32 v15, 0xf0f0f0f, v15
	v_dot4c_i32_i8_e32 v117, v3, v8
	v_dot4c_i32_i8_e32 v117, v15, v12
	v_and_b32_e32 v3, 0xf0f0f0f, v143
	v_lshrrev_b32_e32 v15, 4, v143
	v_and_b32_e32 v15, 0xf0f0f0f, v15
	v_dot4c_i32_i8_e32 v117, v3, v9
	v_dot4c_i32_i8_e32 v117, v15, v13
	s_waitcnt lgkmcnt(0)
	v_and_b32_e32 v3, 0xf0f0f0f, v144
	v_lshrrev_b32_e32 v15, 4, v144
	v_and_b32_e32 v15, 0xf0f0f0f, v15
	v_dot4c_i32_i8_e32 v162, v3, v6
	v_dot4c_i32_i8_e32 v162, v15, v10
	v_and_b32_e32 v3, 0xf0f0f0f, v145
	v_dot4c_i32_i8_e32 v162, v3, v7
	v_add_u32_e32 v3, 0x2158, v37
	ds_read2_b32 v[18:19], v3 offset1:1
	v_lshrrev_b32_e32 v15, 4, v145
	v_and_b32_e32 v15, 0xf0f0f0f, v15
	v_dot4c_i32_i8_e32 v162, v15, v11
	v_add_u32_e32 v15, 0x31d0, v37
	v_add_u32_e32 v108, 0x31d8, v37
	;; [unrolled: 1-line block ×3, first 2 shown]
	ds_read2_b32 v[20:21], v15 offset1:1
	ds_read2_b32 v[108:109], v108 offset1:1
	;; [unrolled: 1-line block ×3, first 2 shown]
	s_waitcnt lgkmcnt(3)
	v_and_b32_e32 v3, 0xf0f0f0f, v18
	v_lshrrev_b32_e32 v15, 4, v18
	v_and_b32_e32 v15, 0xf0f0f0f, v15
	v_dot4c_i32_i8_e32 v162, v3, v8
	v_dot4c_i32_i8_e32 v162, v15, v12
	v_and_b32_e32 v3, 0xf0f0f0f, v19
	v_lshrrev_b32_e32 v15, 4, v19
	v_and_b32_e32 v15, 0xf0f0f0f, v15
	v_dot4c_i32_i8_e32 v162, v3, v9
	v_dot4c_i32_i8_e32 v162, v15, v13
	s_waitcnt lgkmcnt(2)
	v_and_b32_e32 v3, 0xf0f0f0f, v20
	v_lshrrev_b32_e32 v15, 4, v20
	v_and_b32_e32 v15, 0xf0f0f0f, v15
	v_dot4c_i32_i8_e32 v163, v3, v6
	v_dot4c_i32_i8_e32 v163, v15, v10
	v_and_b32_e32 v3, 0xf0f0f0f, v21
	v_lshrrev_b32_e32 v6, 4, v21
	v_and_b32_e32 v6, 0xf0f0f0f, v6
	v_dot4c_i32_i8_e32 v163, v3, v7
	v_dot4c_i32_i8_e32 v163, v6, v11
	s_waitcnt lgkmcnt(1)
	v_and_b32_e32 v3, 0xf0f0f0f, v108
	v_lshrrev_b32_e32 v6, 4, v108
	v_and_b32_e32 v6, 0xf0f0f0f, v6
	v_dot4c_i32_i8_e32 v163, v3, v8
	v_dot4c_i32_i8_e32 v163, v6, v12
	v_and_b32_e32 v3, 0xf0f0f0f, v109
	v_dot4c_i32_i8_e32 v163, v3, v9
	v_cvt_f32_f16_sdwa v3, v4 dst_sel:DWORD dst_unused:UNUSED_PAD src0_sel:WORD_1
	ds_read_b128 v[142:145], v33 offset:64
	ds_read_b128 v[146:149], v33 offset:80
	v_lshrrev_b32_e32 v6, 4, v109
	v_and_b32_e32 v6, 0xf0f0f0f, v6
	ds_read2_b32 v[8:9], v43 offset0:4 offset1:5
	ds_read2_b32 v[18:19], v41 offset0:6 offset1:7
	;; [unrolled: 1-line block ×5, first 2 shown]
	v_dot4c_i32_i8_e32 v163, v6, v13
	v_mul_f32_e32 v6, 0x41000000, v3
	v_and_b32_e32 v3, 0xf0f0f0f, v112
	v_lshrrev_b32_e32 v7, 4, v112
	v_mov_b32_e32 v15, 0
	v_and_b32_e32 v7, 0xf0f0f0f, v7
	s_waitcnt lgkmcnt(6)
	v_dot4c_i32_i8_e32 v15, v3, v142
	s_waitcnt lgkmcnt(5)
	v_dot4c_i32_i8_e32 v15, v7, v146
	v_and_b32_e32 v3, 0xf0f0f0f, v113
	v_lshrrev_b32_e32 v7, 4, v113
	v_and_b32_e32 v7, 0xf0f0f0f, v7
	v_dot4c_i32_i8_e32 v15, v3, v143
	v_dot4c_i32_i8_e32 v15, v7, v147
	s_waitcnt lgkmcnt(0)
	v_and_b32_e32 v3, 0xf0f0f0f, v10
	v_lshrrev_b32_e32 v7, 4, v10
	v_and_b32_e32 v7, 0xf0f0f0f, v7
	v_dot4c_i32_i8_e32 v15, v3, v144
	v_dot4c_i32_i8_e32 v15, v7, v148
	v_and_b32_e32 v3, 0xf0f0f0f, v11
	v_lshrrev_b32_e32 v7, 4, v11
	v_and_b32_e32 v7, 0xf0f0f0f, v7
	v_dot4c_i32_i8_e32 v15, v3, v145
	v_dot4c_i32_i8_e32 v15, v7, v149
	;; [unrolled: 5-line block ×3, first 2 shown]
	v_and_b32_e32 v3, 0xf0f0f0f, v111
	v_dot4c_i32_i8_e32 v164, v3, v143
	v_add_u32_e32 v3, 0x10e8, v37
	ds_read2_b32 v[150:151], v37 offset0:28 offset1:29
	ds_read2_b32 v[152:153], v39 offset0:4 offset1:5
	;; [unrolled: 1-line block ×3, first 2 shown]
	ds_read2_b32 v[10:11], v3 offset1:1
	v_lshrrev_b32_e32 v7, 4, v111
	v_and_b32_e32 v7, 0xf0f0f0f, v7
	v_dot4c_i32_i8_e32 v164, v7, v147
	v_add_u32_e32 v7, 0x2160, v37
	v_add_u32_e32 v3, 0x31e0, v37
	v_add_u32_e32 v12, 0x2168, v37
	ds_read2_b32 v[110:111], v7 offset1:1
	ds_read2_b32 v[112:113], v12 offset1:1
	;; [unrolled: 1-line block ×3, first 2 shown]
	s_waitcnt lgkmcnt(3)
	v_and_b32_e32 v3, 0xf0f0f0f, v10
	v_lshrrev_b32_e32 v7, 4, v10
	v_and_b32_e32 v7, 0xf0f0f0f, v7
	v_dot4c_i32_i8_e32 v164, v3, v144
	v_dot4c_i32_i8_e32 v164, v7, v148
	v_and_b32_e32 v3, 0xf0f0f0f, v11
	v_lshrrev_b32_e32 v7, 4, v11
	v_and_b32_e32 v7, 0xf0f0f0f, v7
	v_dot4c_i32_i8_e32 v164, v3, v145
	v_dot4c_i32_i8_e32 v164, v7, v149
	s_waitcnt lgkmcnt(2)
	v_and_b32_e32 v3, 0xf0f0f0f, v110
	v_lshrrev_b32_e32 v7, 4, v110
	v_mov_b32_e32 v165, 0
	v_and_b32_e32 v7, 0xf0f0f0f, v7
	v_dot4c_i32_i8_e32 v165, v3, v142
	v_dot4c_i32_i8_e32 v165, v7, v146
	v_and_b32_e32 v3, 0xf0f0f0f, v111
	v_lshrrev_b32_e32 v7, 4, v111
	v_and_b32_e32 v7, 0xf0f0f0f, v7
	v_dot4c_i32_i8_e32 v165, v3, v143
	v_dot4c_i32_i8_e32 v165, v7, v147
	s_waitcnt lgkmcnt(1)
	v_and_b32_e32 v3, 0xf0f0f0f, v112
	v_lshrrev_b32_e32 v7, 4, v112
	v_and_b32_e32 v7, 0xf0f0f0f, v7
	v_dot4c_i32_i8_e32 v165, v3, v144
	v_dot4c_i32_i8_e32 v165, v7, v148
	v_and_b32_e32 v3, 0xf0f0f0f, v113
	v_lshrrev_b32_e32 v7, 4, v113
	v_and_b32_e32 v7, 0xf0f0f0f, v7
	v_dot4c_i32_i8_e32 v165, v3, v145
	v_dot4c_i32_i8_e32 v165, v7, v149
	s_waitcnt lgkmcnt(0)
	v_and_b32_e32 v3, 0xf0f0f0f, v156
	v_lshrrev_b32_e32 v7, 4, v156
	v_mov_b32_e32 v166, 0
	v_and_b32_e32 v7, 0xf0f0f0f, v7
	v_dot4c_i32_i8_e32 v166, v3, v142
	v_dot4c_i32_i8_e32 v166, v7, v146
	v_and_b32_e32 v3, 0xf0f0f0f, v157
	v_dot4c_i32_i8_e32 v166, v3, v143
	v_add_u32_e32 v3, 0x31e8, v37
	ds_read2_b32 v[12:13], v45 offset0:4 offset1:5
	ds_read2_b32 v[10:11], v43 offset0:6 offset1:7
	ds_read2_b32 v[110:111], v3 offset1:1
	v_lshrrev_b32_e32 v7, 4, v157
	v_and_b32_e32 v7, 0xf0f0f0f, v7
	v_dot4c_i32_i8_e32 v166, v7, v147
	v_add_u32_e32 v7, 0x10f0, v37
	v_add_u32_e32 v3, 0x2170, v37
	;; [unrolled: 1-line block ×3, first 2 shown]
	ds_read2_b32 v[146:147], v7 offset1:1
	ds_read2_b32 v[156:157], v112 offset1:1
	ds_read2_b32 v[158:159], v3 offset1:1
	s_waitcnt lgkmcnt(3)
	v_and_b32_e32 v3, 0xf0f0f0f, v110
	v_lshrrev_b32_e32 v7, 4, v110
	v_and_b32_e32 v7, 0xf0f0f0f, v7
	v_dot4c_i32_i8_e32 v166, v3, v144
	v_dot4c_i32_i8_e32 v166, v7, v148
	v_and_b32_e32 v3, 0xf0f0f0f, v111
	v_dot4c_i32_i8_e32 v166, v3, v145
	v_cvt_f32_f16_sdwa v3, v5 dst_sel:DWORD dst_unused:UNUSED_PAD src0_sel:WORD_1
	v_lshrrev_b32_e32 v7, 4, v111
	ds_read_b128 v[110:113], v33 offset:96
	ds_read_b128 v[142:145], v33 offset:112
	v_and_b32_e32 v7, 0xf0f0f0f, v7
	v_dot4c_i32_i8_e32 v166, v7, v149
	v_cvt_f32_f16_e32 v148, v5
	v_mul_f32_e32 v160, 0x41000000, v3
	v_and_b32_e32 v3, 0xf0f0f0f, v150
	v_lshrrev_b32_e32 v5, 4, v150
	v_mov_b32_e32 v7, 0
	v_and_b32_e32 v5, 0xf0f0f0f, v5
	s_waitcnt lgkmcnt(1)
	v_dot4c_i32_i8_e32 v7, v3, v110
	s_waitcnt lgkmcnt(0)
	v_dot4c_i32_i8_e32 v7, v5, v142
	v_and_b32_e32 v3, 0xf0f0f0f, v151
	v_lshrrev_b32_e32 v5, 4, v151
	v_and_b32_e32 v5, 0xf0f0f0f, v5
	v_dot4c_i32_i8_e32 v7, v3, v111
	v_dot4c_i32_i8_e32 v7, v5, v143
	v_and_b32_e32 v3, 0xf0f0f0f, v154
	v_lshrrev_b32_e32 v5, 4, v154
	v_and_b32_e32 v5, 0xf0f0f0f, v5
	v_dot4c_i32_i8_e32 v7, v3, v112
	;; [unrolled: 5-line block ×3, first 2 shown]
	v_dot4c_i32_i8_e32 v7, v5, v145
	v_and_b32_e32 v3, 0xf0f0f0f, v146
	v_lshrrev_b32_e32 v5, 4, v146
	v_mov_b32_e32 v149, 0
	v_cvt_f32_f16_sdwa v104, v2 dst_sel:DWORD dst_unused:UNUSED_PAD src0_sel:WORD_1
	v_and_b32_e32 v5, 0xf0f0f0f, v5
	v_dot4c_i32_i8_e32 v149, v3, v110
	v_cvt_f32_f16_e32 v2, v2
	v_dot4c_i32_i8_e32 v149, v5, v142
	v_and_b32_e32 v3, 0xf0f0f0f, v147
	v_lshrrev_b32_e32 v5, 4, v147
	v_cvt_f32_i32_e32 v147, v161
	v_cvt_f32_i32_e32 v146, v114
	v_and_b32_e32 v5, 0xf0f0f0f, v5
	v_dot4c_i32_i8_e32 v149, v3, v111
	v_dot4c_i32_i8_e32 v149, v5, v143
	v_and_b32_e32 v3, 0xf0f0f0f, v156
	v_mul_f32_e32 v104, 0x41000000, v104
	v_dot4c_i32_i8_e32 v149, v3, v112
	v_and_b32_e32 v3, 0xf0f0f0f, v157
	v_lshrrev_b32_e32 v5, 4, v156
	v_pk_fma_f32 v[146:147], v[2:3], v[146:147], v[104:105] op_sel_hi:[0,1,0] neg_lo:[0,0,1] neg_hi:[0,0,1]
	v_mov_b32_e32 v150, v152
	v_mov_b32_e32 v151, v108
	v_cvt_f32_i32_e32 v155, v117
	v_cvt_f32_i32_e32 v154, v17
	v_cvt_f32_f16_e32 v4, v4
	v_and_b32_e32 v5, 0xf0f0f0f, v5
	v_pk_fma_f32 v[22:23], v[150:151], v[146:147], v[22:23]
	v_cvt_f32_i32_e32 v147, v164
	v_cvt_f32_i32_e32 v146, v15
	v_dot4c_i32_i8_e32 v149, v5, v144
	v_lshrrev_b32_e32 v5, 4, v157
	v_mul_f32_e32 v16, 0x41000000, v16
	v_and_b32_e32 v5, 0xf0f0f0f, v5
	v_dot4c_i32_i8_e32 v149, v3, v113
	v_dot4c_i32_i8_e32 v149, v5, v145
	v_pk_fma_f32 v[150:151], v[14:15], v[154:155], v[16:17] op_sel_hi:[0,1,0] neg_lo:[0,0,1] neg_hi:[0,0,1]
	v_mov_b32_e32 v108, v153
	v_pk_fma_f32 v[22:23], v[108:109], v[150:151], v[22:23]
	v_pk_fma_f32 v[108:109], v[4:5], v[146:147], v[6:7] op_sel_hi:[0,1,0] neg_lo:[0,0,1] neg_hi:[0,0,1]
	v_cvt_f32_i32_e32 v147, v149
	v_cvt_f32_i32_e32 v146, v7
	v_and_b32_e32 v3, 0xf0f0f0f, v158
	v_lshrrev_b32_e32 v5, 4, v158
	v_mov_b32_e32 v17, 0
	v_and_b32_e32 v5, 0xf0f0f0f, v5
	v_dot4c_i32_i8_e32 v17, v3, v110
	v_mov_b32_e32 v150, v20
	v_mov_b32_e32 v151, v18
	v_dot4c_i32_i8_e32 v17, v5, v142
	v_and_b32_e32 v3, 0xf0f0f0f, v159
	v_pk_fma_f32 v[22:23], v[150:151], v[108:109], v[22:23]
	v_pk_fma_f32 v[108:109], v[148:149], v[146:147], v[160:161] op_sel_hi:[0,1,0] neg_lo:[0,0,1] neg_hi:[0,0,1]
	v_mov_b32_e32 v18, v21
	v_dot4c_i32_i8_e32 v17, v3, v111
	v_add_u32_e32 v3, 0x2178, v37
	v_pk_fma_f32 v[22:23], v[18:19], v[108:109], v[22:23]
	ds_read2_b32 v[18:19], v3 offset1:1
	v_lshrrev_b32_e32 v5, 4, v159
	v_and_b32_e32 v5, 0xf0f0f0f, v5
	v_dot4c_i32_i8_e32 v17, v5, v143
	v_add_u32_e32 v3, 0x31f0, v37
	v_add_u32_e32 v5, 0x31f8, v37
	ds_read2_b32 v[20:21], v3 offset1:1
	ds_read2_b32 v[108:109], v5 offset1:1
	s_waitcnt lgkmcnt(2)
	v_and_b32_e32 v3, 0xf0f0f0f, v18
	v_lshrrev_b32_e32 v5, 4, v18
	v_and_b32_e32 v5, 0xf0f0f0f, v5
	v_dot4c_i32_i8_e32 v17, v3, v112
	v_dot4c_i32_i8_e32 v17, v5, v144
	v_and_b32_e32 v3, 0xf0f0f0f, v19
	v_lshrrev_b32_e32 v5, 4, v19
	v_and_b32_e32 v5, 0xf0f0f0f, v5
	v_dot4c_i32_i8_e32 v17, v3, v113
	v_dot4c_i32_i8_e32 v17, v5, v145
	s_waitcnt lgkmcnt(1)
	v_and_b32_e32 v3, 0xf0f0f0f, v20
	v_lshrrev_b32_e32 v5, 4, v20
	v_mov_b32_e32 v7, 0
	v_and_b32_e32 v5, 0xf0f0f0f, v5
	v_dot4c_i32_i8_e32 v7, v3, v110
	v_dot4c_i32_i8_e32 v7, v5, v142
	v_and_b32_e32 v3, 0xf0f0f0f, v21
	v_lshrrev_b32_e32 v5, 4, v21
	v_and_b32_e32 v5, 0xf0f0f0f, v5
	v_dot4c_i32_i8_e32 v7, v3, v111
	v_cvt_f32_i32_e32 v19, v116
	v_cvt_f32_i32_e32 v18, v115
	v_dot4c_i32_i8_e32 v7, v5, v143
	s_waitcnt lgkmcnt(0)
	v_and_b32_e32 v3, 0xf0f0f0f, v108
	v_lshrrev_b32_e32 v5, 4, v108
	v_and_b32_e32 v5, 0xf0f0f0f, v5
	v_dot4c_i32_i8_e32 v7, v3, v112
	v_dot4c_i32_i8_e32 v7, v5, v144
	v_and_b32_e32 v3, 0xf0f0f0f, v109
	v_dot4c_i32_i8_e32 v7, v3, v113
	v_pk_fma_f32 v[2:3], v[2:3], v[18:19], v[104:105] op_sel_hi:[0,1,0] neg_lo:[0,0,1] neg_hi:[0,0,1]
	v_mov_b32_e32 v18, v8
	v_mov_b32_e32 v19, v12
	v_pk_fma_f32 v[2:3], v[18:19], v[2:3], v[94:95]
	v_cvt_f32_i32_e32 v19, v166
	v_cvt_f32_i32_e32 v18, v165
	v_lshrrev_b32_e32 v5, 4, v109
	v_and_b32_e32 v5, 0xf0f0f0f, v5
	v_cvt_f32_i32_e32 v21, v163
	v_cvt_f32_i32_e32 v20, v162
	v_dot4c_i32_i8_e32 v7, v5, v145
	v_mov_b32_e32 v12, v9
	v_mov_b32_e32 v8, v10
	v_pk_fma_f32 v[14:15], v[14:15], v[20:21], v[16:17] op_sel_hi:[0,1,0] neg_lo:[0,0,1] neg_hi:[0,0,1]
	v_pk_fma_f32 v[4:5], v[4:5], v[18:19], v[6:7] op_sel_hi:[0,1,0] neg_lo:[0,0,1] neg_hi:[0,0,1]
	v_cvt_f32_i32_e32 v7, v7
	v_cvt_f32_i32_e32 v6, v17
	v_pk_fma_f32 v[2:3], v[12:13], v[14:15], v[2:3]
	v_mov_b32_e32 v9, v106
	v_pk_fma_f32 v[2:3], v[8:9], v[4:5], v[2:3]
	v_pk_fma_f32 v[4:5], v[148:149], v[6:7], v[160:161] op_sel_hi:[0,1,0] neg_lo:[0,0,1] neg_hi:[0,0,1]
	v_mov_b32_e32 v106, v11
	v_pk_fma_f32 v[94:95], v[106:107], v[4:5], v[2:3]
	s_barrier
.LBB218_5:                              ;   in Loop: Header=BB218_6 Depth=1
	s_add_i32 s4, s4, 8
	s_addk_i32 s6, 0x100
	v_lshl_add_u64 v[60:61], v[60:61], 0, s[12:13]
	v_lshl_add_u64 v[62:63], v[62:63], 0, s[20:21]
	;; [unrolled: 1-line block ×20, first 2 shown]
	s_cmp_ge_i32 s4, s24
	v_lshl_add_u64 v[102:103], v[102:103], 0, s[20:21]
	s_cbranch_scc1 .LBB218_19
.LBB218_6:                              ; =>This Inner Loop Header: Depth=1
	v_lshl_add_u64 v[2:3], v[62:63], 0, s[18:19]
	global_load_dword v4, v[2:3], off
	v_lshl_add_u64 v[2:3], v[64:65], 0, s[18:19]
	global_load_dword v5, v[2:3], off
	;; [unrolled: 2-line block ×16, first 2 shown]
	v_lshl_add_u64 v[2:3], v[96:97], 0, s[18:19]
	global_load_ushort v20, v[2:3], off
	v_lshl_add_u64 v[2:3], v[98:99], 0, s[18:19]
	global_load_ushort v21, v[2:3], off
	;; [unrolled: 2-line block ×4, first 2 shown]
	s_add_i32 s2, s6, 0xffffff80
	s_cmp_lt_i32 s2, s5
	s_waitcnt vmcnt(19)
	ds_write_b32 v26, v4
	s_waitcnt vmcnt(18)
	ds_write_b32 v28, v5
	;; [unrolled: 2-line block ×16, first 2 shown]
	s_waitcnt vmcnt(3)
	v_cvt_f32_f16_e32 v3, v20
	s_waitcnt vmcnt(2)
	v_cvt_f32_f16_e32 v4, v21
	;; [unrolled: 2-line block ×4, first 2 shown]
	ds_write_b32 v53, v3
	ds_write_b32 v55, v4
	;; [unrolled: 1-line block ×4, first 2 shown]
	s_cbranch_scc0 .LBB218_5
; %bb.7:                                ;   in Loop: Header=BB218_6 Depth=1
	v_add_u32_e32 v2, s4, v27
	v_cmp_gt_i32_e64 s[2:3], s8, v2
	s_and_b64 s[22:23], s[0:1], s[2:3]
	s_and_saveexec_b64 s[2:3], s[22:23]
	s_cbranch_execz .LBB218_9
; %bb.8:                                ;   in Loop: Header=BB218_6 Depth=1
	v_add_u32_e32 v2, s4, v51
	v_mad_i64_i32 v[2:3], s[22:23], v2, 36, v[58:59]
	global_load_dword v2, v[2:3], off offset:4
	s_waitcnt vmcnt(0)
	ds_write_b32 v29, v2
.LBB218_9:                              ;   in Loop: Header=BB218_6 Depth=1
	s_or_b64 exec, exec, s[2:3]
	s_and_saveexec_b64 s[22:23], vcc
	s_cbranch_execz .LBB218_12
; %bb.10:                               ;   in Loop: Header=BB218_6 Depth=1
	v_add_u32_e32 v2, s4, v24
	v_cmp_gt_i32_e64 s[2:3], s8, v2
	s_and_b64 s[2:3], s[0:1], s[2:3]
	s_and_b64 exec, exec, s[2:3]
	s_cbranch_execz .LBB218_12
; %bb.11:                               ;   in Loop: Header=BB218_6 Depth=1
	v_add_u32_e32 v2, s4, v25
	v_mad_i64_i32 v[2:3], s[2:3], v2, 36, s[14:15]
	global_load_dword v2, v[2:3], off
	s_waitcnt vmcnt(0)
	ds_write_b32 v31, v2
.LBB218_12:                             ;   in Loop: Header=BB218_6 Depth=1
	s_or_b64 exec, exec, s[22:23]
	s_waitcnt lgkmcnt(0)
	s_barrier
	ds_read_b128 v[2:5], v35
	ds_read_b128 v[14:17], v33
	ds_read_b128 v[18:21], v33 offset:16
	ds_read2_b32 v[106:107], v37 offset1:1
	v_mov_b32_e32 v146, 0
	ds_read_b128 v[6:9], v33 offset:32
	ds_read_b128 v[10:13], v33 offset:48
	v_mov_b32_e32 v147, 0
	v_mov_b32_e32 v163, 0
	s_waitcnt lgkmcnt(2)
	v_and_b32_e32 v108, 0xf0f0f0f, v106
	v_lshrrev_b32_e32 v106, 4, v106
	v_and_b32_e32 v106, 0xf0f0f0f, v106
	v_dot4c_i32_i8_e32 v146, v108, v14
	v_dot4c_i32_i8_e32 v146, v106, v18
	v_and_b32_e32 v106, 0xf0f0f0f, v107
	v_lshrrev_b32_e32 v107, 4, v107
	v_and_b32_e32 v108, 0xf0f0f0f, v107
	v_dot4c_i32_i8_e32 v146, v106, v15
	ds_read2_b32 v[106:107], v37 offset0:2 offset1:3
	v_dot4c_i32_i8_e32 v146, v108, v19
	ds_read2_b32 v[110:111], v37 offset0:4 offset1:5
	ds_read2_b32 v[112:113], v37 offset0:6 offset1:7
	ds_read2_b32 v[114:115], v37 offset0:8 offset1:9
	v_mov_b32_e32 v165, 0
	v_cvt_f32_f16_e32 v162, v5
	s_waitcnt lgkmcnt(3)
	v_and_b32_e32 v108, 0xf0f0f0f, v106
	v_dot4c_i32_i8_e32 v146, v108, v16
	ds_read2_b32 v[108:109], v118 offset1:1
	v_lshrrev_b32_e32 v106, 4, v106
	v_and_b32_e32 v106, 0xf0f0f0f, v106
	v_dot4c_i32_i8_e32 v146, v106, v20
	v_and_b32_e32 v106, 0xf0f0f0f, v107
	v_lshrrev_b32_e32 v107, 4, v107
	v_and_b32_e32 v107, 0xf0f0f0f, v107
	v_dot4c_i32_i8_e32 v146, v106, v17
	v_dot4c_i32_i8_e32 v146, v107, v21
	ds_read2_b32 v[106:107], v45 offset0:2 offset1:3
	s_waitcnt lgkmcnt(1)
	v_and_b32_e32 v116, 0xf0f0f0f, v108
	v_lshrrev_b32_e32 v108, 4, v108
	v_and_b32_e32 v108, 0xf0f0f0f, v108
	v_dot4c_i32_i8_e32 v147, v116, v14
	v_dot4c_i32_i8_e32 v147, v108, v18
	v_and_b32_e32 v108, 0xf0f0f0f, v109
	v_lshrrev_b32_e32 v109, 4, v109
	v_and_b32_e32 v116, 0xf0f0f0f, v109
	v_dot4c_i32_i8_e32 v147, v108, v15
	ds_read2_b32 v[108:109], v119 offset1:1
	v_dot4c_i32_i8_e32 v147, v116, v19
	ds_read2_b32 v[116:117], v120 offset1:1
	ds_read2_b32 v[142:143], v121 offset1:1
	ds_read2_b32 v[144:145], v122 offset1:1
	v_cvt_f32_f16_sdwa v104, v2 dst_sel:DWORD dst_unused:UNUSED_PAD src0_sel:WORD_1
	v_cvt_f32_f16_e32 v2, v2
	s_waitcnt lgkmcnt(3)
	v_and_b32_e32 v148, 0xf0f0f0f, v108
	v_lshrrev_b32_e32 v108, 4, v108
	v_and_b32_e32 v108, 0xf0f0f0f, v108
	v_dot4c_i32_i8_e32 v147, v148, v16
	v_dot4c_i32_i8_e32 v147, v108, v20
	v_and_b32_e32 v108, 0xf0f0f0f, v109
	v_lshrrev_b32_e32 v109, 4, v109
	v_and_b32_e32 v109, 0xf0f0f0f, v109
	v_dot4c_i32_i8_e32 v147, v108, v17
	v_dot4c_i32_i8_e32 v147, v109, v21
	v_cvt_f32_i32_e32 v108, v146
	s_waitcnt lgkmcnt(2)
	v_and_b32_e32 v146, 0xf0f0f0f, v116
	v_lshrrev_b32_e32 v116, 4, v116
	v_cvt_f32_i32_e32 v109, v147
	v_mov_b32_e32 v147, 0
	v_and_b32_e32 v116, 0xf0f0f0f, v116
	v_dot4c_i32_i8_e32 v147, v146, v14
	v_dot4c_i32_i8_e32 v147, v116, v18
	v_and_b32_e32 v116, 0xf0f0f0f, v117
	v_lshrrev_b32_e32 v117, 4, v117
	v_and_b32_e32 v117, 0xf0f0f0f, v117
	v_dot4c_i32_i8_e32 v147, v116, v15
	v_dot4c_i32_i8_e32 v147, v117, v19
	s_waitcnt lgkmcnt(1)
	v_and_b32_e32 v116, 0xf0f0f0f, v142
	v_lshrrev_b32_e32 v117, 4, v142
	v_and_b32_e32 v117, 0xf0f0f0f, v117
	v_dot4c_i32_i8_e32 v147, v116, v16
	v_dot4c_i32_i8_e32 v147, v117, v20
	v_and_b32_e32 v116, 0xf0f0f0f, v143
	v_lshrrev_b32_e32 v117, 4, v143
	v_and_b32_e32 v117, 0xf0f0f0f, v117
	v_dot4c_i32_i8_e32 v147, v116, v17
	v_dot4c_i32_i8_e32 v147, v117, v21
	s_waitcnt lgkmcnt(0)
	v_and_b32_e32 v116, 0xf0f0f0f, v144
	v_lshrrev_b32_e32 v117, 4, v144
	v_mov_b32_e32 v146, 0
	v_and_b32_e32 v117, 0xf0f0f0f, v117
	v_dot4c_i32_i8_e32 v146, v116, v14
	v_dot4c_i32_i8_e32 v146, v117, v18
	v_and_b32_e32 v14, 0xf0f0f0f, v145
	v_dot4c_i32_i8_e32 v146, v14, v15
	ds_read2_b32 v[14:15], v123 offset1:1
	v_lshrrev_b32_e32 v18, 4, v145
	v_and_b32_e32 v18, 0xf0f0f0f, v18
	v_dot4c_i32_i8_e32 v146, v18, v19
	ds_read2_b32 v[116:117], v124 offset1:1
	ds_read2_b32 v[142:143], v125 offset1:1
	;; [unrolled: 1-line block ×3, first 2 shown]
	s_waitcnt lgkmcnt(3)
	v_and_b32_e32 v18, 0xf0f0f0f, v14
	v_lshrrev_b32_e32 v14, 4, v14
	v_and_b32_e32 v14, 0xf0f0f0f, v14
	v_dot4c_i32_i8_e32 v146, v18, v16
	v_dot4c_i32_i8_e32 v146, v14, v20
	v_and_b32_e32 v14, 0xf0f0f0f, v15
	v_lshrrev_b32_e32 v15, 4, v15
	v_and_b32_e32 v15, 0xf0f0f0f, v15
	v_dot4c_i32_i8_e32 v146, v14, v17
	v_dot4c_i32_i8_e32 v146, v15, v21
	v_cvt_f32_f16_sdwa v15, v3 dst_sel:DWORD dst_unused:UNUSED_PAD src0_sel:WORD_1
	v_cvt_f32_f16_e32 v14, v3
	v_and_b32_e32 v3, 0xf0f0f0f, v110
	v_mov_b32_e32 v17, 0
	v_mul_f32_e32 v16, 0x41000000, v15
	v_lshrrev_b32_e32 v15, 4, v110
	v_and_b32_e32 v15, 0xf0f0f0f, v15
	v_dot4c_i32_i8_e32 v17, v3, v6
	v_dot4c_i32_i8_e32 v17, v15, v10
	v_and_b32_e32 v3, 0xf0f0f0f, v111
	v_lshrrev_b32_e32 v15, 4, v111
	v_and_b32_e32 v15, 0xf0f0f0f, v15
	v_dot4c_i32_i8_e32 v17, v3, v7
	v_dot4c_i32_i8_e32 v17, v15, v11
	v_and_b32_e32 v3, 0xf0f0f0f, v112
	;; [unrolled: 5-line block ×3, first 2 shown]
	v_lshrrev_b32_e32 v15, 4, v113
	v_and_b32_e32 v15, 0xf0f0f0f, v15
	v_dot4c_i32_i8_e32 v17, v3, v9
	v_dot4c_i32_i8_e32 v17, v15, v13
	s_waitcnt lgkmcnt(2)
	v_and_b32_e32 v3, 0xf0f0f0f, v116
	v_lshrrev_b32_e32 v15, 4, v116
	v_mov_b32_e32 v20, 0
	v_and_b32_e32 v15, 0xf0f0f0f, v15
	v_dot4c_i32_i8_e32 v20, v3, v6
	v_dot4c_i32_i8_e32 v20, v15, v10
	v_and_b32_e32 v3, 0xf0f0f0f, v117
	v_lshrrev_b32_e32 v15, 4, v117
	v_and_b32_e32 v15, 0xf0f0f0f, v15
	v_dot4c_i32_i8_e32 v20, v3, v7
	v_dot4c_i32_i8_e32 v20, v15, v11
	s_waitcnt lgkmcnt(1)
	v_and_b32_e32 v3, 0xf0f0f0f, v142
	v_lshrrev_b32_e32 v15, 4, v142
	v_and_b32_e32 v15, 0xf0f0f0f, v15
	v_dot4c_i32_i8_e32 v20, v3, v8
	v_dot4c_i32_i8_e32 v20, v15, v12
	v_and_b32_e32 v3, 0xf0f0f0f, v143
	v_lshrrev_b32_e32 v15, 4, v143
	v_and_b32_e32 v15, 0xf0f0f0f, v15
	v_dot4c_i32_i8_e32 v20, v3, v9
	v_dot4c_i32_i8_e32 v20, v15, v13
	ds_read2_b32 v[110:111], v127 offset1:1
	s_waitcnt lgkmcnt(1)
	v_and_b32_e32 v3, 0xf0f0f0f, v144
	v_lshrrev_b32_e32 v15, 4, v144
	v_cvt_f32_i32_e32 v21, v20
	v_cvt_f32_i32_e32 v20, v17
	v_mov_b32_e32 v17, 0
	v_and_b32_e32 v15, 0xf0f0f0f, v15
	v_dot4c_i32_i8_e32 v17, v3, v6
	v_dot4c_i32_i8_e32 v17, v15, v10
	v_and_b32_e32 v3, 0xf0f0f0f, v145
	v_lshrrev_b32_e32 v15, 4, v145
	v_and_b32_e32 v15, 0xf0f0f0f, v15
	v_dot4c_i32_i8_e32 v17, v3, v7
	v_dot4c_i32_i8_e32 v17, v15, v11
	s_waitcnt lgkmcnt(0)
	v_and_b32_e32 v3, 0xf0f0f0f, v110
	v_lshrrev_b32_e32 v15, 4, v110
	ds_read2_b32 v[112:113], v128 offset1:1
	ds_read2_b32 v[116:117], v129 offset1:1
	ds_read2_b32 v[150:151], v130 offset1:1
	v_and_b32_e32 v15, 0xf0f0f0f, v15
	v_dot4c_i32_i8_e32 v17, v3, v8
	v_dot4c_i32_i8_e32 v17, v15, v12
	v_and_b32_e32 v3, 0xf0f0f0f, v111
	v_lshrrev_b32_e32 v15, 4, v111
	v_and_b32_e32 v15, 0xf0f0f0f, v15
	v_dot4c_i32_i8_e32 v17, v3, v9
	v_dot4c_i32_i8_e32 v17, v15, v13
	s_waitcnt lgkmcnt(2)
	v_and_b32_e32 v3, 0xf0f0f0f, v112
	v_lshrrev_b32_e32 v15, 4, v112
	v_mov_b32_e32 v110, 0
	v_and_b32_e32 v15, 0xf0f0f0f, v15
	v_dot4c_i32_i8_e32 v110, v3, v6
	v_dot4c_i32_i8_e32 v110, v15, v10
	v_and_b32_e32 v3, 0xf0f0f0f, v113
	v_lshrrev_b32_e32 v6, 4, v113
	v_and_b32_e32 v6, 0xf0f0f0f, v6
	v_dot4c_i32_i8_e32 v110, v3, v7
	v_dot4c_i32_i8_e32 v110, v6, v11
	s_waitcnt lgkmcnt(1)
	v_and_b32_e32 v3, 0xf0f0f0f, v116
	v_lshrrev_b32_e32 v6, 4, v116
	v_and_b32_e32 v6, 0xf0f0f0f, v6
	v_dot4c_i32_i8_e32 v110, v3, v8
	v_dot4c_i32_i8_e32 v110, v6, v12
	v_and_b32_e32 v3, 0xf0f0f0f, v117
	v_lshrrev_b32_e32 v6, 4, v117
	v_dot4c_i32_i8_e32 v110, v3, v9
	v_cvt_f32_f16_sdwa v3, v4 dst_sel:DWORD dst_unused:UNUSED_PAD src0_sel:WORD_1
	v_cvt_f32_i32_e32 v19, v146
	v_cvt_f32_i32_e32 v18, v147
	v_and_b32_e32 v6, 0xf0f0f0f, v6
	ds_read_b128 v[142:145], v33 offset:64
	ds_read_b128 v[146:149], v33 offset:80
	v_dot4c_i32_i8_e32 v110, v6, v13
	v_mul_f32_e32 v8, 0x41000000, v3
	v_and_b32_e32 v3, 0xf0f0f0f, v114
	v_lshrrev_b32_e32 v9, 4, v114
	v_cvt_f32_i32_e32 v7, v110
	ds_read2_b32 v[10:11], v43 offset1:1
	ds_read2_b32 v[110:111], v41 offset0:2 offset1:3
	ds_read2_b32 v[116:117], v41 offset1:1
	ds_read2_b32 v[112:113], v39 offset0:2 offset1:3
	ds_read2_b32 v[12:13], v37 offset0:10 offset1:11
	v_mov_b32_e32 v15, 0
	v_and_b32_e32 v9, 0xf0f0f0f, v9
	s_waitcnt lgkmcnt(6)
	v_dot4c_i32_i8_e32 v15, v3, v142
	s_waitcnt lgkmcnt(5)
	v_dot4c_i32_i8_e32 v15, v9, v146
	v_and_b32_e32 v3, 0xf0f0f0f, v115
	v_lshrrev_b32_e32 v9, 4, v115
	v_and_b32_e32 v9, 0xf0f0f0f, v9
	v_dot4c_i32_i8_e32 v15, v3, v143
	v_dot4c_i32_i8_e32 v15, v9, v147
	s_waitcnt lgkmcnt(0)
	v_and_b32_e32 v3, 0xf0f0f0f, v12
	v_lshrrev_b32_e32 v9, 4, v12
	v_and_b32_e32 v9, 0xf0f0f0f, v9
	v_dot4c_i32_i8_e32 v15, v3, v144
	v_dot4c_i32_i8_e32 v15, v9, v148
	v_and_b32_e32 v3, 0xf0f0f0f, v13
	v_lshrrev_b32_e32 v9, 4, v13
	ds_read2_b32 v[152:153], v37 offset0:12 offset1:13
	ds_read2_b32 v[154:155], v39 offset1:1
	ds_read2_b32 v[156:157], v37 offset0:14 offset1:15
	v_and_b32_e32 v9, 0xf0f0f0f, v9
	v_dot4c_i32_i8_e32 v15, v3, v145
	ds_read2_b32 v[12:13], v131 offset1:1
	v_cvt_f32_i32_e32 v6, v17
	v_dot4c_i32_i8_e32 v15, v9, v149
	v_and_b32_e32 v3, 0xf0f0f0f, v150
	v_lshrrev_b32_e32 v9, 4, v150
	v_mov_b32_e32 v17, 0
	v_and_b32_e32 v9, 0xf0f0f0f, v9
	v_dot4c_i32_i8_e32 v17, v3, v142
	v_dot4c_i32_i8_e32 v17, v9, v146
	v_and_b32_e32 v3, 0xf0f0f0f, v151
	v_lshrrev_b32_e32 v9, 4, v151
	v_and_b32_e32 v9, 0xf0f0f0f, v9
	v_dot4c_i32_i8_e32 v17, v3, v143
	v_dot4c_i32_i8_e32 v17, v9, v147
	s_waitcnt lgkmcnt(0)
	v_and_b32_e32 v3, 0xf0f0f0f, v12
	v_lshrrev_b32_e32 v9, 4, v12
	ds_read2_b32 v[150:151], v132 offset1:1
	ds_read2_b32 v[158:159], v133 offset1:1
	;; [unrolled: 1-line block ×3, first 2 shown]
	v_and_b32_e32 v9, 0xf0f0f0f, v9
	v_dot4c_i32_i8_e32 v17, v3, v144
	v_dot4c_i32_i8_e32 v17, v9, v148
	v_and_b32_e32 v3, 0xf0f0f0f, v13
	v_lshrrev_b32_e32 v9, 4, v13
	v_and_b32_e32 v9, 0xf0f0f0f, v9
	v_dot4c_i32_i8_e32 v17, v3, v145
	v_dot4c_i32_i8_e32 v17, v9, v149
	s_waitcnt lgkmcnt(2)
	v_and_b32_e32 v3, 0xf0f0f0f, v150
	v_lshrrev_b32_e32 v9, 4, v150
	v_and_b32_e32 v9, 0xf0f0f0f, v9
	v_dot4c_i32_i8_e32 v163, v3, v142
	v_dot4c_i32_i8_e32 v163, v9, v146
	v_and_b32_e32 v3, 0xf0f0f0f, v151
	v_lshrrev_b32_e32 v9, 4, v151
	v_and_b32_e32 v9, 0xf0f0f0f, v9
	v_dot4c_i32_i8_e32 v163, v3, v143
	v_dot4c_i32_i8_e32 v163, v9, v147
	s_waitcnt lgkmcnt(1)
	v_and_b32_e32 v3, 0xf0f0f0f, v158
	v_lshrrev_b32_e32 v9, 4, v158
	;; [unrolled: 11-line block ×3, first 2 shown]
	v_and_b32_e32 v9, 0xf0f0f0f, v9
	v_dot4c_i32_i8_e32 v165, v3, v142
	v_dot4c_i32_i8_e32 v165, v9, v146
	v_and_b32_e32 v3, 0xf0f0f0f, v161
	ds_read2_b32 v[114:115], v45 offset1:1
	ds_read2_b32 v[12:13], v43 offset0:2 offset1:3
	v_dot4c_i32_i8_e32 v165, v3, v143
	ds_read2_b32 v[142:143], v135 offset1:1
	v_lshrrev_b32_e32 v9, 4, v161
	v_and_b32_e32 v9, 0xf0f0f0f, v9
	v_dot4c_i32_i8_e32 v165, v9, v147
	ds_read2_b32 v[150:151], v136 offset1:1
	ds_read2_b32 v[158:159], v137 offset1:1
	;; [unrolled: 1-line block ×3, first 2 shown]
	s_waitcnt lgkmcnt(3)
	v_and_b32_e32 v3, 0xf0f0f0f, v142
	v_lshrrev_b32_e32 v9, 4, v142
	v_and_b32_e32 v9, 0xf0f0f0f, v9
	v_dot4c_i32_i8_e32 v165, v3, v144
	v_dot4c_i32_i8_e32 v165, v9, v148
	v_and_b32_e32 v3, 0xf0f0f0f, v143
	v_lshrrev_b32_e32 v9, 4, v143
	v_and_b32_e32 v9, 0xf0f0f0f, v9
	v_dot4c_i32_i8_e32 v165, v3, v145
	v_cvt_f32_f16_sdwa v3, v5 dst_sel:DWORD dst_unused:UNUSED_PAD src0_sel:WORD_1
	v_dot4c_i32_i8_e32 v165, v9, v149
	ds_read_b128 v[142:145], v33 offset:96
	ds_read_b128 v[146:149], v33 offset:112
	v_lshrrev_b32_e32 v5, 4, v152
	v_mul_f32_e32 v164, 0x41000000, v3
	v_and_b32_e32 v3, 0xf0f0f0f, v152
	v_mov_b32_e32 v9, 0
	v_and_b32_e32 v5, 0xf0f0f0f, v5
	s_waitcnt lgkmcnt(1)
	v_dot4c_i32_i8_e32 v9, v3, v142
	s_waitcnt lgkmcnt(0)
	v_dot4c_i32_i8_e32 v9, v5, v146
	v_and_b32_e32 v3, 0xf0f0f0f, v153
	v_lshrrev_b32_e32 v5, 4, v153
	v_and_b32_e32 v5, 0xf0f0f0f, v5
	v_dot4c_i32_i8_e32 v9, v3, v143
	v_dot4c_i32_i8_e32 v9, v5, v147
	v_and_b32_e32 v3, 0xf0f0f0f, v156
	v_lshrrev_b32_e32 v5, 4, v156
	v_and_b32_e32 v5, 0xf0f0f0f, v5
	v_dot4c_i32_i8_e32 v9, v3, v144
	;; [unrolled: 5-line block ×3, first 2 shown]
	v_dot4c_i32_i8_e32 v9, v5, v149
	v_and_b32_e32 v3, 0xf0f0f0f, v150
	v_lshrrev_b32_e32 v5, 4, v150
	v_mov_b32_e32 v152, 0
	v_and_b32_e32 v5, 0xf0f0f0f, v5
	v_dot4c_i32_i8_e32 v152, v3, v142
	v_dot4c_i32_i8_e32 v152, v5, v146
	v_and_b32_e32 v3, 0xf0f0f0f, v151
	v_lshrrev_b32_e32 v5, 4, v151
	v_and_b32_e32 v5, 0xf0f0f0f, v5
	v_dot4c_i32_i8_e32 v152, v3, v143
	v_dot4c_i32_i8_e32 v152, v5, v147
	v_and_b32_e32 v3, 0xf0f0f0f, v158
	v_mul_f32_e32 v104, 0x41000000, v104
	v_dot4c_i32_i8_e32 v152, v3, v144
	v_and_b32_e32 v3, 0xf0f0f0f, v159
	v_lshrrev_b32_e32 v5, 4, v158
	v_pk_fma_f32 v[108:109], v[2:3], v[108:109], v[104:105] op_sel_hi:[0,1,0] neg_lo:[0,0,1] neg_hi:[0,0,1]
	v_mov_b32_e32 v150, v154
	v_mov_b32_e32 v151, v116
	v_cvt_f32_f16_e32 v4, v4
	v_and_b32_e32 v5, 0xf0f0f0f, v5
	v_pk_fma_f32 v[22:23], v[150:151], v[108:109], v[22:23]
	v_cvt_f32_i32_e32 v109, v17
	v_cvt_f32_i32_e32 v108, v15
	v_dot4c_i32_i8_e32 v152, v5, v148
	v_lshrrev_b32_e32 v5, 4, v159
	v_and_b32_e32 v5, 0xf0f0f0f, v5
	v_dot4c_i32_i8_e32 v152, v3, v145
	v_dot4c_i32_i8_e32 v152, v5, v149
	v_pk_fma_f32 v[20:21], v[14:15], v[20:21], v[16:17] op_sel_hi:[0,1,0] neg_lo:[0,0,1] neg_hi:[0,0,1]
	v_mov_b32_e32 v116, v155
	v_pk_fma_f32 v[20:21], v[116:117], v[20:21], v[22:23]
	v_pk_fma_f32 v[22:23], v[4:5], v[108:109], v[8:9] op_sel_hi:[0,1,0] neg_lo:[0,0,1] neg_hi:[0,0,1]
	v_cvt_f32_i32_e32 v109, v152
	v_cvt_f32_i32_e32 v108, v9
	v_mov_b32_e32 v116, v112
	v_mov_b32_e32 v117, v110
	v_pk_fma_f32 v[20:21], v[116:117], v[22:23], v[20:21]
	v_pk_fma_f32 v[22:23], v[162:163], v[108:109], v[164:165] op_sel_hi:[0,1,0] neg_lo:[0,0,1] neg_hi:[0,0,1]
	v_mov_b32_e32 v110, v113
	v_pk_fma_f32 v[22:23], v[110:111], v[22:23], v[20:21]
	ds_read2_b32 v[20:21], v139 offset1:1
	v_and_b32_e32 v3, 0xf0f0f0f, v160
	v_lshrrev_b32_e32 v5, 4, v160
	v_mov_b32_e32 v9, 0
	v_and_b32_e32 v5, 0xf0f0f0f, v5
	v_dot4c_i32_i8_e32 v9, v3, v142
	v_dot4c_i32_i8_e32 v9, v5, v146
	v_and_b32_e32 v3, 0xf0f0f0f, v161
	v_lshrrev_b32_e32 v5, 4, v161
	v_and_b32_e32 v5, 0xf0f0f0f, v5
	v_dot4c_i32_i8_e32 v9, v3, v143
	v_dot4c_i32_i8_e32 v9, v5, v147
	ds_read2_b32 v[108:109], v140 offset1:1
	ds_read2_b32 v[110:111], v141 offset1:1
	s_waitcnt lgkmcnt(2)
	v_and_b32_e32 v3, 0xf0f0f0f, v20
	v_lshrrev_b32_e32 v5, 4, v20
	v_and_b32_e32 v5, 0xf0f0f0f, v5
	v_dot4c_i32_i8_e32 v9, v3, v144
	v_dot4c_i32_i8_e32 v9, v5, v148
	v_and_b32_e32 v3, 0xf0f0f0f, v21
	v_lshrrev_b32_e32 v5, 4, v21
	v_and_b32_e32 v5, 0xf0f0f0f, v5
	v_dot4c_i32_i8_e32 v9, v3, v145
	v_dot4c_i32_i8_e32 v9, v5, v149
	s_waitcnt lgkmcnt(1)
	v_and_b32_e32 v3, 0xf0f0f0f, v108
	v_lshrrev_b32_e32 v5, 4, v108
	v_mov_b32_e32 v15, 0
	v_and_b32_e32 v5, 0xf0f0f0f, v5
	v_dot4c_i32_i8_e32 v15, v3, v142
	v_dot4c_i32_i8_e32 v15, v5, v146
	v_and_b32_e32 v3, 0xf0f0f0f, v109
	v_lshrrev_b32_e32 v5, 4, v109
	v_and_b32_e32 v5, 0xf0f0f0f, v5
	v_dot4c_i32_i8_e32 v15, v3, v143
	v_dot4c_i32_i8_e32 v15, v5, v147
	s_waitcnt lgkmcnt(0)
	v_and_b32_e32 v3, 0xf0f0f0f, v110
	v_lshrrev_b32_e32 v5, 4, v110
	v_and_b32_e32 v5, 0xf0f0f0f, v5
	v_dot4c_i32_i8_e32 v15, v3, v144
	v_dot4c_i32_i8_e32 v15, v5, v148
	v_and_b32_e32 v3, 0xf0f0f0f, v111
	v_lshrrev_b32_e32 v5, 4, v111
	v_and_b32_e32 v5, 0xf0f0f0f, v5
	v_dot4c_i32_i8_e32 v15, v3, v145
	v_dot4c_i32_i8_e32 v15, v5, v149
	v_pk_fma_f32 v[2:3], v[2:3], v[18:19], v[104:105] op_sel_hi:[0,1,0] neg_lo:[0,0,1] neg_hi:[0,0,1]
	v_mov_b32_e32 v18, v10
	v_mov_b32_e32 v19, v114
	v_pk_fma_f32 v[2:3], v[18:19], v[2:3], v[94:95]
	v_cvt_f32_i32_e32 v19, v165
	v_cvt_f32_i32_e32 v18, v163
	v_pk_fma_f32 v[6:7], v[14:15], v[6:7], v[16:17] op_sel_hi:[0,1,0] neg_lo:[0,0,1] neg_hi:[0,0,1]
	v_mov_b32_e32 v114, v11
	v_pk_fma_f32 v[2:3], v[114:115], v[6:7], v[2:3]
	v_cvt_f32_i32_e32 v7, v15
	v_cvt_f32_i32_e32 v6, v9
	v_pk_fma_f32 v[4:5], v[4:5], v[18:19], v[8:9] op_sel_hi:[0,1,0] neg_lo:[0,0,1] neg_hi:[0,0,1]
	v_mov_b32_e32 v8, v12
	v_mov_b32_e32 v9, v106
	v_pk_fma_f32 v[2:3], v[8:9], v[4:5], v[2:3]
	v_pk_fma_f32 v[4:5], v[162:163], v[6:7], v[164:165] op_sel_hi:[0,1,0] neg_lo:[0,0,1] neg_hi:[0,0,1]
	v_mov_b32_e32 v106, v13
	v_pk_fma_f32 v[94:95], v[106:107], v[4:5], v[2:3]
	s_cmp_ge_i32 s6, s5
	s_barrier
	s_cbranch_scc1 .LBB218_5
; %bb.13:                               ;   in Loop: Header=BB218_6 Depth=1
	v_add_u32_e32 v2, s4, v47
	v_cmp_gt_i32_e64 s[2:3], s8, v2
	s_and_b64 s[22:23], s[0:1], s[2:3]
	s_and_saveexec_b64 s[2:3], s[22:23]
	s_cbranch_execz .LBB218_15
; %bb.14:                               ;   in Loop: Header=BB218_6 Depth=1
	v_add_u32_e32 v2, s4, v49
	v_mad_i64_i32 v[2:3], s[22:23], v2, 36, v[58:59]
	global_load_dword v2, v[2:3], off offset:4
	s_waitcnt vmcnt(0)
	ds_write_b32 v29, v2
.LBB218_15:                             ;   in Loop: Header=BB218_6 Depth=1
	s_or_b64 exec, exec, s[2:3]
	s_and_saveexec_b64 s[22:23], vcc
	s_cbranch_execz .LBB218_4
; %bb.16:                               ;   in Loop: Header=BB218_6 Depth=1
	v_add3_u32 v2, v24, s4, 4
	v_cmp_gt_i32_e64 s[2:3], s8, v2
	s_and_b64 s[2:3], s[0:1], s[2:3]
	s_and_b64 exec, exec, s[2:3]
	s_cbranch_execz .LBB218_4
; %bb.17:                               ;   in Loop: Header=BB218_6 Depth=1
	global_load_dword v2, v[60:61], off
	s_waitcnt vmcnt(0)
	ds_write_b32 v31, v2
	s_branch .LBB218_4
.LBB218_18:
	v_mov_b32_e32 v94, v95
	v_mov_b32_e32 v23, v95
	;; [unrolled: 1-line block ×3, first 2 shown]
.LBB218_19:
	s_mul_i32 s0, s10, s7
	s_waitcnt vmcnt(0)
	v_cmp_gt_i32_e32 vcc, s0, v1
	s_and_saveexec_b64 s[0:1], vcc
	s_cbranch_execz .LBB218_28
; %bb.20:
	v_and_b32_e32 v0, 0x3ff, v0
	v_add_u32_e32 v2, s11, v0
	v_mul_lo_u32 v0, v1, s9
	v_cmp_gt_u32_e32 vcc, s9, v2
	s_and_saveexec_b64 s[0:1], vcc
	s_cbranch_execz .LBB218_22
; %bb.21:
	v_bfe_u32 v1, v22, 16, 1
	s_movk_i32 s2, 0x7fff
	v_add3_u32 v1, v22, v1, s2
	v_lshrrev_b32_e32 v1, 16, v1
	v_mov_b32_e32 v3, 0x7fc0
	v_cmp_o_f32_e32 vcc, v22, v22
	v_add_u32_e32 v4, v0, v2
	v_mov_b32_e32 v5, 0
	v_cndmask_b32_e32 v1, v3, v1, vcc
	v_lshl_add_u64 v[4:5], v[4:5], 1, s[16:17]
	global_store_short v[4:5], v1, off
.LBB218_22:
	s_or_b64 exec, exec, s[0:1]
	v_add_u32_e32 v1, 32, v2
	v_cmp_gt_u32_e32 vcc, s9, v1
	s_and_saveexec_b64 s[0:1], vcc
	s_cbranch_execz .LBB218_24
; %bb.23:
	v_bfe_u32 v3, v23, 16, 1
	s_movk_i32 s2, 0x7fff
	v_add3_u32 v3, v23, v3, s2
	v_lshrrev_b32_e32 v3, 16, v3
	v_mov_b32_e32 v4, 0x7fc0
	v_cmp_o_f32_e32 vcc, v23, v23
	v_mov_b32_e32 v5, 0
	s_nop 0
	v_cndmask_b32_e32 v3, v4, v3, vcc
	v_add_u32_e32 v4, v0, v1
	v_lshl_add_u64 v[4:5], v[4:5], 1, s[16:17]
	global_store_short v[4:5], v3, off
.LBB218_24:
	s_or_b64 exec, exec, s[0:1]
	v_add_u32_e32 v1, 64, v2
	v_cmp_gt_u32_e32 vcc, s9, v1
	s_and_saveexec_b64 s[0:1], vcc
	s_cbranch_execz .LBB218_26
; %bb.25:
	v_bfe_u32 v3, v94, 16, 1
	s_movk_i32 s2, 0x7fff
	v_add3_u32 v3, v94, v3, s2
	v_lshrrev_b32_e32 v3, 16, v3
	v_mov_b32_e32 v4, 0x7fc0
	v_cmp_o_f32_e32 vcc, v94, v94
	v_mov_b32_e32 v5, 0
	s_nop 0
	v_cndmask_b32_e32 v3, v4, v3, vcc
	v_add_u32_e32 v4, v0, v1
	v_lshl_add_u64 v[4:5], v[4:5], 1, s[16:17]
	global_store_short v[4:5], v3, off
.LBB218_26:
	s_or_b64 exec, exec, s[0:1]
	v_add_u32_e32 v1, 0x60, v2
	v_cmp_gt_u32_e32 vcc, s9, v1
	s_and_b64 exec, exec, vcc
	s_cbranch_execz .LBB218_28
; %bb.27:
	v_bfe_u32 v2, v95, 16, 1
	s_movk_i32 s0, 0x7fff
	v_add3_u32 v2, v95, v2, s0
	v_lshrrev_b32_e32 v2, 16, v2
	v_mov_b32_e32 v3, 0x7fc0
	v_cmp_o_f32_e32 vcc, v95, v95
	v_add_u32_e32 v0, v0, v1
	v_mov_b32_e32 v1, 0
	v_cndmask_b32_e32 v2, v3, v2, vcc
	v_lshl_add_u64 v[0:1], v[0:1], 1, s[16:17]
	global_store_short v[0:1], v2, off
.LBB218_28:
	s_endpgm
	.section	.rodata,"a",@progbits
	.p2align	6, 0x0
	.amdhsa_kernel _ZL8moe_q4_0IN3c108BFloat16ELb1EEvPKvS3_PT_PKiS7_S7_iiiiiii
		.amdhsa_group_segment_fixed_size 22272
		.amdhsa_private_segment_fixed_size 0
		.amdhsa_kernarg_size 76
		.amdhsa_user_sgpr_count 2
		.amdhsa_user_sgpr_dispatch_ptr 0
		.amdhsa_user_sgpr_queue_ptr 0
		.amdhsa_user_sgpr_kernarg_segment_ptr 1
		.amdhsa_user_sgpr_dispatch_id 0
		.amdhsa_user_sgpr_kernarg_preload_length 0
		.amdhsa_user_sgpr_kernarg_preload_offset 0
		.amdhsa_user_sgpr_private_segment_size 0
		.amdhsa_uses_dynamic_stack 0
		.amdhsa_enable_private_segment 0
		.amdhsa_system_sgpr_workgroup_id_x 1
		.amdhsa_system_sgpr_workgroup_id_y 1
		.amdhsa_system_sgpr_workgroup_id_z 0
		.amdhsa_system_sgpr_workgroup_info 0
		.amdhsa_system_vgpr_workitem_id 1
		.amdhsa_next_free_vgpr 167
		.amdhsa_next_free_sgpr 25
		.amdhsa_accum_offset 168
		.amdhsa_reserve_vcc 1
		.amdhsa_float_round_mode_32 0
		.amdhsa_float_round_mode_16_64 0
		.amdhsa_float_denorm_mode_32 3
		.amdhsa_float_denorm_mode_16_64 3
		.amdhsa_dx10_clamp 1
		.amdhsa_ieee_mode 1
		.amdhsa_fp16_overflow 0
		.amdhsa_tg_split 0
		.amdhsa_exception_fp_ieee_invalid_op 0
		.amdhsa_exception_fp_denorm_src 0
		.amdhsa_exception_fp_ieee_div_zero 0
		.amdhsa_exception_fp_ieee_overflow 0
		.amdhsa_exception_fp_ieee_underflow 0
		.amdhsa_exception_fp_ieee_inexact 0
		.amdhsa_exception_int_div_zero 0
	.end_amdhsa_kernel
	.section	.text._ZL8moe_q4_0IN3c108BFloat16ELb1EEvPKvS3_PT_PKiS7_S7_iiiiiii,"axG",@progbits,_ZL8moe_q4_0IN3c108BFloat16ELb1EEvPKvS3_PT_PKiS7_S7_iiiiiii,comdat
.Lfunc_end218:
	.size	_ZL8moe_q4_0IN3c108BFloat16ELb1EEvPKvS3_PT_PKiS7_S7_iiiiiii, .Lfunc_end218-_ZL8moe_q4_0IN3c108BFloat16ELb1EEvPKvS3_PT_PKiS7_S7_iiiiiii
                                        ; -- End function
	.section	.AMDGPU.csdata,"",@progbits
; Kernel info:
; codeLenInByte = 9176
; NumSgprs: 31
; NumVgprs: 167
; NumAgprs: 0
; TotalNumVgprs: 167
; ScratchSize: 0
; MemoryBound: 0
; FloatMode: 240
; IeeeMode: 1
; LDSByteSize: 22272 bytes/workgroup (compile time only)
; SGPRBlocks: 3
; VGPRBlocks: 20
; NumSGPRsForWavesPerEU: 31
; NumVGPRsForWavesPerEU: 167
; AccumOffset: 168
; Occupancy: 2
; WaveLimiterHint : 1
; COMPUTE_PGM_RSRC2:SCRATCH_EN: 0
; COMPUTE_PGM_RSRC2:USER_SGPR: 2
; COMPUTE_PGM_RSRC2:TRAP_HANDLER: 0
; COMPUTE_PGM_RSRC2:TGID_X_EN: 1
; COMPUTE_PGM_RSRC2:TGID_Y_EN: 1
; COMPUTE_PGM_RSRC2:TGID_Z_EN: 0
; COMPUTE_PGM_RSRC2:TIDIG_COMP_CNT: 1
; COMPUTE_PGM_RSRC3_GFX90A:ACCUM_OFFSET: 41
; COMPUTE_PGM_RSRC3_GFX90A:TG_SPLIT: 0
	.section	.text._ZL8moe_q4_1IN3c108BFloat16ELb0EEvPKvS3_PT_PKiS7_S7_iiiiiii,"axG",@progbits,_ZL8moe_q4_1IN3c108BFloat16ELb0EEvPKvS3_PT_PKiS7_S7_iiiiiii,comdat
	.globl	_ZL8moe_q4_1IN3c108BFloat16ELb0EEvPKvS3_PT_PKiS7_S7_iiiiiii ; -- Begin function _ZL8moe_q4_1IN3c108BFloat16ELb0EEvPKvS3_PT_PKiS7_S7_iiiiiii
	.p2align	8
	.type	_ZL8moe_q4_1IN3c108BFloat16ELb0EEvPKvS3_PT_PKiS7_S7_iiiiiii,@function
_ZL8moe_q4_1IN3c108BFloat16ELb0EEvPKvS3_PT_PKiS7_S7_iiiiiii: ; @_ZL8moe_q4_1IN3c108BFloat16ELb0EEvPKvS3_PT_PKiS7_S7_iiiiiii
; %bb.0:
	s_load_dwordx4 s[4:7], s[0:1], 0x18
	s_mov_b32 s8, s3
	s_mov_b32 s9, 0
	s_lshl_b64 s[10:11], s[8:9], 2
	s_waitcnt lgkmcnt(0)
	s_add_u32 s6, s6, s10
	s_addc_u32 s7, s7, s11
	s_load_dword s3, s[6:7], 0x0
	s_waitcnt lgkmcnt(0)
	s_cmpk_gt_u32 s3, 0xff
	s_cbranch_scc1 .LBB219_28
; %bb.1:
	s_load_dwordx2 s[6:7], s[0:1], 0x28
	s_waitcnt lgkmcnt(0)
	s_load_dword s7, s[6:7], 0x0
	s_lshl_b32 s6, s8, 3
	s_waitcnt lgkmcnt(0)
	s_cmp_gt_u32 s6, s7
	s_cbranch_scc1 .LBB219_28
; %bb.2:
	v_bfe_u32 v2, v0, 10, 10
	v_mov_b32_e32 v4, s4
	v_mov_b32_e32 v5, s5
	v_add_u32_e32 v68, s6, v2
	v_mov_b32_e32 v69, 0
	v_lshl_add_u64 v[4:5], v[68:69], 2, v[4:5]
	global_load_dword v1, v[4:5], off
	s_load_dwordx2 s[14:15], s[0:1], 0x30
	s_load_dwordx2 s[12:13], s[0:1], 0x10
	s_load_dwordx4 s[4:7], s[0:1], 0x3c
	s_lshl_b32 s22, s2, 7
	s_waitcnt lgkmcnt(0)
	s_cmp_lt_i32 s15, 32
	s_cbranch_scc1 .LBB219_18
; %bb.3:
	s_load_dwordx4 s[8:11], s[0:1], 0x0
	s_ashr_i32 s0, s15, 31
	s_ashr_i32 s1, s5, 31
	s_lshr_b32 s0, s0, 27
	s_lshr_b32 s1, s1, 27
	s_add_i32 s0, s15, s0
	s_add_i32 s1, s5, s1
	v_and_b32_e32 v24, 0x3ff, v0
	s_ashr_i32 s23, s0, 5
	s_ashr_i32 s5, s1, 5
	v_lshlrev_b32_e32 v3, 2, v24
	s_movk_i32 s1, 0x84
	v_mul_lo_u32 v9, s23, v2
	v_mad_u32_u24 v98, v2, s1, v3
	s_lshl_b32 s1, s23, 3
	v_add_u32_e32 v10, s1, v9
	v_add_u32_e32 v11, s1, v10
	;; [unrolled: 1-line block ×13, first 2 shown]
	v_lshlrev_b32_e32 v6, 2, v2
	v_lshrrev_b32_e32 v114, 3, v24
	v_add_u32_e32 v58, s1, v56
	v_and_b32_e32 v68, 7, v24
	v_add_u32_e32 v4, v114, v6
	v_add_u32_e32 v60, s1, v58
	v_and_b32_e32 v5, 0x1ffc, v4
	v_lshlrev_b32_e32 v7, 2, v68
	s_movk_i32 s1, 0x4200
	v_add3_u32 v69, v5, v7, s1
	v_add_u32_e32 v5, 32, v4
	v_mul_lo_u32 v62, s23, v4
	v_lshlrev_b32_e32 v72, 5, v4
	v_and_b32_e32 v25, 0x3ffc, v5
	v_lshlrev_b32_e32 v74, 5, v5
	v_add_u32_e32 v5, 64, v4
	v_add_u32_e32 v4, 0x60, v4
	v_mov_b32_e32 v23, 0
	v_add3_u32 v73, v25, v7, s1
	v_and_b32_e32 v25, 0x3ffc, v5
	v_lshlrev_b32_e32 v76, 5, v5
	v_and_b32_e32 v5, 0x3ffc, v4
	v_add3_u32 v77, v5, v7, s1
	v_lshlrev_b32_e32 v78, 5, v4
	v_and_b32_e32 v4, 28, v3
	v_mov_b32_e32 v5, v23
	v_and_b32_e32 v22, 12, v3
	v_add3_u32 v75, v25, v7, s1
	v_and_b32_e32 v7, 31, v24
	s_waitcnt lgkmcnt(0)
	v_lshl_add_u64 v[26:27], s[10:11], 0, v[4:5]
	v_lshlrev_b32_e32 v3, 7, v2
	v_mov_b32_e32 v5, 0x5680
	v_lshl_or_b32 v4, v7, 2, v3
	v_add_u32_e32 v117, 0x5280, v3
	v_lshl_add_u32 v118, v2, 4, v5
	v_and_b32_e32 v2, 0xfc, v24
	v_lshlrev_b32_e32 v3, 5, v24
	v_add_u32_e32 v115, 0x5280, v4
	v_or_b32_e32 v4, v6, v24
	v_add3_u32 v120, v3, v2, s1
	v_add_u32_e32 v2, 32, v24
	v_lshl_add_u32 v116, v4, 2, v5
	v_and_b32_e32 v3, 0x1fc, v2
	v_lshlrev_b32_e32 v4, 5, v2
	v_add3_u32 v121, v4, v3, s1
	v_add_u32_e32 v3, 64, v24
	s_mul_i32 s16, s3, s14
	v_and_b32_e32 v4, 0x1fc, v3
	v_lshlrev_b32_e32 v3, 5, v3
	s_abs_i32 s3, s7
	v_add3_u32 v122, v3, v4, s1
	v_cvt_f32_u32_e32 v4, s3
	v_add_u32_e32 v3, 0x60, v24
	v_and_b32_e32 v5, 0x1fc, v3
	v_lshlrev_b32_e32 v3, 5, v3
	v_add3_u32 v123, v3, v5, s1
	v_rcp_iflag_f32_e32 v3, v4
	s_andn2_b32 s0, s0, 31
	v_add_u32_e32 v64, s0, v62
	v_add_u32_e32 v66, s0, v64
	v_mul_f32_e32 v3, 0x4f7ffffe, v3
	v_cvt_u32_f32_e32 v3, v3
	v_add_u32_e32 v70, s0, v66
	s_sub_i32 s0, 0, s3
	s_waitcnt vmcnt(0)
	v_sub_u32_e32 v4, 0, v1
	v_mul_lo_u32 v5, s0, v3
	v_mul_hi_u32 v5, v3, v5
	v_max_i32_e32 v4, v1, v4
	v_add_u32_e32 v3, v3, v5
	v_mul_hi_u32 v3, v4, v3
	v_mul_lo_u32 v5, v3, s3
	v_sub_u32_e32 v4, v4, v5
	v_add_u32_e32 v5, 1, v3
	v_cmp_le_u32_e64 s[0:1], s3, v4
	v_lshrrev_b32_e32 v124, 3, v2
	v_xor_b32_e32 v2, s7, v1
	v_cndmask_b32_e64 v3, v3, v5, s[0:1]
	v_subrev_u32_e32 v5, s3, v4
	v_cndmask_b32_e64 v4, v4, v5, s[0:1]
	v_add_u32_e32 v5, 1, v3
	v_cmp_le_u32_e64 s[0:1], s3, v4
	v_ashrrev_i32_e32 v2, 31, v2
	v_mov_b32_e32 v25, v23
	v_cndmask_b32_e64 v3, v3, v5, s[0:1]
	v_xor_b32_e32 v3, v3, v2
	v_sub_u32_e32 v2, v3, v2
	v_cmp_gt_i32_e64 s[0:1], s4, v2
	v_mul_lo_u32 v2, v2, s5
	v_ashrrev_i32_e32 v3, 31, v2
	v_lshl_add_u64 v[4:5], v[2:3], 0, v[24:25]
	v_mad_u64_u32 v[6:7], s[18:19], v4, 36, s[10:11]
	s_mul_i32 s2, s23, s22
	v_mad_i32_i24 v7, v5, 36, v7
	s_mov_b64 s[18:19], 0x90
	v_lshl_add_u64 v[28:29], v[6:7], 0, s[18:19]
	s_mul_hi_i32 s3, s2, 20
	s_mul_i32 s18, s2, 20
	v_lshrrev_b32_e32 v8, 2, v24
	v_add_u32_e32 v25, v24, v2
	v_add_u32_e32 v125, v124, v2
	;; [unrolled: 1-line block ×3, first 2 shown]
	v_mov_b32_e32 v2, s18
	v_mov_b32_e32 v3, s3
	v_mad_u64_u32 v[2:3], s[18:19], v8, 20, v[2:3]
	v_mad_u64_u32 v[4:5], s[18:19], v9, 20, v[2:3]
	v_lshl_add_u64 v[4:5], v[4:5], 0, v[22:23]
	v_lshl_add_u64 v[4:5], v[4:5], 0, s[8:9]
	v_lshl_add_u64 v[30:31], v[4:5], 0, 4
	v_mad_u64_u32 v[4:5], s[18:19], v10, 20, v[2:3]
	v_lshl_add_u64 v[4:5], v[4:5], 0, v[22:23]
	v_lshl_add_u64 v[4:5], v[4:5], 0, s[8:9]
	v_lshl_add_u64 v[32:33], v[4:5], 0, 4
	;; [unrolled: 4-line block ×14, first 2 shown]
	v_mad_u64_u32 v[4:5], s[18:19], v58, 20, v[2:3]
	v_mad_u64_u32 v[2:3], s[18:19], v60, 20, v[2:3]
	v_lshl_add_u64 v[2:3], v[2:3], 0, v[22:23]
	v_lshl_add_u64 v[2:3], v[2:3], 0, s[8:9]
	;; [unrolled: 1-line block ×3, first 2 shown]
	v_mad_u64_u32 v[2:3], s[18:19], v62, 20, 0
	v_mad_i64_i32 v[2:3], s[18:19], s2, 20, v[2:3]
	v_mad_u64_u32 v[2:3], s[18:19], v68, 20, v[2:3]
	v_lshl_add_u64 v[62:63], s[8:9], 0, v[2:3]
	v_mad_u64_u32 v[2:3], s[18:19], v64, 20, 0
	v_mad_i64_i32 v[2:3], s[18:19], s2, 20, v[2:3]
	v_mad_u64_u32 v[2:3], s[18:19], v68, 20, v[2:3]
	v_lshl_add_u64 v[64:65], s[8:9], 0, v[2:3]
	;; [unrolled: 4-line block ×3, first 2 shown]
	v_mad_u64_u32 v[2:3], s[18:19], v70, 20, 0
	v_lshl_add_u64 v[4:5], v[4:5], 0, v[22:23]
	v_mad_i64_i32 v[2:3], s[2:3], s2, 20, v[2:3]
	v_mul_u32_u24_e32 v119, 0x84, v24
	v_lshl_add_u64 v[4:5], v[4:5], 0, s[8:9]
	v_mad_u64_u32 v[2:3], s[2:3], v68, 20, v[2:3]
	s_ashr_i32 s17, s16, 31
	s_mov_b32 s14, 0
	v_add_u32_e32 v99, 0x420, v98
	v_add_u32_e32 v100, 0x840, v98
	;; [unrolled: 1-line block ×15, first 2 shown]
	v_cmp_gt_u32_e32 vcc, 4, v24
	v_lshl_add_u64 v[58:59], v[4:5], 0, 4
	v_lshl_add_u64 v[70:71], s[8:9], 0, v[2:3]
	s_movk_i32 s24, 0x80
	v_add_u32_e32 v127, v69, v72
	v_add_u32_e32 v128, v73, v74
	;; [unrolled: 1-line block ×28, first 2 shown]
	s_mov_b64 s[8:9], 0x120
	s_mov_b64 s[18:19], 0xa0
	v_mov_b32_e32 v22, v23
	v_mov_b32_e32 v68, v23
	;; [unrolled: 1-line block ×3, first 2 shown]
	s_branch .LBB219_6
.LBB219_4:                              ;   in Loop: Header=BB219_6 Depth=1
	s_or_b64 exec, exec, s[20:21]
	s_waitcnt lgkmcnt(0)
	s_barrier
	ds_read_b128 v[2:5], v118
	ds_read2_b32 v[72:73], v119 offset0:16 offset1:17
	ds_read_b128 v[14:17], v117
	ds_read_b128 v[18:21], v117 offset:16
	ds_read_b128 v[6:9], v117 offset:32
	ds_read_b128 v[10:13], v117 offset:48
	ds_read2_b32 v[74:75], v120 offset0:4 offset1:5
	s_waitcnt lgkmcnt(5)
	v_and_b32_e32 v76, 0xf0f0f0f, v72
	v_lshrrev_b32_e32 v72, 4, v72
	v_mov_b32_e32 v92, 0
	v_and_b32_e32 v72, 0xf0f0f0f, v72
	s_waitcnt lgkmcnt(4)
	v_dot4c_i32_i8_e32 v92, v76, v14
	s_waitcnt lgkmcnt(3)
	v_dot4c_i32_i8_e32 v92, v72, v18
	v_and_b32_e32 v72, 0xf0f0f0f, v73
	v_lshrrev_b32_e32 v73, 4, v73
	v_and_b32_e32 v76, 0xf0f0f0f, v73
	v_dot4c_i32_i8_e32 v92, v72, v15
	ds_read2_b32 v[72:73], v119 offset0:18 offset1:19
	v_dot4c_i32_i8_e32 v92, v76, v19
	ds_read2_b32 v[82:83], v119 offset0:20 offset1:21
	ds_read2_b32 v[84:85], v119 offset0:22 offset1:23
	;; [unrolled: 1-line block ×3, first 2 shown]
	s_waitcnt lgkmcnt(4)
	v_pk_mul_f16 v93, v2, v74
	v_mov_b32_e32 v155, 0
	s_waitcnt lgkmcnt(3)
	v_and_b32_e32 v76, 0xf0f0f0f, v72
	v_lshrrev_b32_e32 v72, 4, v72
	v_and_b32_e32 v72, 0xf0f0f0f, v72
	v_dot4c_i32_i8_e32 v92, v76, v16
	v_dot4c_i32_i8_e32 v92, v72, v20
	v_and_b32_e32 v72, 0xf0f0f0f, v73
	v_dot4c_i32_i8_e32 v92, v72, v17
	v_add_u32_e32 v72, 0x10c0, v119
	ds_read2_b32 v[78:79], v72 offset1:1
	ds_read2_b32 v[90:91], v119 offset0:26 offset1:27
	ds_read2_b32 v[76:77], v119 offset0:28 offset1:29
	;; [unrolled: 1-line block ×3, first 2 shown]
	v_lshrrev_b32_e32 v73, 4, v73
	s_waitcnt lgkmcnt(3)
	v_and_b32_e32 v74, 0xf0f0f0f, v78
	v_lshrrev_b32_e32 v78, 4, v78
	v_and_b32_e32 v78, 0xf0f0f0f, v78
	v_dot4c_i32_i8_e32 v155, v74, v14
	v_dot4c_i32_i8_e32 v155, v78, v18
	v_and_b32_e32 v74, 0xf0f0f0f, v79
	v_lshrrev_b32_e32 v78, 4, v79
	v_and_b32_e32 v73, 0xf0f0f0f, v73
	v_and_b32_e32 v78, 0xf0f0f0f, v78
	v_dot4c_i32_i8_e32 v155, v74, v15
	v_add_u32_e32 v74, 0x10c8, v119
	v_dot4c_i32_i8_e32 v92, v73, v21
	ds_read2_b32 v[94:95], v121 offset0:4 offset1:5
	ds_read2_b32 v[72:73], v123 offset0:6 offset1:7
	v_dot4c_i32_i8_e32 v155, v78, v19
	ds_read2_b32 v[78:79], v74 offset1:1
	v_add_u32_e32 v86, 0x2140, v119
	v_add_u32_e32 v74, 0x31c0, v119
	;; [unrolled: 1-line block ×3, first 2 shown]
	ds_read2_b32 v[96:97], v86 offset1:1
	ds_read2_b32 v[156:157], v87 offset1:1
	;; [unrolled: 1-line block ×3, first 2 shown]
	s_waitcnt lgkmcnt(3)
	v_and_b32_e32 v74, 0xf0f0f0f, v78
	v_lshrrev_b32_e32 v78, 4, v78
	v_and_b32_e32 v78, 0xf0f0f0f, v78
	v_dot4c_i32_i8_e32 v155, v74, v16
	v_dot4c_i32_i8_e32 v155, v78, v20
	v_and_b32_e32 v74, 0xf0f0f0f, v79
	v_dot4c_i32_i8_e32 v155, v74, v17
	s_waitcnt lgkmcnt(2)
	v_lshrrev_b32_e32 v74, 4, v96
	v_and_b32_e32 v162, 0xf0f0f0f, v96
	v_and_b32_e32 v96, 0xf0f0f0f, v74
	v_mov_b32_e32 v74, 0
	v_dot4c_i32_i8_e32 v74, v162, v14
	v_dot4c_i32_i8_e32 v74, v96, v18
	v_and_b32_e32 v96, 0xf0f0f0f, v97
	v_lshrrev_b32_e32 v97, 4, v97
	v_and_b32_e32 v97, 0xf0f0f0f, v97
	v_dot4c_i32_i8_e32 v74, v96, v15
	v_dot4c_i32_i8_e32 v74, v97, v19
	s_waitcnt lgkmcnt(1)
	v_and_b32_e32 v96, 0xf0f0f0f, v156
	v_lshrrev_b32_e32 v97, 4, v156
	v_and_b32_e32 v97, 0xf0f0f0f, v97
	v_dot4c_i32_i8_e32 v74, v96, v16
	v_dot4c_i32_i8_e32 v74, v97, v20
	v_and_b32_e32 v96, 0xf0f0f0f, v157
	v_lshrrev_b32_e32 v97, 4, v157
	v_and_b32_e32 v97, 0xf0f0f0f, v97
	v_dot4c_i32_i8_e32 v74, v96, v17
	v_dot4c_i32_i8_e32 v74, v97, v21
	s_waitcnt lgkmcnt(0)
	v_and_b32_e32 v96, 0xf0f0f0f, v158
	v_lshrrev_b32_e32 v97, 4, v158
	v_mov_b32_e32 v162, 0
	v_and_b32_e32 v97, 0xf0f0f0f, v97
	v_dot4c_i32_i8_e32 v162, v96, v14
	v_lshrrev_b32_e32 v78, 4, v79
	v_dot4c_i32_i8_e32 v162, v97, v18
	v_and_b32_e32 v14, 0xf0f0f0f, v159
	v_and_b32_e32 v78, 0xf0f0f0f, v78
	v_dot4c_i32_i8_e32 v162, v14, v15
	v_add_u32_e32 v14, 0x31c8, v119
	v_dot4c_i32_i8_e32 v155, v78, v21
	ds_read2_b32 v[160:161], v122 offset0:4 offset1:5
	ds_read2_b32 v[78:79], v121 offset0:6 offset1:7
	;; [unrolled: 1-line block ×3, first 2 shown]
	ds_read2_b32 v[14:15], v14 offset1:1
	v_lshrrev_b32_e32 v18, 4, v159
	v_and_b32_e32 v18, 0xf0f0f0f, v18
	v_dot4c_i32_i8_e32 v162, v18, v19
	v_add_u32_e32 v18, 0x10d0, v119
	v_add_u32_e32 v96, 0x10d8, v119
	;; [unrolled: 1-line block ×3, first 2 shown]
	s_waitcnt lgkmcnt(0)
	v_and_b32_e32 v158, 0xf0f0f0f, v14
	ds_read2_b32 v[18:19], v18 offset1:1
	ds_read2_b32 v[96:97], v96 offset1:1
	;; [unrolled: 1-line block ×3, first 2 shown]
	v_dot4c_i32_i8_e32 v162, v158, v16
	ds_read2_b32 v[158:159], v123 offset0:4 offset1:5
	v_lshrrev_b32_e32 v14, 4, v14
	v_and_b32_e32 v14, 0xf0f0f0f, v14
	v_dot4c_i32_i8_e32 v162, v14, v20
	v_and_b32_e32 v14, 0xf0f0f0f, v15
	v_lshrrev_b32_e32 v15, 4, v15
	v_and_b32_e32 v15, 0xf0f0f0f, v15
	v_dot4c_i32_i8_e32 v162, v14, v17
	v_pk_mul_f16 v94, v2, v94
	v_pk_mul_f16 v160, v2, v160
	v_dot4c_i32_i8_e32 v162, v15, v21
	ds_read2_b32 v[14:15], v122 offset0:6 offset1:7
	s_waitcnt lgkmcnt(1)
	v_pk_mul_f16 v158, v2, v158
	v_and_b32_e32 v2, 0xf0f0f0f, v82
	v_lshrrev_b32_e32 v16, 4, v82
	v_mov_b32_e32 v163, 0
	v_and_b32_e32 v16, 0xf0f0f0f, v16
	v_dot4c_i32_i8_e32 v163, v2, v6
	v_dot4c_i32_i8_e32 v163, v16, v10
	v_and_b32_e32 v2, 0xf0f0f0f, v83
	v_lshrrev_b32_e32 v16, 4, v83
	v_and_b32_e32 v16, 0xf0f0f0f, v16
	v_dot4c_i32_i8_e32 v163, v2, v7
	v_dot4c_i32_i8_e32 v163, v16, v11
	v_and_b32_e32 v2, 0xf0f0f0f, v84
	v_lshrrev_b32_e32 v16, 4, v84
	;; [unrolled: 5-line block ×4, first 2 shown]
	v_mov_b32_e32 v84, 0
	v_and_b32_e32 v16, 0xf0f0f0f, v16
	v_dot4c_i32_i8_e32 v84, v2, v6
	v_dot4c_i32_i8_e32 v84, v16, v10
	v_and_b32_e32 v2, 0xf0f0f0f, v19
	v_lshrrev_b32_e32 v16, 4, v19
	v_and_b32_e32 v16, 0xf0f0f0f, v16
	v_dot4c_i32_i8_e32 v84, v2, v7
	v_dot4c_i32_i8_e32 v84, v16, v11
	v_and_b32_e32 v2, 0xf0f0f0f, v96
	v_lshrrev_b32_e32 v16, 4, v96
	;; [unrolled: 5-line block ×3, first 2 shown]
	v_and_b32_e32 v16, 0xf0f0f0f, v16
	v_dot4c_i32_i8_e32 v84, v2, v9
	v_dot4c_i32_i8_e32 v84, v16, v13
	v_pk_mul_f16 v85, v3, v95
	v_and_b32_e32 v2, 0xf0f0f0f, v156
	v_lshrrev_b32_e32 v16, 4, v156
	v_mov_b32_e32 v95, 0
	v_and_b32_e32 v16, 0xf0f0f0f, v16
	v_dot4c_i32_i8_e32 v95, v2, v6
	v_dot4c_i32_i8_e32 v95, v16, v10
	v_and_b32_e32 v2, 0xf0f0f0f, v157
	v_lshrrev_b32_e32 v16, 4, v157
	v_and_b32_e32 v16, 0xf0f0f0f, v16
	v_dot4c_i32_i8_e32 v95, v2, v7
	v_add_u32_e32 v2, 0x2158, v119
	v_dot4c_i32_i8_e32 v95, v16, v11
	ds_read2_b32 v[16:17], v2 offset1:1
	v_add_u32_e32 v18, 0x31d0, v119
	v_add_u32_e32 v20, 0x31d8, v119
	;; [unrolled: 1-line block ×3, first 2 shown]
	ds_read2_b32 v[18:19], v18 offset1:1
	ds_read2_b32 v[20:21], v20 offset1:1
	;; [unrolled: 1-line block ×3, first 2 shown]
	s_waitcnt lgkmcnt(3)
	v_and_b32_e32 v2, 0xf0f0f0f, v16
	v_lshrrev_b32_e32 v16, 4, v16
	v_and_b32_e32 v16, 0xf0f0f0f, v16
	v_dot4c_i32_i8_e32 v95, v2, v8
	v_dot4c_i32_i8_e32 v95, v16, v12
	v_and_b32_e32 v2, 0xf0f0f0f, v17
	v_lshrrev_b32_e32 v16, 4, v17
	v_and_b32_e32 v16, 0xf0f0f0f, v16
	v_dot4c_i32_i8_e32 v95, v2, v9
	v_dot4c_i32_i8_e32 v95, v16, v13
	s_waitcnt lgkmcnt(2)
	v_and_b32_e32 v2, 0xf0f0f0f, v18
	v_lshrrev_b32_e32 v16, 4, v18
	v_mov_b32_e32 v97, 0
	v_and_b32_e32 v16, 0xf0f0f0f, v16
	v_dot4c_i32_i8_e32 v97, v2, v6
	v_dot4c_i32_i8_e32 v97, v16, v10
	v_and_b32_e32 v2, 0xf0f0f0f, v19
	v_lshrrev_b32_e32 v6, 4, v19
	v_and_b32_e32 v6, 0xf0f0f0f, v6
	v_dot4c_i32_i8_e32 v97, v2, v7
	v_dot4c_i32_i8_e32 v97, v6, v11
	s_waitcnt lgkmcnt(1)
	v_and_b32_e32 v2, 0xf0f0f0f, v20
	v_lshrrev_b32_e32 v6, 4, v20
	v_and_b32_e32 v6, 0xf0f0f0f, v6
	v_dot4c_i32_i8_e32 v97, v2, v8
	v_dot4c_i32_i8_e32 v97, v6, v12
	v_and_b32_e32 v2, 0xf0f0f0f, v21
	v_lshrrev_b32_e32 v6, 4, v21
	v_and_b32_e32 v6, 0xf0f0f0f, v6
	v_dot4c_i32_i8_e32 v97, v2, v9
	v_dot4c_i32_i8_e32 v97, v6, v13
	ds_read_b128 v[6:9], v117 offset:64
	ds_read_b128 v[10:13], v117 offset:80
	v_pk_mul_f16 v75, v3, v75
	v_pk_mul_f16 v96, v3, v161
	;; [unrolled: 1-line block ×3, first 2 shown]
	v_and_b32_e32 v2, 0xf0f0f0f, v88
	v_lshrrev_b32_e32 v3, 4, v88
	v_mov_b32_e32 v88, 0
	v_and_b32_e32 v3, 0xf0f0f0f, v3
	s_waitcnt lgkmcnt(1)
	v_dot4c_i32_i8_e32 v88, v2, v6
	s_waitcnt lgkmcnt(0)
	v_dot4c_i32_i8_e32 v88, v3, v10
	v_and_b32_e32 v2, 0xf0f0f0f, v89
	v_lshrrev_b32_e32 v3, 4, v89
	v_and_b32_e32 v3, 0xf0f0f0f, v3
	v_dot4c_i32_i8_e32 v88, v2, v7
	v_dot4c_i32_i8_e32 v88, v3, v11
	v_and_b32_e32 v2, 0xf0f0f0f, v90
	v_lshrrev_b32_e32 v3, 4, v90
	v_and_b32_e32 v3, 0xf0f0f0f, v3
	v_dot4c_i32_i8_e32 v88, v2, v8
	;; [unrolled: 5-line block ×3, first 2 shown]
	v_dot4c_i32_i8_e32 v88, v3, v13
	v_and_b32_e32 v2, 0xf0f0f0f, v82
	v_lshrrev_b32_e32 v3, 4, v82
	v_mov_b32_e32 v89, 0
	v_and_b32_e32 v3, 0xf0f0f0f, v3
	v_dot4c_i32_i8_e32 v89, v2, v6
	v_dot4c_i32_i8_e32 v89, v3, v10
	v_and_b32_e32 v2, 0xf0f0f0f, v83
	v_lshrrev_b32_e32 v3, 4, v83
	v_and_b32_e32 v3, 0xf0f0f0f, v3
	v_dot4c_i32_i8_e32 v89, v2, v7
	v_add_u32_e32 v2, 0x10e8, v119
	v_dot4c_i32_i8_e32 v89, v3, v11
	ds_read2_b32 v[2:3], v2 offset1:1
	v_add_u32_e32 v16, 0x2160, v119
	v_add_u32_e32 v18, 0x2168, v119
	;; [unrolled: 1-line block ×3, first 2 shown]
	ds_read2_b32 v[16:17], v16 offset1:1
	ds_read2_b32 v[18:19], v18 offset1:1
	;; [unrolled: 1-line block ×3, first 2 shown]
	s_waitcnt lgkmcnt(3)
	v_and_b32_e32 v82, 0xf0f0f0f, v2
	v_lshrrev_b32_e32 v2, 4, v2
	v_and_b32_e32 v2, 0xf0f0f0f, v2
	v_dot4c_i32_i8_e32 v89, v82, v8
	v_dot4c_i32_i8_e32 v89, v2, v12
	v_and_b32_e32 v2, 0xf0f0f0f, v3
	v_lshrrev_b32_e32 v3, 4, v3
	v_and_b32_e32 v3, 0xf0f0f0f, v3
	v_dot4c_i32_i8_e32 v89, v2, v9
	v_dot4c_i32_i8_e32 v89, v3, v13
	s_waitcnt lgkmcnt(2)
	v_and_b32_e32 v2, 0xf0f0f0f, v16
	v_lshrrev_b32_e32 v3, 4, v16
	v_mov_b32_e32 v90, 0
	v_and_b32_e32 v3, 0xf0f0f0f, v3
	v_dot4c_i32_i8_e32 v90, v2, v6
	v_dot4c_i32_i8_e32 v90, v3, v10
	v_and_b32_e32 v2, 0xf0f0f0f, v17
	v_lshrrev_b32_e32 v3, 4, v17
	v_and_b32_e32 v3, 0xf0f0f0f, v3
	v_dot4c_i32_i8_e32 v90, v2, v7
	v_dot4c_i32_i8_e32 v90, v3, v11
	s_waitcnt lgkmcnt(1)
	v_and_b32_e32 v2, 0xf0f0f0f, v18
	v_lshrrev_b32_e32 v3, 4, v18
	v_and_b32_e32 v3, 0xf0f0f0f, v3
	v_dot4c_i32_i8_e32 v90, v2, v8
	v_dot4c_i32_i8_e32 v90, v3, v12
	v_and_b32_e32 v2, 0xf0f0f0f, v19
	v_lshrrev_b32_e32 v3, 4, v19
	v_and_b32_e32 v3, 0xf0f0f0f, v3
	v_dot4c_i32_i8_e32 v90, v2, v9
	v_dot4c_i32_i8_e32 v90, v3, v13
	s_waitcnt lgkmcnt(0)
	v_and_b32_e32 v2, 0xf0f0f0f, v20
	v_lshrrev_b32_e32 v3, 4, v20
	v_mov_b32_e32 v157, 0
	v_and_b32_e32 v3, 0xf0f0f0f, v3
	v_dot4c_i32_i8_e32 v157, v2, v6
	v_dot4c_i32_i8_e32 v157, v3, v10
	v_and_b32_e32 v2, 0xf0f0f0f, v21
	v_lshrrev_b32_e32 v3, 4, v21
	v_and_b32_e32 v3, 0xf0f0f0f, v3
	v_dot4c_i32_i8_e32 v157, v2, v7
	v_add_u32_e32 v2, 0x31e8, v119
	v_dot4c_i32_i8_e32 v157, v3, v11
	ds_read2_b32 v[2:3], v2 offset1:1
	v_add_u32_e32 v6, 0x10f0, v119
	v_add_u32_e32 v7, 0x10f8, v119
	;; [unrolled: 1-line block ×3, first 2 shown]
	ds_read2_b32 v[16:17], v6 offset1:1
	ds_read2_b32 v[18:19], v7 offset1:1
	;; [unrolled: 1-line block ×3, first 2 shown]
	s_waitcnt lgkmcnt(3)
	v_and_b32_e32 v6, 0xf0f0f0f, v2
	v_lshrrev_b32_e32 v2, 4, v2
	v_and_b32_e32 v2, 0xf0f0f0f, v2
	v_dot4c_i32_i8_e32 v157, v6, v8
	v_dot4c_i32_i8_e32 v157, v2, v12
	v_and_b32_e32 v2, 0xf0f0f0f, v3
	v_lshrrev_b32_e32 v3, 4, v3
	v_and_b32_e32 v3, 0xf0f0f0f, v3
	v_dot4c_i32_i8_e32 v157, v2, v9
	v_dot4c_i32_i8_e32 v157, v3, v13
	ds_read_b128 v[6:9], v117 offset:96
	ds_read_b128 v[10:13], v117 offset:112
	v_pk_mul_f16 v86, v4, v86
	v_pk_mul_f16 v78, v4, v78
	;; [unrolled: 1-line block ×4, first 2 shown]
	v_and_b32_e32 v2, 0xf0f0f0f, v76
	v_lshrrev_b32_e32 v3, 4, v76
	v_mov_b32_e32 v4, 0
	v_and_b32_e32 v3, 0xf0f0f0f, v3
	s_waitcnt lgkmcnt(1)
	v_dot4c_i32_i8_e32 v4, v2, v6
	s_waitcnt lgkmcnt(0)
	v_dot4c_i32_i8_e32 v4, v3, v10
	v_and_b32_e32 v2, 0xf0f0f0f, v77
	v_lshrrev_b32_e32 v3, 4, v77
	v_and_b32_e32 v3, 0xf0f0f0f, v3
	v_dot4c_i32_i8_e32 v4, v2, v7
	v_dot4c_i32_i8_e32 v4, v3, v11
	v_and_b32_e32 v2, 0xf0f0f0f, v80
	v_lshrrev_b32_e32 v3, 4, v80
	v_and_b32_e32 v3, 0xf0f0f0f, v3
	v_dot4c_i32_i8_e32 v4, v2, v8
	;; [unrolled: 5-line block ×3, first 2 shown]
	v_dot4c_i32_i8_e32 v4, v3, v13
	v_pk_mul_f16 v14, v5, v87
	v_and_b32_e32 v2, 0xf0f0f0f, v16
	v_lshrrev_b32_e32 v3, 4, v16
	v_mov_b32_e32 v87, 0
	v_and_b32_e32 v3, 0xf0f0f0f, v3
	v_dot4c_i32_i8_e32 v87, v2, v6
	v_dot4c_i32_i8_e32 v87, v3, v10
	v_and_b32_e32 v2, 0xf0f0f0f, v17
	v_lshrrev_b32_e32 v3, 4, v17
	v_and_b32_e32 v3, 0xf0f0f0f, v3
	v_dot4c_i32_i8_e32 v87, v2, v7
	v_dot4c_i32_i8_e32 v87, v3, v11
	v_and_b32_e32 v2, 0xf0f0f0f, v18
	v_lshrrev_b32_e32 v3, 4, v18
	;; [unrolled: 5-line block ×3, first 2 shown]
	v_and_b32_e32 v3, 0xf0f0f0f, v3
	v_dot4c_i32_i8_e32 v87, v2, v9
	v_dot4c_i32_i8_e32 v87, v3, v13
	v_cvt_f32_f16_e32 v3, v94
	v_cvt_f32_f16_e32 v2, v93
	v_cvt_f32_f16_sdwa v17, v94 dst_sel:DWORD dst_unused:UNUSED_PAD src0_sel:WORD_1
	v_cvt_f32_f16_sdwa v16, v93 dst_sel:DWORD dst_unused:UNUSED_PAD src0_sel:WORD_1
	v_cvt_f32_i32_e32 v19, v155
	v_cvt_f32_i32_e32 v18, v92
	v_cvt_f32_f16_e32 v77, v85
	v_cvt_f32_f16_e32 v76, v75
	v_cvt_f32_f16_sdwa v81, v85 dst_sel:DWORD dst_unused:UNUSED_PAD src0_sel:WORD_1
	v_cvt_f32_f16_sdwa v80, v75 dst_sel:DWORD dst_unused:UNUSED_PAD src0_sel:WORD_1
	v_cvt_f32_i32_e32 v83, v84
	v_cvt_f32_i32_e32 v82, v163
	v_pk_fma_f32 v[2:3], v[2:3], v[18:19], v[16:17]
	v_pk_mul_f16 v75, v5, v79
	v_pk_add_f32 v[2:3], v[22:23], v[2:3]
	v_pk_fma_f32 v[16:17], v[76:77], v[82:83], v[80:81]
	v_cvt_f32_f16_e32 v19, v78
	v_cvt_f32_f16_e32 v18, v86
	v_cvt_f32_f16_sdwa v23, v78 dst_sel:DWORD dst_unused:UNUSED_PAD src0_sel:WORD_1
	v_cvt_f32_f16_sdwa v22, v86 dst_sel:DWORD dst_unused:UNUSED_PAD src0_sel:WORD_1
	v_cvt_f32_i32_e32 v77, v89
	v_cvt_f32_i32_e32 v76, v88
	v_cvt_f32_f16_e32 v79, v75
	v_cvt_f32_f16_e32 v78, v14
	v_cvt_f32_f16_sdwa v81, v75 dst_sel:DWORD dst_unused:UNUSED_PAD src0_sel:WORD_1
	v_cvt_f32_f16_sdwa v80, v14 dst_sel:DWORD dst_unused:UNUSED_PAD src0_sel:WORD_1
	v_cvt_f32_i32_e32 v83, v87
	v_cvt_f32_i32_e32 v82, v4
	v_pk_add_f32 v[2:3], v[2:3], v[16:17]
	v_pk_fma_f32 v[16:17], v[18:19], v[76:77], v[22:23]
	v_add_u32_e32 v4, 0x31f0, v119
	v_pk_add_f32 v[2:3], v[2:3], v[16:17]
	v_pk_fma_f32 v[16:17], v[78:79], v[82:83], v[80:81]
	v_add_u32_e32 v14, 0x31f8, v119
	v_pk_add_f32 v[22:23], v[2:3], v[16:17]
	v_and_b32_e32 v2, 0xf0f0f0f, v20
	v_lshrrev_b32_e32 v3, 4, v20
	v_mov_b32_e32 v20, 0
	v_and_b32_e32 v3, 0xf0f0f0f, v3
	v_dot4c_i32_i8_e32 v20, v2, v6
	v_dot4c_i32_i8_e32 v20, v3, v10
	v_and_b32_e32 v2, 0xf0f0f0f, v21
	v_lshrrev_b32_e32 v3, 4, v21
	v_and_b32_e32 v3, 0xf0f0f0f, v3
	v_dot4c_i32_i8_e32 v20, v2, v7
	v_add_u32_e32 v2, 0x2178, v119
	v_dot4c_i32_i8_e32 v20, v3, v11
	ds_read2_b32 v[2:3], v2 offset1:1
	ds_read2_b32 v[16:17], v4 offset1:1
	;; [unrolled: 1-line block ×3, first 2 shown]
	v_pk_mul_f16 v21, v5, v15
	v_cvt_f32_i32_e32 v15, v97
	v_cvt_f32_i32_e32 v14, v95
	s_waitcnt lgkmcnt(2)
	v_and_b32_e32 v4, 0xf0f0f0f, v2
	v_lshrrev_b32_e32 v2, 4, v2
	v_and_b32_e32 v2, 0xf0f0f0f, v2
	v_dot4c_i32_i8_e32 v20, v4, v8
	v_dot4c_i32_i8_e32 v20, v2, v12
	v_and_b32_e32 v2, 0xf0f0f0f, v3
	v_lshrrev_b32_e32 v3, 4, v3
	v_and_b32_e32 v3, 0xf0f0f0f, v3
	v_dot4c_i32_i8_e32 v20, v2, v9
	v_dot4c_i32_i8_e32 v20, v3, v13
	s_waitcnt lgkmcnt(1)
	v_and_b32_e32 v2, 0xf0f0f0f, v16
	v_lshrrev_b32_e32 v3, 4, v16
	v_mov_b32_e32 v16, 0
	v_and_b32_e32 v3, 0xf0f0f0f, v3
	v_dot4c_i32_i8_e32 v16, v2, v6
	v_dot4c_i32_i8_e32 v16, v3, v10
	v_and_b32_e32 v2, 0xf0f0f0f, v17
	v_lshrrev_b32_e32 v3, 4, v17
	v_and_b32_e32 v3, 0xf0f0f0f, v3
	v_dot4c_i32_i8_e32 v16, v2, v7
	v_dot4c_i32_i8_e32 v16, v3, v11
	s_waitcnt lgkmcnt(0)
	v_and_b32_e32 v2, 0xf0f0f0f, v18
	v_lshrrev_b32_e32 v3, 4, v18
	v_and_b32_e32 v3, 0xf0f0f0f, v3
	v_dot4c_i32_i8_e32 v16, v2, v8
	v_dot4c_i32_i8_e32 v16, v3, v12
	v_and_b32_e32 v2, 0xf0f0f0f, v19
	v_lshrrev_b32_e32 v3, 4, v19
	v_and_b32_e32 v3, 0xf0f0f0f, v3
	v_dot4c_i32_i8_e32 v16, v2, v9
	v_dot4c_i32_i8_e32 v16, v3, v13
	v_cvt_f32_f16_e32 v3, v158
	v_cvt_f32_f16_e32 v2, v160
	v_cvt_f32_f16_sdwa v7, v158 dst_sel:DWORD dst_unused:UNUSED_PAD src0_sel:WORD_1
	v_cvt_f32_f16_sdwa v6, v160 dst_sel:DWORD dst_unused:UNUSED_PAD src0_sel:WORD_1
	v_cvt_f32_i32_e32 v9, v162
	v_cvt_f32_i32_e32 v8, v74
	v_cvt_f32_f16_e32 v11, v156
	v_cvt_f32_f16_e32 v10, v96
	v_cvt_f32_f16_sdwa v13, v156 dst_sel:DWORD dst_unused:UNUSED_PAD src0_sel:WORD_1
	v_cvt_f32_f16_sdwa v12, v96 dst_sel:DWORD dst_unused:UNUSED_PAD src0_sel:WORD_1
	v_pk_mul_f16 v17, v5, v73
	v_pk_fma_f32 v[2:3], v[2:3], v[8:9], v[6:7]
	v_cvt_f32_f16_e32 v7, v72
	v_pk_fma_f32 v[4:5], v[10:11], v[14:15], v[12:13]
	v_cvt_f32_f16_e32 v6, v91
	v_cvt_f32_f16_sdwa v9, v72 dst_sel:DWORD dst_unused:UNUSED_PAD src0_sel:WORD_1
	v_cvt_f32_f16_sdwa v8, v91 dst_sel:DWORD dst_unused:UNUSED_PAD src0_sel:WORD_1
	v_cvt_f32_i32_e32 v11, v157
	v_cvt_f32_i32_e32 v10, v90
	v_cvt_f32_f16_e32 v13, v17
	v_cvt_f32_f16_e32 v12, v21
	v_cvt_f32_f16_sdwa v15, v17 dst_sel:DWORD dst_unused:UNUSED_PAD src0_sel:WORD_1
	v_cvt_f32_f16_sdwa v14, v21 dst_sel:DWORD dst_unused:UNUSED_PAD src0_sel:WORD_1
	v_cvt_f32_i32_e32 v17, v16
	v_cvt_f32_i32_e32 v16, v20
	v_pk_add_f32 v[2:3], v[68:69], v[2:3]
	s_nop 0
	v_pk_add_f32 v[2:3], v[2:3], v[4:5]
	v_pk_fma_f32 v[4:5], v[6:7], v[10:11], v[8:9]
	s_barrier
	v_pk_add_f32 v[2:3], v[2:3], v[4:5]
	v_pk_fma_f32 v[4:5], v[12:13], v[16:17], v[14:15]
	s_nop 0
	v_pk_add_f32 v[68:69], v[2:3], v[4:5]
.LBB219_5:                              ;   in Loop: Header=BB219_6 Depth=1
	s_add_i32 s14, s14, 8
	s_addk_i32 s24, 0x100
	v_lshl_add_u64 v[28:29], v[28:29], 0, s[8:9]
	v_lshl_add_u64 v[30:31], v[30:31], 0, s[18:19]
	;; [unrolled: 1-line block ×20, first 2 shown]
	s_cmp_ge_i32 s14, s23
	v_lshl_add_u64 v[70:71], v[70:71], 0, s[18:19]
	s_cbranch_scc1 .LBB219_19
.LBB219_6:                              ; =>This Inner Loop Header: Depth=1
	v_lshl_add_u64 v[2:3], v[30:31], 0, s[16:17]
	global_load_dword v4, v[2:3], off
	v_lshl_add_u64 v[2:3], v[32:33], 0, s[16:17]
	global_load_dword v5, v[2:3], off
	;; [unrolled: 2-line block ×20, first 2 shown]
	s_add_i32 s2, s24, 0xffffff80
	s_cmp_lt_i32 s2, s15
	s_waitcnt vmcnt(19)
	ds_write_b32 v98, v4
	s_waitcnt vmcnt(18)
	ds_write_b32 v99, v5
	;; [unrolled: 2-line block ×20, first 2 shown]
	s_cbranch_scc0 .LBB219_5
; %bb.7:                                ;   in Loop: Header=BB219_6 Depth=1
	v_add_u32_e32 v2, s14, v114
	v_cmp_gt_i32_e64 s[2:3], s5, v2
	s_and_b64 s[20:21], s[0:1], s[2:3]
	s_and_saveexec_b64 s[2:3], s[20:21]
	s_cbranch_execz .LBB219_9
; %bb.8:                                ;   in Loop: Header=BB219_6 Depth=1
	v_add_u32_e32 v2, s14, v126
	v_mad_i64_i32 v[2:3], s[20:21], v2, 36, v[26:27]
	global_load_dword v2, v[2:3], off offset:4
	s_waitcnt vmcnt(0)
	ds_write_b32 v115, v2
.LBB219_9:                              ;   in Loop: Header=BB219_6 Depth=1
	s_or_b64 exec, exec, s[2:3]
	s_and_saveexec_b64 s[20:21], vcc
	s_cbranch_execz .LBB219_12
; %bb.10:                               ;   in Loop: Header=BB219_6 Depth=1
	v_add_u32_e32 v2, s14, v24
	v_cmp_gt_i32_e64 s[2:3], s5, v2
	s_and_b64 s[2:3], s[0:1], s[2:3]
	s_and_b64 exec, exec, s[2:3]
	s_cbranch_execz .LBB219_12
; %bb.11:                               ;   in Loop: Header=BB219_6 Depth=1
	v_add_u32_e32 v2, s14, v25
	v_mad_i64_i32 v[2:3], s[2:3], v2, 36, s[10:11]
	global_load_dword v2, v[2:3], off
	s_waitcnt vmcnt(0)
	ds_write_b32 v116, v2
.LBB219_12:                             ;   in Loop: Header=BB219_6 Depth=1
	s_or_b64 exec, exec, s[20:21]
	s_waitcnt lgkmcnt(0)
	s_barrier
	ds_read_b128 v[2:5], v118
	ds_read2_b32 v[72:73], v119 offset1:1
	ds_read_b128 v[14:17], v117
	ds_read_b128 v[18:21], v117 offset:16
	ds_read_b128 v[6:9], v117 offset:32
	;; [unrolled: 1-line block ×3, first 2 shown]
	ds_read2_b32 v[74:75], v120 offset1:1
	s_waitcnt lgkmcnt(5)
	v_and_b32_e32 v76, 0xf0f0f0f, v72
	v_lshrrev_b32_e32 v72, 4, v72
	v_mov_b32_e32 v86, 0
	v_and_b32_e32 v72, 0xf0f0f0f, v72
	s_waitcnt lgkmcnt(4)
	v_dot4c_i32_i8_e32 v86, v76, v14
	s_waitcnt lgkmcnt(3)
	v_dot4c_i32_i8_e32 v86, v72, v18
	v_and_b32_e32 v72, 0xf0f0f0f, v73
	v_lshrrev_b32_e32 v73, 4, v73
	v_and_b32_e32 v76, 0xf0f0f0f, v73
	v_dot4c_i32_i8_e32 v86, v72, v15
	ds_read2_b32 v[72:73], v119 offset0:2 offset1:3
	v_dot4c_i32_i8_e32 v86, v76, v19
	ds_read2_b32 v[88:89], v119 offset0:4 offset1:5
	ds_read2_b32 v[90:91], v119 offset0:6 offset1:7
	;; [unrolled: 1-line block ×3, first 2 shown]
	s_waitcnt lgkmcnt(4)
	v_pk_mul_f16 v155, v2, v74
	v_mov_b32_e32 v87, 0
	s_waitcnt lgkmcnt(3)
	v_and_b32_e32 v76, 0xf0f0f0f, v72
	v_dot4c_i32_i8_e32 v86, v76, v16
	ds_read2_b32 v[96:97], v119 offset0:10 offset1:11
	ds_read2_b32 v[80:81], v119 offset0:12 offset1:13
	;; [unrolled: 1-line block ×3, first 2 shown]
	ds_read2_b32 v[76:77], v131 offset1:1
	v_lshrrev_b32_e32 v72, 4, v72
	v_and_b32_e32 v72, 0xf0f0f0f, v72
	v_dot4c_i32_i8_e32 v86, v72, v20
	v_and_b32_e32 v72, 0xf0f0f0f, v73
	s_waitcnt lgkmcnt(0)
	v_and_b32_e32 v74, 0xf0f0f0f, v76
	v_lshrrev_b32_e32 v76, 4, v76
	v_lshrrev_b32_e32 v73, 4, v73
	v_and_b32_e32 v76, 0xf0f0f0f, v76
	v_dot4c_i32_i8_e32 v87, v74, v14
	v_and_b32_e32 v73, 0xf0f0f0f, v73
	v_dot4c_i32_i8_e32 v86, v72, v17
	v_dot4c_i32_i8_e32 v87, v76, v18
	v_lshrrev_b32_e32 v76, 4, v77
	v_dot4c_i32_i8_e32 v86, v73, v21
	ds_read2_b32 v[156:157], v121 offset1:1
	ds_read2_b32 v[72:73], v123 offset0:2 offset1:3
	v_and_b32_e32 v74, 0xf0f0f0f, v77
	v_and_b32_e32 v79, 0xf0f0f0f, v76
	ds_read2_b32 v[76:77], v132 offset1:1
	v_dot4c_i32_i8_e32 v87, v74, v15
	v_dot4c_i32_i8_e32 v87, v79, v19
	ds_read2_b32 v[158:159], v133 offset1:1
	ds_read2_b32 v[160:161], v134 offset1:1
	;; [unrolled: 1-line block ×3, first 2 shown]
	v_mov_b32_e32 v166, 0
	s_waitcnt lgkmcnt(3)
	v_and_b32_e32 v74, 0xf0f0f0f, v76
	v_lshrrev_b32_e32 v76, 4, v76
	v_and_b32_e32 v76, 0xf0f0f0f, v76
	v_dot4c_i32_i8_e32 v87, v74, v16
	v_dot4c_i32_i8_e32 v87, v76, v20
	v_and_b32_e32 v74, 0xf0f0f0f, v77
	v_lshrrev_b32_e32 v76, 4, v77
	v_and_b32_e32 v76, 0xf0f0f0f, v76
	v_dot4c_i32_i8_e32 v87, v74, v17
	v_dot4c_i32_i8_e32 v87, v76, v21
	s_waitcnt lgkmcnt(2)
	v_and_b32_e32 v74, 0xf0f0f0f, v158
	v_lshrrev_b32_e32 v76, 4, v158
	v_and_b32_e32 v76, 0xf0f0f0f, v76
	v_dot4c_i32_i8_e32 v166, v74, v14
	v_dot4c_i32_i8_e32 v166, v76, v18
	v_and_b32_e32 v74, 0xf0f0f0f, v159
	v_lshrrev_b32_e32 v76, 4, v159
	v_and_b32_e32 v76, 0xf0f0f0f, v76
	v_dot4c_i32_i8_e32 v166, v74, v15
	v_dot4c_i32_i8_e32 v166, v76, v19
	s_waitcnt lgkmcnt(1)
	v_and_b32_e32 v74, 0xf0f0f0f, v160
	v_lshrrev_b32_e32 v76, 4, v160
	v_and_b32_e32 v76, 0xf0f0f0f, v76
	v_dot4c_i32_i8_e32 v166, v74, v16
	v_dot4c_i32_i8_e32 v166, v76, v20
	v_and_b32_e32 v74, 0xf0f0f0f, v161
	v_dot4c_i32_i8_e32 v166, v74, v17
	s_waitcnt lgkmcnt(0)
	v_and_b32_e32 v74, 0xf0f0f0f, v162
	v_lshrrev_b32_e32 v77, 4, v162
	v_mov_b32_e32 v167, 0
	v_and_b32_e32 v77, 0xf0f0f0f, v77
	v_dot4c_i32_i8_e32 v167, v74, v14
	v_dot4c_i32_i8_e32 v167, v77, v18
	v_and_b32_e32 v14, 0xf0f0f0f, v163
	ds_read2_b32 v[164:165], v122 offset1:1
	ds_read2_b32 v[82:83], v121 offset0:2 offset1:3
	ds_read2_b32 v[92:93], v120 offset0:2 offset1:3
	v_dot4c_i32_i8_e32 v167, v14, v15
	ds_read2_b32 v[14:15], v136 offset1:1
	v_lshrrev_b32_e32 v18, 4, v163
	v_and_b32_e32 v18, 0xf0f0f0f, v18
	v_lshrrev_b32_e32 v76, 4, v161
	v_dot4c_i32_i8_e32 v167, v18, v19
	ds_read2_b32 v[18:19], v137 offset1:1
	ds_read2_b32 v[158:159], v138 offset1:1
	;; [unrolled: 1-line block ×4, first 2 shown]
	s_waitcnt lgkmcnt(4)
	v_and_b32_e32 v74, 0xf0f0f0f, v14
	v_lshrrev_b32_e32 v14, 4, v14
	v_and_b32_e32 v76, 0xf0f0f0f, v76
	v_and_b32_e32 v14, 0xf0f0f0f, v14
	v_dot4c_i32_i8_e32 v167, v74, v16
	v_dot4c_i32_i8_e32 v166, v76, v21
	;; [unrolled: 1-line block ×3, first 2 shown]
	v_and_b32_e32 v14, 0xf0f0f0f, v15
	v_pk_mul_f16 v156, v2, v156
	v_pk_mul_f16 v164, v2, v164
	v_dot4c_i32_i8_e32 v167, v14, v17
	ds_read2_b32 v[16:17], v122 offset0:2 offset1:3
	s_waitcnt lgkmcnt(1)
	v_pk_mul_f16 v162, v2, v162
	v_cvt_f32_i32_e32 v14, v166
	v_and_b32_e32 v2, 0xf0f0f0f, v88
	v_lshrrev_b32_e32 v20, 4, v88
	v_mov_b32_e32 v166, 0
	v_and_b32_e32 v20, 0xf0f0f0f, v20
	v_dot4c_i32_i8_e32 v166, v2, v6
	v_dot4c_i32_i8_e32 v166, v20, v10
	v_and_b32_e32 v2, 0xf0f0f0f, v89
	v_lshrrev_b32_e32 v20, 4, v89
	v_and_b32_e32 v20, 0xf0f0f0f, v20
	v_dot4c_i32_i8_e32 v166, v2, v7
	v_dot4c_i32_i8_e32 v166, v20, v11
	v_and_b32_e32 v2, 0xf0f0f0f, v90
	v_lshrrev_b32_e32 v20, 4, v90
	v_and_b32_e32 v20, 0xf0f0f0f, v20
	v_dot4c_i32_i8_e32 v166, v2, v8
	v_dot4c_i32_i8_e32 v166, v20, v12
	v_and_b32_e32 v2, 0xf0f0f0f, v91
	v_lshrrev_b32_e32 v20, 4, v91
	v_dot4c_i32_i8_e32 v166, v2, v9
	v_and_b32_e32 v2, 0xf0f0f0f, v18
	v_lshrrev_b32_e32 v18, 4, v18
	v_mov_b32_e32 v91, 0
	v_and_b32_e32 v18, 0xf0f0f0f, v18
	v_dot4c_i32_i8_e32 v91, v2, v6
	v_dot4c_i32_i8_e32 v91, v18, v10
	v_and_b32_e32 v2, 0xf0f0f0f, v19
	v_lshrrev_b32_e32 v18, 4, v19
	v_and_b32_e32 v18, 0xf0f0f0f, v18
	v_dot4c_i32_i8_e32 v91, v2, v7
	v_dot4c_i32_i8_e32 v91, v18, v11
	v_and_b32_e32 v2, 0xf0f0f0f, v158
	v_lshrrev_b32_e32 v18, 4, v158
	;; [unrolled: 5-line block ×4, first 2 shown]
	v_mov_b32_e32 v158, 0
	v_and_b32_e32 v18, 0xf0f0f0f, v18
	v_dot4c_i32_i8_e32 v158, v2, v6
	v_and_b32_e32 v20, 0xf0f0f0f, v20
	v_dot4c_i32_i8_e32 v158, v18, v10
	v_lshrrev_b32_e32 v18, 4, v161
	v_dot4c_i32_i8_e32 v166, v20, v13
	v_and_b32_e32 v20, 0xf0f0f0f, v18
	ds_read2_b32 v[18:19], v140 offset1:1
	v_and_b32_e32 v2, 0xf0f0f0f, v161
	v_lshrrev_b32_e32 v15, 4, v15
	v_dot4c_i32_i8_e32 v158, v2, v7
	v_and_b32_e32 v15, 0xf0f0f0f, v15
	v_dot4c_i32_i8_e32 v158, v20, v11
	s_waitcnt lgkmcnt(0)
	v_and_b32_e32 v2, 0xf0f0f0f, v18
	v_lshrrev_b32_e32 v18, 4, v18
	v_dot4c_i32_i8_e32 v167, v15, v21
	v_pk_mul_f16 v90, v3, v75
	ds_read2_b32 v[20:21], v141 offset1:1
	ds_read2_b32 v[74:75], v142 offset1:1
	;; [unrolled: 1-line block ×3, first 2 shown]
	v_and_b32_e32 v18, 0xf0f0f0f, v18
	v_dot4c_i32_i8_e32 v158, v2, v8
	v_dot4c_i32_i8_e32 v158, v18, v12
	v_and_b32_e32 v2, 0xf0f0f0f, v19
	v_lshrrev_b32_e32 v18, 4, v19
	v_and_b32_e32 v18, 0xf0f0f0f, v18
	v_dot4c_i32_i8_e32 v158, v2, v9
	v_dot4c_i32_i8_e32 v158, v18, v13
	s_waitcnt lgkmcnt(2)
	v_and_b32_e32 v2, 0xf0f0f0f, v20
	v_lshrrev_b32_e32 v18, 4, v20
	v_mov_b32_e32 v160, 0
	v_and_b32_e32 v18, 0xf0f0f0f, v18
	v_dot4c_i32_i8_e32 v160, v2, v6
	v_dot4c_i32_i8_e32 v160, v18, v10
	v_and_b32_e32 v2, 0xf0f0f0f, v21
	v_lshrrev_b32_e32 v6, 4, v21
	v_and_b32_e32 v6, 0xf0f0f0f, v6
	v_dot4c_i32_i8_e32 v160, v2, v7
	v_dot4c_i32_i8_e32 v160, v6, v11
	s_waitcnt lgkmcnt(1)
	v_and_b32_e32 v2, 0xf0f0f0f, v74
	v_lshrrev_b32_e32 v6, 4, v74
	v_and_b32_e32 v6, 0xf0f0f0f, v6
	v_dot4c_i32_i8_e32 v160, v2, v8
	v_dot4c_i32_i8_e32 v160, v6, v12
	v_and_b32_e32 v2, 0xf0f0f0f, v75
	v_lshrrev_b32_e32 v6, 4, v75
	v_and_b32_e32 v6, 0xf0f0f0f, v6
	v_dot4c_i32_i8_e32 v160, v2, v9
	v_dot4c_i32_i8_e32 v160, v6, v13
	ds_read_b128 v[6:9], v117 offset:64
	ds_read_b128 v[10:13], v117 offset:80
	v_pk_mul_f16 v157, v3, v157
	v_pk_mul_f16 v159, v3, v165
	;; [unrolled: 1-line block ×3, first 2 shown]
	v_and_b32_e32 v2, 0xf0f0f0f, v94
	v_lshrrev_b32_e32 v3, 4, v94
	v_mov_b32_e32 v94, 0
	v_and_b32_e32 v3, 0xf0f0f0f, v3
	s_waitcnt lgkmcnt(1)
	v_dot4c_i32_i8_e32 v94, v2, v6
	s_waitcnt lgkmcnt(0)
	v_dot4c_i32_i8_e32 v94, v3, v10
	v_and_b32_e32 v2, 0xf0f0f0f, v95
	v_lshrrev_b32_e32 v3, 4, v95
	v_and_b32_e32 v3, 0xf0f0f0f, v3
	v_dot4c_i32_i8_e32 v94, v2, v7
	v_dot4c_i32_i8_e32 v94, v3, v11
	v_and_b32_e32 v2, 0xf0f0f0f, v96
	v_lshrrev_b32_e32 v3, 4, v96
	v_and_b32_e32 v3, 0xf0f0f0f, v3
	v_dot4c_i32_i8_e32 v94, v2, v8
	;; [unrolled: 5-line block ×3, first 2 shown]
	v_dot4c_i32_i8_e32 v94, v3, v13
	v_and_b32_e32 v2, 0xf0f0f0f, v88
	v_lshrrev_b32_e32 v3, 4, v88
	v_mov_b32_e32 v88, 0
	v_and_b32_e32 v3, 0xf0f0f0f, v3
	v_dot4c_i32_i8_e32 v88, v2, v6
	v_dot4c_i32_i8_e32 v88, v3, v10
	v_and_b32_e32 v2, 0xf0f0f0f, v89
	v_lshrrev_b32_e32 v3, 4, v89
	v_and_b32_e32 v18, 0xf0f0f0f, v3
	v_dot4c_i32_i8_e32 v88, v2, v7
	ds_read2_b32 v[2:3], v144 offset1:1
	v_dot4c_i32_i8_e32 v88, v18, v11
	ds_read2_b32 v[18:19], v145 offset1:1
	ds_read2_b32 v[20:21], v146 offset1:1
	;; [unrolled: 1-line block ×3, first 2 shown]
	v_mov_b32_e32 v95, 0
	v_pk_mul_f16 v92, v4, v92
	s_waitcnt lgkmcnt(3)
	v_and_b32_e32 v89, 0xf0f0f0f, v2
	v_lshrrev_b32_e32 v2, 4, v2
	v_and_b32_e32 v2, 0xf0f0f0f, v2
	v_dot4c_i32_i8_e32 v88, v89, v8
	v_dot4c_i32_i8_e32 v88, v2, v12
	v_and_b32_e32 v2, 0xf0f0f0f, v3
	v_lshrrev_b32_e32 v3, 4, v3
	v_and_b32_e32 v3, 0xf0f0f0f, v3
	v_dot4c_i32_i8_e32 v88, v2, v9
	v_dot4c_i32_i8_e32 v88, v3, v13
	s_waitcnt lgkmcnt(2)
	v_and_b32_e32 v2, 0xf0f0f0f, v18
	v_lshrrev_b32_e32 v3, 4, v18
	v_mov_b32_e32 v89, 0
	v_and_b32_e32 v3, 0xf0f0f0f, v3
	v_dot4c_i32_i8_e32 v89, v2, v6
	v_dot4c_i32_i8_e32 v89, v3, v10
	v_and_b32_e32 v2, 0xf0f0f0f, v19
	v_lshrrev_b32_e32 v3, 4, v19
	v_and_b32_e32 v3, 0xf0f0f0f, v3
	v_dot4c_i32_i8_e32 v89, v2, v7
	v_dot4c_i32_i8_e32 v89, v3, v11
	s_waitcnt lgkmcnt(1)
	v_and_b32_e32 v2, 0xf0f0f0f, v20
	v_lshrrev_b32_e32 v3, 4, v20
	v_and_b32_e32 v3, 0xf0f0f0f, v3
	v_dot4c_i32_i8_e32 v89, v2, v8
	v_dot4c_i32_i8_e32 v89, v3, v12
	v_and_b32_e32 v2, 0xf0f0f0f, v21
	v_lshrrev_b32_e32 v3, 4, v21
	v_and_b32_e32 v3, 0xf0f0f0f, v3
	v_dot4c_i32_i8_e32 v89, v2, v9
	v_dot4c_i32_i8_e32 v89, v3, v13
	s_waitcnt lgkmcnt(0)
	v_and_b32_e32 v2, 0xf0f0f0f, v74
	v_lshrrev_b32_e32 v3, 4, v74
	v_and_b32_e32 v3, 0xf0f0f0f, v3
	v_dot4c_i32_i8_e32 v95, v2, v6
	v_dot4c_i32_i8_e32 v95, v3, v10
	v_and_b32_e32 v2, 0xf0f0f0f, v75
	v_lshrrev_b32_e32 v3, 4, v75
	v_and_b32_e32 v6, 0xf0f0f0f, v3
	v_dot4c_i32_i8_e32 v95, v2, v7
	ds_read2_b32 v[2:3], v148 offset1:1
	v_dot4c_i32_i8_e32 v95, v6, v11
	ds_read2_b32 v[18:19], v149 offset1:1
	ds_read2_b32 v[20:21], v150 offset1:1
	;; [unrolled: 1-line block ×3, first 2 shown]
	v_pk_mul_f16 v82, v4, v82
	v_pk_mul_f16 v16, v4, v16
	s_waitcnt lgkmcnt(3)
	v_and_b32_e32 v6, 0xf0f0f0f, v2
	v_lshrrev_b32_e32 v2, 4, v2
	v_and_b32_e32 v2, 0xf0f0f0f, v2
	v_dot4c_i32_i8_e32 v95, v6, v8
	v_dot4c_i32_i8_e32 v95, v2, v12
	v_and_b32_e32 v2, 0xf0f0f0f, v3
	v_lshrrev_b32_e32 v3, 4, v3
	v_and_b32_e32 v3, 0xf0f0f0f, v3
	v_dot4c_i32_i8_e32 v95, v2, v9
	v_dot4c_i32_i8_e32 v95, v3, v13
	ds_read_b128 v[6:9], v117 offset:96
	ds_read_b128 v[10:13], v117 offset:112
	v_pk_mul_f16 v72, v4, v72
	v_and_b32_e32 v2, 0xf0f0f0f, v80
	v_lshrrev_b32_e32 v3, 4, v80
	v_mov_b32_e32 v4, 0
	v_and_b32_e32 v3, 0xf0f0f0f, v3
	s_waitcnt lgkmcnt(1)
	v_dot4c_i32_i8_e32 v4, v2, v6
	s_waitcnt lgkmcnt(0)
	v_dot4c_i32_i8_e32 v4, v3, v10
	v_and_b32_e32 v2, 0xf0f0f0f, v81
	v_lshrrev_b32_e32 v3, 4, v81
	v_and_b32_e32 v3, 0xf0f0f0f, v3
	v_dot4c_i32_i8_e32 v4, v2, v7
	v_dot4c_i32_i8_e32 v4, v3, v11
	v_and_b32_e32 v2, 0xf0f0f0f, v84
	v_lshrrev_b32_e32 v3, 4, v84
	v_and_b32_e32 v3, 0xf0f0f0f, v3
	v_dot4c_i32_i8_e32 v4, v2, v8
	;; [unrolled: 5-line block ×3, first 2 shown]
	v_dot4c_i32_i8_e32 v4, v3, v13
	v_and_b32_e32 v2, 0xf0f0f0f, v18
	v_lshrrev_b32_e32 v3, 4, v18
	v_mov_b32_e32 v85, 0
	v_and_b32_e32 v3, 0xf0f0f0f, v3
	v_dot4c_i32_i8_e32 v85, v2, v6
	v_dot4c_i32_i8_e32 v85, v3, v10
	v_and_b32_e32 v2, 0xf0f0f0f, v19
	v_lshrrev_b32_e32 v3, 4, v19
	v_and_b32_e32 v3, 0xf0f0f0f, v3
	v_dot4c_i32_i8_e32 v85, v2, v7
	v_dot4c_i32_i8_e32 v85, v3, v11
	v_and_b32_e32 v2, 0xf0f0f0f, v20
	v_lshrrev_b32_e32 v3, 4, v20
	v_and_b32_e32 v3, 0xf0f0f0f, v3
	v_dot4c_i32_i8_e32 v85, v2, v8
	v_dot4c_i32_i8_e32 v85, v3, v12
	v_and_b32_e32 v2, 0xf0f0f0f, v21
	v_lshrrev_b32_e32 v3, 4, v21
	v_and_b32_e32 v3, 0xf0f0f0f, v3
	v_dot4c_i32_i8_e32 v85, v2, v9
	v_cvt_f32_f16_e32 v78, v155
	v_cvt_f32_f16_e32 v79, v156
	v_cvt_f32_i32_e32 v87, v87
	v_cvt_f32_i32_e32 v86, v86
	v_dot4c_i32_i8_e32 v85, v3, v13
	v_cvt_f32_f16_sdwa v3, v156 dst_sel:DWORD dst_unused:UNUSED_PAD src0_sel:WORD_1
	v_cvt_f32_f16_sdwa v2, v155 dst_sel:DWORD dst_unused:UNUSED_PAD src0_sel:WORD_1
	v_cvt_f32_f16_e32 v19, v157
	v_cvt_f32_f16_e32 v18, v90
	v_cvt_f32_f16_sdwa v21, v157 dst_sel:DWORD dst_unused:UNUSED_PAD src0_sel:WORD_1
	v_cvt_f32_f16_sdwa v20, v90 dst_sel:DWORD dst_unused:UNUSED_PAD src0_sel:WORD_1
	v_cvt_f32_i32_e32 v81, v91
	v_cvt_f32_i32_e32 v80, v166
	v_pk_fma_f32 v[2:3], v[78:79], v[86:87], v[2:3]
	v_pk_mul_f16 v84, v5, v93
	v_pk_mul_f16 v83, v5, v83
	v_pk_add_f32 v[2:3], v[22:23], v[2:3]
	v_pk_fma_f32 v[18:19], v[18:19], v[80:81], v[20:21]
	v_cvt_f32_f16_e32 v21, v82
	v_cvt_f32_f16_e32 v20, v92
	v_cvt_f32_f16_sdwa v23, v82 dst_sel:DWORD dst_unused:UNUSED_PAD src0_sel:WORD_1
	v_cvt_f32_f16_sdwa v22, v92 dst_sel:DWORD dst_unused:UNUSED_PAD src0_sel:WORD_1
	v_cvt_f32_i32_e32 v79, v88
	v_cvt_f32_i32_e32 v78, v94
	v_cvt_f32_f16_e32 v81, v83
	v_cvt_f32_f16_e32 v80, v84
	v_cvt_f32_f16_sdwa v83, v83 dst_sel:DWORD dst_unused:UNUSED_PAD src0_sel:WORD_1
	v_cvt_f32_f16_sdwa v82, v84 dst_sel:DWORD dst_unused:UNUSED_PAD src0_sel:WORD_1
	v_cvt_f32_i32_e32 v85, v85
	v_cvt_f32_i32_e32 v84, v4
	v_pk_add_f32 v[2:3], v[2:3], v[18:19]
	v_pk_fma_f32 v[18:19], v[20:21], v[78:79], v[22:23]
	v_and_b32_e32 v4, 0xf0f0f0f, v75
	v_pk_add_f32 v[2:3], v[2:3], v[18:19]
	v_pk_fma_f32 v[18:19], v[80:81], v[84:85], v[82:83]
	v_cvt_f32_f16_e32 v76, v164
	v_pk_add_f32 v[22:23], v[2:3], v[18:19]
	v_and_b32_e32 v2, 0xf0f0f0f, v74
	v_lshrrev_b32_e32 v3, 4, v74
	v_mov_b32_e32 v74, 0
	v_and_b32_e32 v3, 0xf0f0f0f, v3
	v_dot4c_i32_i8_e32 v74, v2, v6
	v_lshrrev_b32_e32 v2, 4, v75
	v_dot4c_i32_i8_e32 v74, v3, v10
	v_and_b32_e32 v18, 0xf0f0f0f, v2
	ds_read2_b32 v[2:3], v152 offset1:1
	v_dot4c_i32_i8_e32 v74, v4, v7
	v_dot4c_i32_i8_e32 v74, v18, v11
	ds_read2_b32 v[18:19], v153 offset1:1
	ds_read2_b32 v[20:21], v154 offset1:1
	v_cvt_f32_f16_e32 v77, v162
	s_waitcnt lgkmcnt(2)
	v_and_b32_e32 v4, 0xf0f0f0f, v2
	v_lshrrev_b32_e32 v2, 4, v2
	v_and_b32_e32 v2, 0xf0f0f0f, v2
	v_dot4c_i32_i8_e32 v74, v4, v8
	v_dot4c_i32_i8_e32 v74, v2, v12
	v_and_b32_e32 v2, 0xf0f0f0f, v3
	v_lshrrev_b32_e32 v3, 4, v3
	v_and_b32_e32 v3, 0xf0f0f0f, v3
	v_dot4c_i32_i8_e32 v74, v2, v9
	v_dot4c_i32_i8_e32 v74, v3, v13
	s_waitcnt lgkmcnt(1)
	v_and_b32_e32 v2, 0xf0f0f0f, v18
	v_lshrrev_b32_e32 v3, 4, v18
	v_mov_b32_e32 v18, 0
	v_and_b32_e32 v3, 0xf0f0f0f, v3
	v_dot4c_i32_i8_e32 v18, v2, v6
	v_dot4c_i32_i8_e32 v18, v3, v10
	v_and_b32_e32 v2, 0xf0f0f0f, v19
	v_lshrrev_b32_e32 v3, 4, v19
	v_and_b32_e32 v3, 0xf0f0f0f, v3
	v_dot4c_i32_i8_e32 v18, v2, v7
	v_dot4c_i32_i8_e32 v18, v3, v11
	s_waitcnt lgkmcnt(0)
	v_and_b32_e32 v2, 0xf0f0f0f, v20
	v_lshrrev_b32_e32 v3, 4, v20
	v_and_b32_e32 v3, 0xf0f0f0f, v3
	v_dot4c_i32_i8_e32 v18, v2, v8
	v_dot4c_i32_i8_e32 v18, v3, v12
	v_and_b32_e32 v2, 0xf0f0f0f, v21
	v_lshrrev_b32_e32 v3, 4, v21
	v_and_b32_e32 v3, 0xf0f0f0f, v3
	v_dot4c_i32_i8_e32 v18, v2, v9
	v_cvt_f32_f16_e32 v7, v161
	v_cvt_f32_f16_e32 v6, v159
	v_cvt_f32_f16_sdwa v9, v161 dst_sel:DWORD dst_unused:UNUSED_PAD src0_sel:WORD_1
	v_cvt_f32_f16_sdwa v8, v159 dst_sel:DWORD dst_unused:UNUSED_PAD src0_sel:WORD_1
	v_cvt_f32_i32_e32 v11, v160
	v_cvt_f32_i32_e32 v10, v158
	;; [unrolled: 1-line block ×3, first 2 shown]
	v_dot4c_i32_i8_e32 v18, v3, v13
	v_cvt_f32_f16_sdwa v3, v162 dst_sel:DWORD dst_unused:UNUSED_PAD src0_sel:WORD_1
	v_cvt_f32_f16_sdwa v2, v164 dst_sel:DWORD dst_unused:UNUSED_PAD src0_sel:WORD_1
	v_pk_mul_f16 v17, v5, v17
	v_pk_mul_f16 v19, v5, v73
	v_pk_fma_f32 v[4:5], v[6:7], v[10:11], v[8:9]
	v_cvt_f32_f16_e32 v7, v72
	v_cvt_f32_f16_e32 v6, v16
	v_cvt_f32_f16_sdwa v9, v72 dst_sel:DWORD dst_unused:UNUSED_PAD src0_sel:WORD_1
	v_cvt_f32_f16_sdwa v8, v16 dst_sel:DWORD dst_unused:UNUSED_PAD src0_sel:WORD_1
	v_cvt_f32_i32_e32 v11, v95
	v_cvt_f32_i32_e32 v10, v89
	v_pk_fma_f32 v[2:3], v[76:77], v[14:15], v[2:3]
	v_cvt_f32_f16_e32 v13, v19
	v_cvt_f32_f16_e32 v12, v17
	v_cvt_f32_f16_sdwa v15, v19 dst_sel:DWORD dst_unused:UNUSED_PAD src0_sel:WORD_1
	v_cvt_f32_f16_sdwa v14, v17 dst_sel:DWORD dst_unused:UNUSED_PAD src0_sel:WORD_1
	v_cvt_f32_i32_e32 v17, v18
	v_cvt_f32_i32_e32 v16, v74
	v_pk_add_f32 v[2:3], v[68:69], v[2:3]
	s_cmp_ge_i32 s24, s15
	v_pk_add_f32 v[2:3], v[2:3], v[4:5]
	v_pk_fma_f32 v[4:5], v[6:7], v[10:11], v[8:9]
	s_nop 0
	v_pk_add_f32 v[2:3], v[2:3], v[4:5]
	v_pk_fma_f32 v[4:5], v[12:13], v[16:17], v[14:15]
	s_barrier
	v_pk_add_f32 v[68:69], v[2:3], v[4:5]
	s_cbranch_scc1 .LBB219_5
; %bb.13:                               ;   in Loop: Header=BB219_6 Depth=1
	v_add_u32_e32 v2, s14, v124
	v_cmp_gt_i32_e64 s[2:3], s5, v2
	s_and_b64 s[20:21], s[0:1], s[2:3]
	s_and_saveexec_b64 s[2:3], s[20:21]
	s_cbranch_execz .LBB219_15
; %bb.14:                               ;   in Loop: Header=BB219_6 Depth=1
	v_add_u32_e32 v2, s14, v125
	v_mad_i64_i32 v[2:3], s[20:21], v2, 36, v[26:27]
	global_load_dword v2, v[2:3], off offset:4
	s_waitcnt vmcnt(0)
	ds_write_b32 v115, v2
.LBB219_15:                             ;   in Loop: Header=BB219_6 Depth=1
	s_or_b64 exec, exec, s[2:3]
	s_and_saveexec_b64 s[20:21], vcc
	s_cbranch_execz .LBB219_4
; %bb.16:                               ;   in Loop: Header=BB219_6 Depth=1
	v_add3_u32 v2, v24, s14, 4
	v_cmp_gt_i32_e64 s[2:3], s5, v2
	s_and_b64 s[2:3], s[0:1], s[2:3]
	s_and_b64 exec, exec, s[2:3]
	s_cbranch_execz .LBB219_4
; %bb.17:                               ;   in Loop: Header=BB219_6 Depth=1
	global_load_dword v2, v[28:29], off
	s_waitcnt vmcnt(0)
	ds_write_b32 v116, v2
	s_branch .LBB219_4
.LBB219_18:
	v_mov_b32_e32 v68, v69
	v_mov_b32_e32 v23, v69
	;; [unrolled: 1-line block ×3, first 2 shown]
.LBB219_19:
	s_mul_i32 s0, s7, s4
	s_waitcnt vmcnt(0)
	v_cmp_gt_i32_e32 vcc, s0, v1
	s_and_saveexec_b64 s[0:1], vcc
	s_cbranch_execz .LBB219_28
; %bb.20:
	v_and_b32_e32 v0, 0x3ff, v0
	v_add_u32_e32 v2, s22, v0
	v_mul_lo_u32 v0, v1, s6
	v_cmp_gt_u32_e32 vcc, s6, v2
	s_and_saveexec_b64 s[0:1], vcc
	s_cbranch_execz .LBB219_22
; %bb.21:
	v_bfe_u32 v1, v22, 16, 1
	s_movk_i32 s2, 0x7fff
	v_add3_u32 v1, v22, v1, s2
	v_lshrrev_b32_e32 v1, 16, v1
	v_mov_b32_e32 v3, 0x7fc0
	v_cmp_o_f32_e32 vcc, v22, v22
	v_add_u32_e32 v4, v0, v2
	v_mov_b32_e32 v5, 0
	v_cndmask_b32_e32 v1, v3, v1, vcc
	v_lshl_add_u64 v[4:5], v[4:5], 1, s[12:13]
	global_store_short v[4:5], v1, off
.LBB219_22:
	s_or_b64 exec, exec, s[0:1]
	v_add_u32_e32 v1, 32, v2
	v_cmp_gt_u32_e32 vcc, s6, v1
	s_and_saveexec_b64 s[0:1], vcc
	s_cbranch_execz .LBB219_24
; %bb.23:
	v_bfe_u32 v3, v23, 16, 1
	s_movk_i32 s2, 0x7fff
	v_add3_u32 v3, v23, v3, s2
	v_lshrrev_b32_e32 v3, 16, v3
	v_mov_b32_e32 v4, 0x7fc0
	v_cmp_o_f32_e32 vcc, v23, v23
	v_mov_b32_e32 v5, 0
	s_nop 0
	v_cndmask_b32_e32 v3, v4, v3, vcc
	v_add_u32_e32 v4, v0, v1
	v_lshl_add_u64 v[4:5], v[4:5], 1, s[12:13]
	global_store_short v[4:5], v3, off
.LBB219_24:
	s_or_b64 exec, exec, s[0:1]
	v_add_u32_e32 v1, 64, v2
	v_cmp_gt_u32_e32 vcc, s6, v1
	s_and_saveexec_b64 s[0:1], vcc
	s_cbranch_execz .LBB219_26
; %bb.25:
	v_bfe_u32 v3, v68, 16, 1
	s_movk_i32 s2, 0x7fff
	v_add3_u32 v3, v68, v3, s2
	v_lshrrev_b32_e32 v3, 16, v3
	v_mov_b32_e32 v4, 0x7fc0
	v_cmp_o_f32_e32 vcc, v68, v68
	v_mov_b32_e32 v5, 0
	s_nop 0
	v_cndmask_b32_e32 v3, v4, v3, vcc
	v_add_u32_e32 v4, v0, v1
	v_lshl_add_u64 v[4:5], v[4:5], 1, s[12:13]
	global_store_short v[4:5], v3, off
.LBB219_26:
	s_or_b64 exec, exec, s[0:1]
	v_add_u32_e32 v1, 0x60, v2
	v_cmp_gt_u32_e32 vcc, s6, v1
	s_and_b64 exec, exec, vcc
	s_cbranch_execz .LBB219_28
; %bb.27:
	v_bfe_u32 v2, v69, 16, 1
	s_movk_i32 s0, 0x7fff
	v_add3_u32 v2, v69, v2, s0
	v_lshrrev_b32_e32 v2, 16, v2
	v_mov_b32_e32 v3, 0x7fc0
	v_cmp_o_f32_e32 vcc, v69, v69
	v_add_u32_e32 v0, v0, v1
	v_mov_b32_e32 v1, 0
	v_cndmask_b32_e32 v2, v3, v2, vcc
	v_lshl_add_u64 v[0:1], v[0:1], 1, s[12:13]
	global_store_short v[0:1], v2, off
.LBB219_28:
	s_endpgm
	.section	.rodata,"a",@progbits
	.p2align	6, 0x0
	.amdhsa_kernel _ZL8moe_q4_1IN3c108BFloat16ELb0EEvPKvS3_PT_PKiS7_S7_iiiiiii
		.amdhsa_group_segment_fixed_size 22272
		.amdhsa_private_segment_fixed_size 0
		.amdhsa_kernarg_size 76
		.amdhsa_user_sgpr_count 2
		.amdhsa_user_sgpr_dispatch_ptr 0
		.amdhsa_user_sgpr_queue_ptr 0
		.amdhsa_user_sgpr_kernarg_segment_ptr 1
		.amdhsa_user_sgpr_dispatch_id 0
		.amdhsa_user_sgpr_kernarg_preload_length 0
		.amdhsa_user_sgpr_kernarg_preload_offset 0
		.amdhsa_user_sgpr_private_segment_size 0
		.amdhsa_uses_dynamic_stack 0
		.amdhsa_enable_private_segment 0
		.amdhsa_system_sgpr_workgroup_id_x 1
		.amdhsa_system_sgpr_workgroup_id_y 1
		.amdhsa_system_sgpr_workgroup_id_z 0
		.amdhsa_system_sgpr_workgroup_info 0
		.amdhsa_system_vgpr_workitem_id 1
		.amdhsa_next_free_vgpr 168
		.amdhsa_next_free_sgpr 25
		.amdhsa_accum_offset 168
		.amdhsa_reserve_vcc 1
		.amdhsa_float_round_mode_32 0
		.amdhsa_float_round_mode_16_64 0
		.amdhsa_float_denorm_mode_32 3
		.amdhsa_float_denorm_mode_16_64 3
		.amdhsa_dx10_clamp 1
		.amdhsa_ieee_mode 1
		.amdhsa_fp16_overflow 0
		.amdhsa_tg_split 0
		.amdhsa_exception_fp_ieee_invalid_op 0
		.amdhsa_exception_fp_denorm_src 0
		.amdhsa_exception_fp_ieee_div_zero 0
		.amdhsa_exception_fp_ieee_overflow 0
		.amdhsa_exception_fp_ieee_underflow 0
		.amdhsa_exception_fp_ieee_inexact 0
		.amdhsa_exception_int_div_zero 0
	.end_amdhsa_kernel
	.section	.text._ZL8moe_q4_1IN3c108BFloat16ELb0EEvPKvS3_PT_PKiS7_S7_iiiiiii,"axG",@progbits,_ZL8moe_q4_1IN3c108BFloat16ELb0EEvPKvS3_PT_PKiS7_S7_iiiiiii,comdat
.Lfunc_end219:
	.size	_ZL8moe_q4_1IN3c108BFloat16ELb0EEvPKvS3_PT_PKiS7_S7_iiiiiii, .Lfunc_end219-_ZL8moe_q4_1IN3c108BFloat16ELb0EEvPKvS3_PT_PKiS7_S7_iiiiiii
                                        ; -- End function
	.section	.AMDGPU.csdata,"",@progbits
; Kernel info:
; codeLenInByte = 9300
; NumSgprs: 31
; NumVgprs: 168
; NumAgprs: 0
; TotalNumVgprs: 168
; ScratchSize: 0
; MemoryBound: 0
; FloatMode: 240
; IeeeMode: 1
; LDSByteSize: 22272 bytes/workgroup (compile time only)
; SGPRBlocks: 3
; VGPRBlocks: 20
; NumSGPRsForWavesPerEU: 31
; NumVGPRsForWavesPerEU: 168
; AccumOffset: 168
; Occupancy: 2
; WaveLimiterHint : 1
; COMPUTE_PGM_RSRC2:SCRATCH_EN: 0
; COMPUTE_PGM_RSRC2:USER_SGPR: 2
; COMPUTE_PGM_RSRC2:TRAP_HANDLER: 0
; COMPUTE_PGM_RSRC2:TGID_X_EN: 1
; COMPUTE_PGM_RSRC2:TGID_Y_EN: 1
; COMPUTE_PGM_RSRC2:TGID_Z_EN: 0
; COMPUTE_PGM_RSRC2:TIDIG_COMP_CNT: 1
; COMPUTE_PGM_RSRC3_GFX90A:ACCUM_OFFSET: 41
; COMPUTE_PGM_RSRC3_GFX90A:TG_SPLIT: 0
	.section	.text._ZL8moe_q4_1IN3c108BFloat16ELb1EEvPKvS3_PT_PKiS7_S7_iiiiiii,"axG",@progbits,_ZL8moe_q4_1IN3c108BFloat16ELb1EEvPKvS3_PT_PKiS7_S7_iiiiiii,comdat
	.globl	_ZL8moe_q4_1IN3c108BFloat16ELb1EEvPKvS3_PT_PKiS7_S7_iiiiiii ; -- Begin function _ZL8moe_q4_1IN3c108BFloat16ELb1EEvPKvS3_PT_PKiS7_S7_iiiiiii
	.p2align	8
	.type	_ZL8moe_q4_1IN3c108BFloat16ELb1EEvPKvS3_PT_PKiS7_S7_iiiiiii,@function
_ZL8moe_q4_1IN3c108BFloat16ELb1EEvPKvS3_PT_PKiS7_S7_iiiiiii: ; @_ZL8moe_q4_1IN3c108BFloat16ELb1EEvPKvS3_PT_PKiS7_S7_iiiiiii
; %bb.0:
	s_load_dwordx4 s[4:7], s[0:1], 0x18
	s_mov_b32 s8, s3
	s_mov_b32 s9, 0
	s_lshl_b64 s[10:11], s[8:9], 2
	s_waitcnt lgkmcnt(0)
	s_add_u32 s6, s6, s10
	s_addc_u32 s7, s7, s11
	s_load_dword s3, s[6:7], 0x0
	s_waitcnt lgkmcnt(0)
	s_cmpk_gt_u32 s3, 0xff
	s_cbranch_scc1 .LBB220_28
; %bb.1:
	s_load_dwordx2 s[6:7], s[0:1], 0x28
	s_waitcnt lgkmcnt(0)
	s_load_dword s7, s[6:7], 0x0
	s_lshl_b32 s6, s8, 3
	s_waitcnt lgkmcnt(0)
	s_cmp_gt_u32 s6, s7
	s_cbranch_scc1 .LBB220_28
; %bb.2:
	v_bfe_u32 v2, v0, 10, 10
	v_mov_b32_e32 v4, s4
	v_mov_b32_e32 v5, s5
	v_add_u32_e32 v100, s6, v2
	v_mov_b32_e32 v101, 0
	v_lshl_add_u64 v[4:5], v[100:101], 2, v[4:5]
	global_load_dword v1, v[4:5], off
	s_load_dwordx8 s[4:11], s[0:1], 0x30
	s_load_dwordx2 s[16:17], s[0:1], 0x10
	s_waitcnt lgkmcnt(0)
	s_lshl_b32 s11, s2, 7
	s_cmp_lt_i32 s5, 32
	s_cbranch_scc1 .LBB220_18
; %bb.3:
	s_load_dwordx4 s[12:15], s[0:1], 0x0
	s_ashr_i32 s0, s5, 31
	s_lshr_b32 s0, s0, 27
	s_add_i32 s0, s5, s0
	s_ashr_i32 s24, s0, 5
	s_ashr_i32 s0, s8, 31
	s_lshr_b32 s0, s0, 27
	s_add_i32 s0, s8, s0
	s_ashr_i32 s8, s0, 5
	s_not_b32 s0, s11
	s_mul_i32 s18, s3, s4
	s_add_i32 s3, s0, s6
	v_and_b32_e32 v24, 0x3ff, v0
	v_lshlrev_b32_e32 v4, 2, v24
	v_min_i32_e32 v3, s3, v2
	s_movk_i32 s6, 0x84
	v_mul_lo_u32 v9, v3, s24
	v_mad_u64_u32 v[26:27], s[0:1], v3, s6, v[4:5]
	v_add_u32_e32 v3, 8, v2
	v_min_i32_e32 v3, s3, v3
	v_mul_lo_u32 v10, v3, s24
	v_mad_u64_u32 v[28:29], s[0:1], v3, s6, v[4:5]
	v_add_u32_e32 v3, 16, v2
	v_min_i32_e32 v3, s3, v3
	;; [unrolled: 4-line block ×15, first 2 shown]
	v_mul_lo_u32 v55, v3, s24
	v_mad_u64_u32 v[56:57], s[0:1], v3, s6, v[4:5]
	v_lshlrev_b32_e32 v3, 2, v2
	v_lshrrev_b32_e32 v27, 3, v24
	v_add_u32_e32 v5, v27, v3
	v_min_i32_e32 v6, s3, v5
	v_ashrrev_i32_e32 v7, 31, v6
	v_lshrrev_b32_e32 v7, 30, v7
	v_and_b32_e32 v57, 7, v24
	v_mul_lo_u32 v94, v6, s24
	v_add_u32_e32 v7, v6, v7
	v_lshlrev_b32_e32 v101, 5, v6
	v_add_u32_e32 v6, 32, v5
	v_and_b32_e32 v7, -4, v7
	v_lshlrev_b32_e32 v25, 2, v57
	s_movk_i32 s0, 0x4200
	v_min_i32_e32 v6, s3, v6
	v_add3_u32 v100, v7, v25, s0
	v_ashrrev_i32_e32 v7, 31, v6
	v_lshrrev_b32_e32 v7, 30, v7
	v_mul_lo_u32 v96, v6, s24
	v_add_u32_e32 v7, v6, v7
	v_lshlrev_b32_e32 v105, 5, v6
	v_add_u32_e32 v6, 64, v5
	v_and_b32_e32 v7, -4, v7
	v_min_i32_e32 v6, s3, v6
	v_add3_u32 v104, v7, v25, s0
	v_ashrrev_i32_e32 v7, 31, v6
	v_add_u32_e32 v5, 0x60, v5
	v_lshrrev_b32_e32 v7, 30, v7
	v_min_i32_e32 v5, s3, v5
	v_mul_lo_u32 v98, v6, s24
	v_add_u32_e32 v7, v6, v7
	v_lshlrev_b32_e32 v107, 5, v6
	v_ashrrev_i32_e32 v6, 31, v5
	v_lshrrev_b32_e32 v6, 30, v6
	v_mov_b32_e32 v23, 0
	v_add_u32_e32 v6, v5, v6
	v_and_b32_e32 v22, 12, v4
	v_mul_lo_u32 v102, v5, s24
	v_and_b32_e32 v6, -4, v6
	v_lshlrev_b32_e32 v109, 5, v5
	v_and_b32_e32 v4, 28, v4
	v_mov_b32_e32 v5, v23
	v_add3_u32 v108, v6, v25, s0
	v_and_b32_e32 v6, 31, v24
	s_waitcnt lgkmcnt(0)
	v_lshl_add_u64 v[58:59], s[14:15], 0, v[4:5]
	v_lshlrev_b32_e32 v4, 7, v2
	v_lshl_or_b32 v5, v6, 2, v4
	v_add_u32_e32 v29, 0x5280, v5
	v_or_b32_e32 v3, v3, v24
	v_mov_b32_e32 v5, 0x5680
	v_lshl_add_u32 v31, v3, 2, v5
	v_lshl_add_u32 v35, v2, 4, v5
	v_and_b32_e32 v2, 0xfc, v24
	v_lshlrev_b32_e32 v3, 5, v24
	v_add3_u32 v39, v3, v2, s0
	v_add_u32_e32 v2, 32, v24
	v_add_u32_e32 v33, 0x5280, v4
	v_and_b32_e32 v3, 0x1fc, v2
	v_lshlrev_b32_e32 v4, 5, v2
	v_add3_u32 v41, v4, v3, s0
	v_add_u32_e32 v3, 64, v24
	v_and_b32_e32 v4, 0x1fc, v3
	v_lshlrev_b32_e32 v3, 5, v3
	s_abs_i32 s3, s10
	v_add3_u32 v43, v3, v4, s0
	v_cvt_f32_u32_e32 v4, s3
	v_add_u32_e32 v3, 0x60, v24
	v_and_b32_e32 v5, 0x1fc, v3
	v_lshlrev_b32_e32 v3, 5, v3
	v_add3_u32 v45, v3, v5, s0
	v_rcp_iflag_f32_e32 v3, v4
	v_and_b32_e32 v7, -4, v7
	v_add3_u32 v106, v7, v25, s0
	s_sub_i32 s0, 0, s3
	v_mul_f32_e32 v3, 0x4f7ffffe, v3
	v_cvt_u32_f32_e32 v3, v3
	s_waitcnt vmcnt(0)
	v_sub_u32_e32 v4, 0, v1
	v_max_i32_e32 v4, v1, v4
	v_lshrrev_b32_e32 v47, 3, v2
	v_mul_lo_u32 v5, s0, v3
	v_mul_hi_u32 v5, v3, v5
	v_add_u32_e32 v3, v3, v5
	v_mul_hi_u32 v3, v4, v3
	v_mul_lo_u32 v5, v3, s3
	v_sub_u32_e32 v4, v4, v5
	v_add_u32_e32 v5, 1, v3
	v_cmp_le_u32_e64 s[0:1], s3, v4
	v_xor_b32_e32 v2, s10, v1
	v_ashrrev_i32_e32 v2, 31, v2
	v_cndmask_b32_e64 v3, v3, v5, s[0:1]
	v_subrev_u32_e32 v5, s3, v4
	v_cndmask_b32_e64 v4, v4, v5, s[0:1]
	v_add_u32_e32 v5, 1, v3
	v_cmp_le_u32_e64 s[0:1], s3, v4
	v_mov_b32_e32 v25, v23
	s_mul_i32 s2, s24, s11
	v_cndmask_b32_e64 v3, v3, v5, s[0:1]
	v_xor_b32_e32 v3, v3, v2
	v_sub_u32_e32 v2, v3, v2
	v_cmp_gt_i32_e64 s[0:1], s7, v2
	v_mul_lo_u32 v2, v2, s8
	v_ashrrev_i32_e32 v3, 31, v2
	v_lshl_add_u64 v[4:5], v[2:3], 0, v[24:25]
	v_mad_u64_u32 v[6:7], s[20:21], v4, 36, s[14:15]
	s_mul_hi_i32 s3, s2, 20
	s_mul_i32 s6, s2, 20
	v_lshrrev_b32_e32 v8, 2, v24
	v_mad_i32_i24 v7, v5, 36, v7
	s_mov_b64 s[20:21], 0x90
	v_add_u32_e32 v25, v24, v2
	v_add_u32_e32 v49, v47, v2
	;; [unrolled: 1-line block ×3, first 2 shown]
	v_mov_b32_e32 v2, s6
	v_mov_b32_e32 v3, s3
	v_lshl_add_u64 v[60:61], v[6:7], 0, s[20:21]
	v_mad_u64_u32 v[2:3], s[20:21], v8, 20, v[2:3]
	v_mad_i64_i32 v[4:5], s[20:21], v9, 20, v[2:3]
	v_lshl_add_u64 v[4:5], v[4:5], 0, v[22:23]
	v_lshl_add_u64 v[4:5], v[4:5], 0, s[12:13]
	v_lshl_add_u64 v[62:63], v[4:5], 0, 4
	v_mad_i64_i32 v[4:5], s[20:21], v10, 20, v[2:3]
	v_lshl_add_u64 v[4:5], v[4:5], 0, v[22:23]
	v_lshl_add_u64 v[4:5], v[4:5], 0, s[12:13]
	v_lshl_add_u64 v[64:65], v[4:5], 0, 4
	;; [unrolled: 4-line block ×14, first 2 shown]
	v_mad_i64_i32 v[4:5], s[20:21], v53, 20, v[2:3]
	v_mad_i64_i32 v[2:3], s[20:21], v55, 20, v[2:3]
	v_lshl_add_u64 v[2:3], v[2:3], 0, v[22:23]
	v_lshl_add_u64 v[2:3], v[2:3], 0, s[12:13]
	;; [unrolled: 1-line block ×3, first 2 shown]
	v_mad_i64_i32 v[2:3], s[20:21], v94, 20, 0
	v_mad_i64_i32 v[2:3], s[20:21], s2, 20, v[2:3]
	v_mad_u64_u32 v[2:3], s[20:21], v57, 20, v[2:3]
	v_lshl_add_u64 v[94:95], s[12:13], 0, v[2:3]
	v_mad_i64_i32 v[2:3], s[20:21], v96, 20, 0
	v_mad_i64_i32 v[2:3], s[20:21], s2, 20, v[2:3]
	v_mad_u64_u32 v[2:3], s[20:21], v57, 20, v[2:3]
	v_lshl_add_u64 v[96:97], s[12:13], 0, v[2:3]
	;; [unrolled: 4-line block ×3, first 2 shown]
	v_mad_i64_i32 v[2:3], s[20:21], v102, 20, 0
	v_lshl_add_u64 v[4:5], v[4:5], 0, v[22:23]
	v_mad_i64_i32 v[2:3], s[2:3], s2, 20, v[2:3]
	v_mul_u32_u24_e32 v37, 0x84, v24
	v_lshl_add_u64 v[4:5], v[4:5], 0, s[12:13]
	v_mad_u64_u32 v[2:3], s[2:3], v57, 20, v[2:3]
	s_ashr_i32 s19, s18, 31
	s_mov_b32 s4, 0
	v_cmp_gt_u32_e32 vcc, 4, v24
	v_lshl_add_u64 v[90:91], v[4:5], 0, 4
	v_lshl_add_u64 v[102:103], s[12:13], 0, v[2:3]
	s_movk_i32 s6, 0x80
	v_add_u32_e32 v53, v100, v101
	v_add_u32_e32 v55, v104, v105
	;; [unrolled: 1-line block ×28, first 2 shown]
	s_mov_b64 s[12:13], 0x120
	s_mov_b64 s[20:21], 0xa0
	v_mov_b32_e32 v22, v23
	v_mov_b32_e32 v100, v23
	;; [unrolled: 1-line block ×3, first 2 shown]
	s_branch .LBB220_6
.LBB220_4:                              ;   in Loop: Header=BB220_6 Depth=1
	s_or_b64 exec, exec, s[22:23]
	s_waitcnt lgkmcnt(0)
	s_barrier
	ds_read_b128 v[2:5], v35
	ds_read2_b32 v[104:105], v37 offset0:16 offset1:17
	ds_read_b128 v[14:17], v33
	ds_read_b128 v[18:21], v33 offset:16
	ds_read_b128 v[6:9], v33 offset:32
	;; [unrolled: 1-line block ×3, first 2 shown]
	ds_read2_b32 v[106:107], v39 offset0:4 offset1:5
	s_waitcnt lgkmcnt(5)
	v_and_b32_e32 v108, 0xf0f0f0f, v104
	v_lshrrev_b32_e32 v104, 4, v104
	v_mov_b32_e32 v124, 0
	v_and_b32_e32 v104, 0xf0f0f0f, v104
	s_waitcnt lgkmcnt(4)
	v_dot4c_i32_i8_e32 v124, v108, v14
	s_waitcnt lgkmcnt(3)
	v_dot4c_i32_i8_e32 v124, v104, v18
	v_and_b32_e32 v104, 0xf0f0f0f, v105
	v_lshrrev_b32_e32 v105, 4, v105
	v_and_b32_e32 v108, 0xf0f0f0f, v105
	v_dot4c_i32_i8_e32 v124, v104, v15
	ds_read2_b32 v[104:105], v37 offset0:18 offset1:19
	v_dot4c_i32_i8_e32 v124, v108, v19
	ds_read2_b32 v[114:115], v37 offset0:20 offset1:21
	ds_read2_b32 v[116:117], v37 offset0:22 offset1:23
	;; [unrolled: 1-line block ×3, first 2 shown]
	s_waitcnt lgkmcnt(4)
	v_pk_mul_f16 v125, v2, v106
	v_mov_b32_e32 v155, 0
	s_waitcnt lgkmcnt(3)
	v_and_b32_e32 v108, 0xf0f0f0f, v104
	v_lshrrev_b32_e32 v104, 4, v104
	v_and_b32_e32 v104, 0xf0f0f0f, v104
	v_dot4c_i32_i8_e32 v124, v108, v16
	v_dot4c_i32_i8_e32 v124, v104, v20
	v_and_b32_e32 v104, 0xf0f0f0f, v105
	v_dot4c_i32_i8_e32 v124, v104, v17
	v_add_u32_e32 v104, 0x10c0, v37
	ds_read2_b32 v[110:111], v104 offset1:1
	ds_read2_b32 v[122:123], v37 offset0:26 offset1:27
	ds_read2_b32 v[108:109], v37 offset0:28 offset1:29
	;; [unrolled: 1-line block ×3, first 2 shown]
	v_lshrrev_b32_e32 v105, 4, v105
	s_waitcnt lgkmcnt(3)
	v_and_b32_e32 v106, 0xf0f0f0f, v110
	v_lshrrev_b32_e32 v110, 4, v110
	v_and_b32_e32 v110, 0xf0f0f0f, v110
	v_dot4c_i32_i8_e32 v155, v106, v14
	v_dot4c_i32_i8_e32 v155, v110, v18
	v_and_b32_e32 v106, 0xf0f0f0f, v111
	v_lshrrev_b32_e32 v110, 4, v111
	v_and_b32_e32 v105, 0xf0f0f0f, v105
	v_and_b32_e32 v110, 0xf0f0f0f, v110
	v_dot4c_i32_i8_e32 v155, v106, v15
	v_add_u32_e32 v106, 0x10c8, v37
	v_dot4c_i32_i8_e32 v124, v105, v21
	ds_read2_b32 v[126:127], v41 offset0:4 offset1:5
	ds_read2_b32 v[104:105], v45 offset0:6 offset1:7
	v_dot4c_i32_i8_e32 v155, v110, v19
	ds_read2_b32 v[110:111], v106 offset1:1
	v_add_u32_e32 v118, 0x2140, v37
	v_add_u32_e32 v106, 0x31c0, v37
	;; [unrolled: 1-line block ×3, first 2 shown]
	ds_read2_b32 v[128:129], v118 offset1:1
	ds_read2_b32 v[156:157], v119 offset1:1
	;; [unrolled: 1-line block ×3, first 2 shown]
	s_waitcnt lgkmcnt(3)
	v_and_b32_e32 v106, 0xf0f0f0f, v110
	v_lshrrev_b32_e32 v110, 4, v110
	v_and_b32_e32 v110, 0xf0f0f0f, v110
	v_dot4c_i32_i8_e32 v155, v106, v16
	v_dot4c_i32_i8_e32 v155, v110, v20
	v_and_b32_e32 v106, 0xf0f0f0f, v111
	v_dot4c_i32_i8_e32 v155, v106, v17
	s_waitcnt lgkmcnt(2)
	v_lshrrev_b32_e32 v106, 4, v128
	v_and_b32_e32 v162, 0xf0f0f0f, v128
	v_and_b32_e32 v128, 0xf0f0f0f, v106
	v_mov_b32_e32 v106, 0
	v_dot4c_i32_i8_e32 v106, v162, v14
	v_dot4c_i32_i8_e32 v106, v128, v18
	v_and_b32_e32 v128, 0xf0f0f0f, v129
	v_lshrrev_b32_e32 v129, 4, v129
	v_and_b32_e32 v129, 0xf0f0f0f, v129
	v_dot4c_i32_i8_e32 v106, v128, v15
	v_dot4c_i32_i8_e32 v106, v129, v19
	s_waitcnt lgkmcnt(1)
	v_and_b32_e32 v128, 0xf0f0f0f, v156
	v_lshrrev_b32_e32 v129, 4, v156
	v_and_b32_e32 v129, 0xf0f0f0f, v129
	v_dot4c_i32_i8_e32 v106, v128, v16
	v_dot4c_i32_i8_e32 v106, v129, v20
	v_and_b32_e32 v128, 0xf0f0f0f, v157
	v_lshrrev_b32_e32 v129, 4, v157
	v_and_b32_e32 v129, 0xf0f0f0f, v129
	v_dot4c_i32_i8_e32 v106, v128, v17
	v_dot4c_i32_i8_e32 v106, v129, v21
	s_waitcnt lgkmcnt(0)
	v_and_b32_e32 v128, 0xf0f0f0f, v158
	v_lshrrev_b32_e32 v129, 4, v158
	v_mov_b32_e32 v162, 0
	v_and_b32_e32 v129, 0xf0f0f0f, v129
	v_dot4c_i32_i8_e32 v162, v128, v14
	v_lshrrev_b32_e32 v110, 4, v111
	v_dot4c_i32_i8_e32 v162, v129, v18
	v_and_b32_e32 v14, 0xf0f0f0f, v159
	v_and_b32_e32 v110, 0xf0f0f0f, v110
	v_dot4c_i32_i8_e32 v162, v14, v15
	v_add_u32_e32 v14, 0x31c8, v37
	v_dot4c_i32_i8_e32 v155, v110, v21
	ds_read2_b32 v[160:161], v43 offset0:4 offset1:5
	ds_read2_b32 v[110:111], v41 offset0:6 offset1:7
	;; [unrolled: 1-line block ×3, first 2 shown]
	ds_read2_b32 v[14:15], v14 offset1:1
	v_lshrrev_b32_e32 v18, 4, v159
	v_and_b32_e32 v18, 0xf0f0f0f, v18
	v_dot4c_i32_i8_e32 v162, v18, v19
	v_add_u32_e32 v18, 0x10d0, v37
	v_add_u32_e32 v128, 0x10d8, v37
	;; [unrolled: 1-line block ×3, first 2 shown]
	s_waitcnt lgkmcnt(0)
	v_and_b32_e32 v158, 0xf0f0f0f, v14
	ds_read2_b32 v[18:19], v18 offset1:1
	ds_read2_b32 v[128:129], v128 offset1:1
	;; [unrolled: 1-line block ×3, first 2 shown]
	v_dot4c_i32_i8_e32 v162, v158, v16
	ds_read2_b32 v[158:159], v45 offset0:4 offset1:5
	v_lshrrev_b32_e32 v14, 4, v14
	v_and_b32_e32 v14, 0xf0f0f0f, v14
	v_dot4c_i32_i8_e32 v162, v14, v20
	v_and_b32_e32 v14, 0xf0f0f0f, v15
	v_lshrrev_b32_e32 v15, 4, v15
	v_and_b32_e32 v15, 0xf0f0f0f, v15
	v_dot4c_i32_i8_e32 v162, v14, v17
	v_pk_mul_f16 v126, v2, v126
	v_pk_mul_f16 v160, v2, v160
	v_dot4c_i32_i8_e32 v162, v15, v21
	ds_read2_b32 v[14:15], v43 offset0:6 offset1:7
	s_waitcnt lgkmcnt(1)
	v_pk_mul_f16 v158, v2, v158
	v_and_b32_e32 v2, 0xf0f0f0f, v114
	v_lshrrev_b32_e32 v16, 4, v114
	v_mov_b32_e32 v163, 0
	v_and_b32_e32 v16, 0xf0f0f0f, v16
	v_dot4c_i32_i8_e32 v163, v2, v6
	v_dot4c_i32_i8_e32 v163, v16, v10
	v_and_b32_e32 v2, 0xf0f0f0f, v115
	v_lshrrev_b32_e32 v16, 4, v115
	v_and_b32_e32 v16, 0xf0f0f0f, v16
	v_dot4c_i32_i8_e32 v163, v2, v7
	v_dot4c_i32_i8_e32 v163, v16, v11
	v_and_b32_e32 v2, 0xf0f0f0f, v116
	v_lshrrev_b32_e32 v16, 4, v116
	;; [unrolled: 5-line block ×4, first 2 shown]
	v_mov_b32_e32 v116, 0
	v_and_b32_e32 v16, 0xf0f0f0f, v16
	v_dot4c_i32_i8_e32 v116, v2, v6
	v_dot4c_i32_i8_e32 v116, v16, v10
	v_and_b32_e32 v2, 0xf0f0f0f, v19
	v_lshrrev_b32_e32 v16, 4, v19
	v_and_b32_e32 v16, 0xf0f0f0f, v16
	v_dot4c_i32_i8_e32 v116, v2, v7
	v_dot4c_i32_i8_e32 v116, v16, v11
	v_and_b32_e32 v2, 0xf0f0f0f, v128
	v_lshrrev_b32_e32 v16, 4, v128
	;; [unrolled: 5-line block ×3, first 2 shown]
	v_and_b32_e32 v16, 0xf0f0f0f, v16
	v_dot4c_i32_i8_e32 v116, v2, v9
	v_dot4c_i32_i8_e32 v116, v16, v13
	v_pk_mul_f16 v117, v3, v127
	v_and_b32_e32 v2, 0xf0f0f0f, v156
	v_lshrrev_b32_e32 v16, 4, v156
	v_mov_b32_e32 v127, 0
	v_and_b32_e32 v16, 0xf0f0f0f, v16
	v_dot4c_i32_i8_e32 v127, v2, v6
	v_dot4c_i32_i8_e32 v127, v16, v10
	v_and_b32_e32 v2, 0xf0f0f0f, v157
	v_lshrrev_b32_e32 v16, 4, v157
	v_and_b32_e32 v16, 0xf0f0f0f, v16
	v_dot4c_i32_i8_e32 v127, v2, v7
	v_add_u32_e32 v2, 0x2158, v37
	v_dot4c_i32_i8_e32 v127, v16, v11
	ds_read2_b32 v[16:17], v2 offset1:1
	v_add_u32_e32 v18, 0x31d0, v37
	v_add_u32_e32 v20, 0x31d8, v37
	;; [unrolled: 1-line block ×3, first 2 shown]
	ds_read2_b32 v[18:19], v18 offset1:1
	ds_read2_b32 v[20:21], v20 offset1:1
	;; [unrolled: 1-line block ×3, first 2 shown]
	s_waitcnt lgkmcnt(3)
	v_and_b32_e32 v2, 0xf0f0f0f, v16
	v_lshrrev_b32_e32 v16, 4, v16
	v_and_b32_e32 v16, 0xf0f0f0f, v16
	v_dot4c_i32_i8_e32 v127, v2, v8
	v_dot4c_i32_i8_e32 v127, v16, v12
	v_and_b32_e32 v2, 0xf0f0f0f, v17
	v_lshrrev_b32_e32 v16, 4, v17
	v_and_b32_e32 v16, 0xf0f0f0f, v16
	v_dot4c_i32_i8_e32 v127, v2, v9
	v_dot4c_i32_i8_e32 v127, v16, v13
	s_waitcnt lgkmcnt(2)
	v_and_b32_e32 v2, 0xf0f0f0f, v18
	v_lshrrev_b32_e32 v16, 4, v18
	v_mov_b32_e32 v129, 0
	v_and_b32_e32 v16, 0xf0f0f0f, v16
	v_dot4c_i32_i8_e32 v129, v2, v6
	v_dot4c_i32_i8_e32 v129, v16, v10
	v_and_b32_e32 v2, 0xf0f0f0f, v19
	v_lshrrev_b32_e32 v6, 4, v19
	v_and_b32_e32 v6, 0xf0f0f0f, v6
	v_dot4c_i32_i8_e32 v129, v2, v7
	v_dot4c_i32_i8_e32 v129, v6, v11
	s_waitcnt lgkmcnt(1)
	v_and_b32_e32 v2, 0xf0f0f0f, v20
	v_lshrrev_b32_e32 v6, 4, v20
	v_and_b32_e32 v6, 0xf0f0f0f, v6
	v_dot4c_i32_i8_e32 v129, v2, v8
	v_dot4c_i32_i8_e32 v129, v6, v12
	v_and_b32_e32 v2, 0xf0f0f0f, v21
	v_lshrrev_b32_e32 v6, 4, v21
	v_and_b32_e32 v6, 0xf0f0f0f, v6
	v_dot4c_i32_i8_e32 v129, v2, v9
	v_dot4c_i32_i8_e32 v129, v6, v13
	ds_read_b128 v[6:9], v33 offset:64
	ds_read_b128 v[10:13], v33 offset:80
	v_pk_mul_f16 v107, v3, v107
	v_pk_mul_f16 v128, v3, v161
	;; [unrolled: 1-line block ×3, first 2 shown]
	v_and_b32_e32 v2, 0xf0f0f0f, v120
	v_lshrrev_b32_e32 v3, 4, v120
	v_mov_b32_e32 v120, 0
	v_and_b32_e32 v3, 0xf0f0f0f, v3
	s_waitcnt lgkmcnt(1)
	v_dot4c_i32_i8_e32 v120, v2, v6
	s_waitcnt lgkmcnt(0)
	v_dot4c_i32_i8_e32 v120, v3, v10
	v_and_b32_e32 v2, 0xf0f0f0f, v121
	v_lshrrev_b32_e32 v3, 4, v121
	v_and_b32_e32 v3, 0xf0f0f0f, v3
	v_dot4c_i32_i8_e32 v120, v2, v7
	v_dot4c_i32_i8_e32 v120, v3, v11
	v_and_b32_e32 v2, 0xf0f0f0f, v122
	v_lshrrev_b32_e32 v3, 4, v122
	v_and_b32_e32 v3, 0xf0f0f0f, v3
	v_dot4c_i32_i8_e32 v120, v2, v8
	;; [unrolled: 5-line block ×3, first 2 shown]
	v_dot4c_i32_i8_e32 v120, v3, v13
	v_and_b32_e32 v2, 0xf0f0f0f, v114
	v_lshrrev_b32_e32 v3, 4, v114
	v_mov_b32_e32 v121, 0
	v_and_b32_e32 v3, 0xf0f0f0f, v3
	v_dot4c_i32_i8_e32 v121, v2, v6
	v_dot4c_i32_i8_e32 v121, v3, v10
	v_and_b32_e32 v2, 0xf0f0f0f, v115
	v_lshrrev_b32_e32 v3, 4, v115
	v_and_b32_e32 v3, 0xf0f0f0f, v3
	v_dot4c_i32_i8_e32 v121, v2, v7
	v_add_u32_e32 v2, 0x10e8, v37
	v_dot4c_i32_i8_e32 v121, v3, v11
	ds_read2_b32 v[2:3], v2 offset1:1
	v_add_u32_e32 v16, 0x2160, v37
	v_add_u32_e32 v18, 0x2168, v37
	;; [unrolled: 1-line block ×3, first 2 shown]
	ds_read2_b32 v[16:17], v16 offset1:1
	ds_read2_b32 v[18:19], v18 offset1:1
	;; [unrolled: 1-line block ×3, first 2 shown]
	s_waitcnt lgkmcnt(3)
	v_and_b32_e32 v114, 0xf0f0f0f, v2
	v_lshrrev_b32_e32 v2, 4, v2
	v_and_b32_e32 v2, 0xf0f0f0f, v2
	v_dot4c_i32_i8_e32 v121, v114, v8
	v_dot4c_i32_i8_e32 v121, v2, v12
	v_and_b32_e32 v2, 0xf0f0f0f, v3
	v_lshrrev_b32_e32 v3, 4, v3
	v_and_b32_e32 v3, 0xf0f0f0f, v3
	v_dot4c_i32_i8_e32 v121, v2, v9
	v_dot4c_i32_i8_e32 v121, v3, v13
	s_waitcnt lgkmcnt(2)
	v_and_b32_e32 v2, 0xf0f0f0f, v16
	v_lshrrev_b32_e32 v3, 4, v16
	v_mov_b32_e32 v122, 0
	v_and_b32_e32 v3, 0xf0f0f0f, v3
	v_dot4c_i32_i8_e32 v122, v2, v6
	v_dot4c_i32_i8_e32 v122, v3, v10
	v_and_b32_e32 v2, 0xf0f0f0f, v17
	v_lshrrev_b32_e32 v3, 4, v17
	v_and_b32_e32 v3, 0xf0f0f0f, v3
	v_dot4c_i32_i8_e32 v122, v2, v7
	v_dot4c_i32_i8_e32 v122, v3, v11
	s_waitcnt lgkmcnt(1)
	v_and_b32_e32 v2, 0xf0f0f0f, v18
	v_lshrrev_b32_e32 v3, 4, v18
	v_and_b32_e32 v3, 0xf0f0f0f, v3
	v_dot4c_i32_i8_e32 v122, v2, v8
	v_dot4c_i32_i8_e32 v122, v3, v12
	v_and_b32_e32 v2, 0xf0f0f0f, v19
	v_lshrrev_b32_e32 v3, 4, v19
	v_and_b32_e32 v3, 0xf0f0f0f, v3
	v_dot4c_i32_i8_e32 v122, v2, v9
	v_dot4c_i32_i8_e32 v122, v3, v13
	s_waitcnt lgkmcnt(0)
	v_and_b32_e32 v2, 0xf0f0f0f, v20
	v_lshrrev_b32_e32 v3, 4, v20
	v_mov_b32_e32 v157, 0
	v_and_b32_e32 v3, 0xf0f0f0f, v3
	v_dot4c_i32_i8_e32 v157, v2, v6
	v_dot4c_i32_i8_e32 v157, v3, v10
	v_and_b32_e32 v2, 0xf0f0f0f, v21
	v_lshrrev_b32_e32 v3, 4, v21
	v_and_b32_e32 v3, 0xf0f0f0f, v3
	v_dot4c_i32_i8_e32 v157, v2, v7
	v_add_u32_e32 v2, 0x31e8, v37
	v_dot4c_i32_i8_e32 v157, v3, v11
	ds_read2_b32 v[2:3], v2 offset1:1
	v_add_u32_e32 v6, 0x10f0, v37
	v_add_u32_e32 v7, 0x10f8, v37
	;; [unrolled: 1-line block ×3, first 2 shown]
	ds_read2_b32 v[16:17], v6 offset1:1
	ds_read2_b32 v[18:19], v7 offset1:1
	;; [unrolled: 1-line block ×3, first 2 shown]
	s_waitcnt lgkmcnt(3)
	v_and_b32_e32 v6, 0xf0f0f0f, v2
	v_lshrrev_b32_e32 v2, 4, v2
	v_and_b32_e32 v2, 0xf0f0f0f, v2
	v_dot4c_i32_i8_e32 v157, v6, v8
	v_dot4c_i32_i8_e32 v157, v2, v12
	v_and_b32_e32 v2, 0xf0f0f0f, v3
	v_lshrrev_b32_e32 v3, 4, v3
	v_and_b32_e32 v3, 0xf0f0f0f, v3
	v_dot4c_i32_i8_e32 v157, v2, v9
	v_dot4c_i32_i8_e32 v157, v3, v13
	ds_read_b128 v[6:9], v33 offset:96
	ds_read_b128 v[10:13], v33 offset:112
	v_pk_mul_f16 v118, v4, v118
	v_pk_mul_f16 v110, v4, v110
	;; [unrolled: 1-line block ×4, first 2 shown]
	v_and_b32_e32 v2, 0xf0f0f0f, v108
	v_lshrrev_b32_e32 v3, 4, v108
	v_mov_b32_e32 v4, 0
	v_and_b32_e32 v3, 0xf0f0f0f, v3
	s_waitcnt lgkmcnt(1)
	v_dot4c_i32_i8_e32 v4, v2, v6
	s_waitcnt lgkmcnt(0)
	v_dot4c_i32_i8_e32 v4, v3, v10
	v_and_b32_e32 v2, 0xf0f0f0f, v109
	v_lshrrev_b32_e32 v3, 4, v109
	v_and_b32_e32 v3, 0xf0f0f0f, v3
	v_dot4c_i32_i8_e32 v4, v2, v7
	v_dot4c_i32_i8_e32 v4, v3, v11
	v_and_b32_e32 v2, 0xf0f0f0f, v112
	v_lshrrev_b32_e32 v3, 4, v112
	v_and_b32_e32 v3, 0xf0f0f0f, v3
	v_dot4c_i32_i8_e32 v4, v2, v8
	v_dot4c_i32_i8_e32 v4, v3, v12
	v_and_b32_e32 v2, 0xf0f0f0f, v113
	v_lshrrev_b32_e32 v3, 4, v113
	v_and_b32_e32 v3, 0xf0f0f0f, v3
	v_dot4c_i32_i8_e32 v4, v2, v9
	v_dot4c_i32_i8_e32 v4, v3, v13
	v_pk_mul_f16 v14, v5, v119
	v_and_b32_e32 v2, 0xf0f0f0f, v16
	v_lshrrev_b32_e32 v3, 4, v16
	v_mov_b32_e32 v119, 0
	v_and_b32_e32 v3, 0xf0f0f0f, v3
	v_dot4c_i32_i8_e32 v119, v2, v6
	v_dot4c_i32_i8_e32 v119, v3, v10
	v_and_b32_e32 v2, 0xf0f0f0f, v17
	v_lshrrev_b32_e32 v3, 4, v17
	v_and_b32_e32 v3, 0xf0f0f0f, v3
	v_dot4c_i32_i8_e32 v119, v2, v7
	v_dot4c_i32_i8_e32 v119, v3, v11
	v_and_b32_e32 v2, 0xf0f0f0f, v18
	v_lshrrev_b32_e32 v3, 4, v18
	;; [unrolled: 5-line block ×3, first 2 shown]
	v_and_b32_e32 v3, 0xf0f0f0f, v3
	v_dot4c_i32_i8_e32 v119, v2, v9
	v_dot4c_i32_i8_e32 v119, v3, v13
	v_cvt_f32_f16_e32 v3, v126
	v_cvt_f32_f16_e32 v2, v125
	v_cvt_f32_f16_sdwa v17, v126 dst_sel:DWORD dst_unused:UNUSED_PAD src0_sel:WORD_1
	v_cvt_f32_f16_sdwa v16, v125 dst_sel:DWORD dst_unused:UNUSED_PAD src0_sel:WORD_1
	v_cvt_f32_i32_e32 v19, v155
	v_cvt_f32_i32_e32 v18, v124
	v_cvt_f32_f16_e32 v109, v117
	v_cvt_f32_f16_e32 v108, v107
	v_cvt_f32_f16_sdwa v113, v117 dst_sel:DWORD dst_unused:UNUSED_PAD src0_sel:WORD_1
	v_cvt_f32_f16_sdwa v112, v107 dst_sel:DWORD dst_unused:UNUSED_PAD src0_sel:WORD_1
	v_cvt_f32_i32_e32 v115, v116
	v_cvt_f32_i32_e32 v114, v163
	v_pk_fma_f32 v[2:3], v[2:3], v[18:19], v[16:17]
	v_pk_mul_f16 v107, v5, v111
	v_pk_add_f32 v[2:3], v[22:23], v[2:3]
	v_pk_fma_f32 v[16:17], v[108:109], v[114:115], v[112:113]
	v_cvt_f32_f16_e32 v19, v110
	v_cvt_f32_f16_e32 v18, v118
	v_cvt_f32_f16_sdwa v23, v110 dst_sel:DWORD dst_unused:UNUSED_PAD src0_sel:WORD_1
	v_cvt_f32_f16_sdwa v22, v118 dst_sel:DWORD dst_unused:UNUSED_PAD src0_sel:WORD_1
	v_cvt_f32_i32_e32 v109, v121
	v_cvt_f32_i32_e32 v108, v120
	v_cvt_f32_f16_e32 v111, v107
	v_cvt_f32_f16_e32 v110, v14
	v_cvt_f32_f16_sdwa v113, v107 dst_sel:DWORD dst_unused:UNUSED_PAD src0_sel:WORD_1
	v_cvt_f32_f16_sdwa v112, v14 dst_sel:DWORD dst_unused:UNUSED_PAD src0_sel:WORD_1
	v_cvt_f32_i32_e32 v115, v119
	v_cvt_f32_i32_e32 v114, v4
	v_pk_add_f32 v[2:3], v[2:3], v[16:17]
	v_pk_fma_f32 v[16:17], v[18:19], v[108:109], v[22:23]
	v_add_u32_e32 v4, 0x31f0, v37
	v_pk_add_f32 v[2:3], v[2:3], v[16:17]
	v_pk_fma_f32 v[16:17], v[110:111], v[114:115], v[112:113]
	v_add_u32_e32 v14, 0x31f8, v37
	v_pk_add_f32 v[22:23], v[2:3], v[16:17]
	v_and_b32_e32 v2, 0xf0f0f0f, v20
	v_lshrrev_b32_e32 v3, 4, v20
	v_mov_b32_e32 v20, 0
	v_and_b32_e32 v3, 0xf0f0f0f, v3
	v_dot4c_i32_i8_e32 v20, v2, v6
	v_dot4c_i32_i8_e32 v20, v3, v10
	v_and_b32_e32 v2, 0xf0f0f0f, v21
	v_lshrrev_b32_e32 v3, 4, v21
	v_and_b32_e32 v3, 0xf0f0f0f, v3
	v_dot4c_i32_i8_e32 v20, v2, v7
	v_add_u32_e32 v2, 0x2178, v37
	v_dot4c_i32_i8_e32 v20, v3, v11
	ds_read2_b32 v[2:3], v2 offset1:1
	ds_read2_b32 v[16:17], v4 offset1:1
	;; [unrolled: 1-line block ×3, first 2 shown]
	v_pk_mul_f16 v21, v5, v15
	v_cvt_f32_i32_e32 v15, v129
	v_cvt_f32_i32_e32 v14, v127
	s_waitcnt lgkmcnt(2)
	v_and_b32_e32 v4, 0xf0f0f0f, v2
	v_lshrrev_b32_e32 v2, 4, v2
	v_and_b32_e32 v2, 0xf0f0f0f, v2
	v_dot4c_i32_i8_e32 v20, v4, v8
	v_dot4c_i32_i8_e32 v20, v2, v12
	v_and_b32_e32 v2, 0xf0f0f0f, v3
	v_lshrrev_b32_e32 v3, 4, v3
	v_and_b32_e32 v3, 0xf0f0f0f, v3
	v_dot4c_i32_i8_e32 v20, v2, v9
	v_dot4c_i32_i8_e32 v20, v3, v13
	s_waitcnt lgkmcnt(1)
	v_and_b32_e32 v2, 0xf0f0f0f, v16
	v_lshrrev_b32_e32 v3, 4, v16
	v_mov_b32_e32 v16, 0
	v_and_b32_e32 v3, 0xf0f0f0f, v3
	v_dot4c_i32_i8_e32 v16, v2, v6
	v_dot4c_i32_i8_e32 v16, v3, v10
	v_and_b32_e32 v2, 0xf0f0f0f, v17
	v_lshrrev_b32_e32 v3, 4, v17
	v_and_b32_e32 v3, 0xf0f0f0f, v3
	v_dot4c_i32_i8_e32 v16, v2, v7
	v_dot4c_i32_i8_e32 v16, v3, v11
	s_waitcnt lgkmcnt(0)
	v_and_b32_e32 v2, 0xf0f0f0f, v18
	v_lshrrev_b32_e32 v3, 4, v18
	v_and_b32_e32 v3, 0xf0f0f0f, v3
	v_dot4c_i32_i8_e32 v16, v2, v8
	v_dot4c_i32_i8_e32 v16, v3, v12
	v_and_b32_e32 v2, 0xf0f0f0f, v19
	v_lshrrev_b32_e32 v3, 4, v19
	v_and_b32_e32 v3, 0xf0f0f0f, v3
	v_dot4c_i32_i8_e32 v16, v2, v9
	v_dot4c_i32_i8_e32 v16, v3, v13
	v_cvt_f32_f16_e32 v3, v158
	v_cvt_f32_f16_e32 v2, v160
	v_cvt_f32_f16_sdwa v7, v158 dst_sel:DWORD dst_unused:UNUSED_PAD src0_sel:WORD_1
	v_cvt_f32_f16_sdwa v6, v160 dst_sel:DWORD dst_unused:UNUSED_PAD src0_sel:WORD_1
	v_cvt_f32_i32_e32 v9, v162
	v_cvt_f32_i32_e32 v8, v106
	v_cvt_f32_f16_e32 v11, v156
	v_cvt_f32_f16_e32 v10, v128
	v_cvt_f32_f16_sdwa v13, v156 dst_sel:DWORD dst_unused:UNUSED_PAD src0_sel:WORD_1
	v_cvt_f32_f16_sdwa v12, v128 dst_sel:DWORD dst_unused:UNUSED_PAD src0_sel:WORD_1
	v_pk_mul_f16 v17, v5, v105
	v_pk_fma_f32 v[2:3], v[2:3], v[8:9], v[6:7]
	v_cvt_f32_f16_e32 v7, v104
	v_pk_fma_f32 v[4:5], v[10:11], v[14:15], v[12:13]
	v_cvt_f32_f16_e32 v6, v123
	v_cvt_f32_f16_sdwa v9, v104 dst_sel:DWORD dst_unused:UNUSED_PAD src0_sel:WORD_1
	v_cvt_f32_f16_sdwa v8, v123 dst_sel:DWORD dst_unused:UNUSED_PAD src0_sel:WORD_1
	v_cvt_f32_i32_e32 v11, v157
	v_cvt_f32_i32_e32 v10, v122
	v_cvt_f32_f16_e32 v13, v17
	v_cvt_f32_f16_e32 v12, v21
	v_cvt_f32_f16_sdwa v15, v17 dst_sel:DWORD dst_unused:UNUSED_PAD src0_sel:WORD_1
	v_cvt_f32_f16_sdwa v14, v21 dst_sel:DWORD dst_unused:UNUSED_PAD src0_sel:WORD_1
	v_cvt_f32_i32_e32 v17, v16
	v_cvt_f32_i32_e32 v16, v20
	v_pk_add_f32 v[2:3], v[100:101], v[2:3]
	s_nop 0
	v_pk_add_f32 v[2:3], v[2:3], v[4:5]
	v_pk_fma_f32 v[4:5], v[6:7], v[10:11], v[8:9]
	s_barrier
	v_pk_add_f32 v[2:3], v[2:3], v[4:5]
	v_pk_fma_f32 v[4:5], v[12:13], v[16:17], v[14:15]
	s_nop 0
	v_pk_add_f32 v[100:101], v[2:3], v[4:5]
.LBB220_5:                              ;   in Loop: Header=BB220_6 Depth=1
	s_add_i32 s4, s4, 8
	s_addk_i32 s6, 0x100
	v_lshl_add_u64 v[60:61], v[60:61], 0, s[12:13]
	v_lshl_add_u64 v[62:63], v[62:63], 0, s[20:21]
	v_lshl_add_u64 v[64:65], v[64:65], 0, s[20:21]
	v_lshl_add_u64 v[66:67], v[66:67], 0, s[20:21]
	v_lshl_add_u64 v[68:69], v[68:69], 0, s[20:21]
	v_lshl_add_u64 v[70:71], v[70:71], 0, s[20:21]
	v_lshl_add_u64 v[72:73], v[72:73], 0, s[20:21]
	v_lshl_add_u64 v[74:75], v[74:75], 0, s[20:21]
	v_lshl_add_u64 v[76:77], v[76:77], 0, s[20:21]
	v_lshl_add_u64 v[78:79], v[78:79], 0, s[20:21]
	v_lshl_add_u64 v[80:81], v[80:81], 0, s[20:21]
	v_lshl_add_u64 v[82:83], v[82:83], 0, s[20:21]
	v_lshl_add_u64 v[84:85], v[84:85], 0, s[20:21]
	v_lshl_add_u64 v[86:87], v[86:87], 0, s[20:21]
	v_lshl_add_u64 v[88:89], v[88:89], 0, s[20:21]
	v_lshl_add_u64 v[90:91], v[90:91], 0, s[20:21]
	v_lshl_add_u64 v[92:93], v[92:93], 0, s[20:21]
	v_lshl_add_u64 v[94:95], v[94:95], 0, s[20:21]
	v_lshl_add_u64 v[96:97], v[96:97], 0, s[20:21]
	v_lshl_add_u64 v[98:99], v[98:99], 0, s[20:21]
	s_cmp_ge_i32 s4, s24
	v_lshl_add_u64 v[102:103], v[102:103], 0, s[20:21]
	s_cbranch_scc1 .LBB220_19
.LBB220_6:                              ; =>This Inner Loop Header: Depth=1
	v_lshl_add_u64 v[2:3], v[62:63], 0, s[18:19]
	global_load_dword v4, v[2:3], off
	v_lshl_add_u64 v[2:3], v[64:65], 0, s[18:19]
	global_load_dword v5, v[2:3], off
	;; [unrolled: 2-line block ×20, first 2 shown]
	s_add_i32 s2, s6, 0xffffff80
	s_cmp_lt_i32 s2, s5
	s_waitcnt vmcnt(19)
	ds_write_b32 v26, v4
	s_waitcnt vmcnt(18)
	ds_write_b32 v28, v5
	;; [unrolled: 2-line block ×20, first 2 shown]
	s_cbranch_scc0 .LBB220_5
; %bb.7:                                ;   in Loop: Header=BB220_6 Depth=1
	v_add_u32_e32 v2, s4, v27
	v_cmp_gt_i32_e64 s[2:3], s8, v2
	s_and_b64 s[22:23], s[0:1], s[2:3]
	s_and_saveexec_b64 s[2:3], s[22:23]
	s_cbranch_execz .LBB220_9
; %bb.8:                                ;   in Loop: Header=BB220_6 Depth=1
	v_add_u32_e32 v2, s4, v51
	v_mad_i64_i32 v[2:3], s[22:23], v2, 36, v[58:59]
	global_load_dword v2, v[2:3], off offset:4
	s_waitcnt vmcnt(0)
	ds_write_b32 v29, v2
.LBB220_9:                              ;   in Loop: Header=BB220_6 Depth=1
	s_or_b64 exec, exec, s[2:3]
	s_and_saveexec_b64 s[22:23], vcc
	s_cbranch_execz .LBB220_12
; %bb.10:                               ;   in Loop: Header=BB220_6 Depth=1
	v_add_u32_e32 v2, s4, v24
	v_cmp_gt_i32_e64 s[2:3], s8, v2
	s_and_b64 s[2:3], s[0:1], s[2:3]
	s_and_b64 exec, exec, s[2:3]
	s_cbranch_execz .LBB220_12
; %bb.11:                               ;   in Loop: Header=BB220_6 Depth=1
	v_add_u32_e32 v2, s4, v25
	v_mad_i64_i32 v[2:3], s[2:3], v2, 36, s[14:15]
	global_load_dword v2, v[2:3], off
	s_waitcnt vmcnt(0)
	ds_write_b32 v31, v2
.LBB220_12:                             ;   in Loop: Header=BB220_6 Depth=1
	s_or_b64 exec, exec, s[22:23]
	s_waitcnt lgkmcnt(0)
	s_barrier
	ds_read_b128 v[2:5], v35
	ds_read2_b32 v[104:105], v37 offset1:1
	ds_read_b128 v[14:17], v33
	ds_read_b128 v[18:21], v33 offset:16
	ds_read_b128 v[6:9], v33 offset:32
	;; [unrolled: 1-line block ×3, first 2 shown]
	ds_read2_b32 v[106:107], v39 offset1:1
	s_waitcnt lgkmcnt(5)
	v_and_b32_e32 v108, 0xf0f0f0f, v104
	v_lshrrev_b32_e32 v104, 4, v104
	v_mov_b32_e32 v118, 0
	v_and_b32_e32 v104, 0xf0f0f0f, v104
	s_waitcnt lgkmcnt(4)
	v_dot4c_i32_i8_e32 v118, v108, v14
	s_waitcnt lgkmcnt(3)
	v_dot4c_i32_i8_e32 v118, v104, v18
	v_and_b32_e32 v104, 0xf0f0f0f, v105
	v_lshrrev_b32_e32 v105, 4, v105
	v_and_b32_e32 v108, 0xf0f0f0f, v105
	v_dot4c_i32_i8_e32 v118, v104, v15
	ds_read2_b32 v[104:105], v37 offset0:2 offset1:3
	v_dot4c_i32_i8_e32 v118, v108, v19
	ds_read2_b32 v[120:121], v37 offset0:4 offset1:5
	ds_read2_b32 v[122:123], v37 offset0:6 offset1:7
	;; [unrolled: 1-line block ×3, first 2 shown]
	s_waitcnt lgkmcnt(4)
	v_pk_mul_f16 v155, v2, v106
	v_mov_b32_e32 v119, 0
	s_waitcnt lgkmcnt(3)
	v_and_b32_e32 v108, 0xf0f0f0f, v104
	v_dot4c_i32_i8_e32 v118, v108, v16
	ds_read2_b32 v[128:129], v37 offset0:10 offset1:11
	ds_read2_b32 v[112:113], v37 offset0:12 offset1:13
	;; [unrolled: 1-line block ×3, first 2 shown]
	ds_read2_b32 v[108:109], v131 offset1:1
	v_lshrrev_b32_e32 v104, 4, v104
	v_and_b32_e32 v104, 0xf0f0f0f, v104
	v_dot4c_i32_i8_e32 v118, v104, v20
	v_and_b32_e32 v104, 0xf0f0f0f, v105
	s_waitcnt lgkmcnt(0)
	v_and_b32_e32 v106, 0xf0f0f0f, v108
	v_lshrrev_b32_e32 v108, 4, v108
	v_lshrrev_b32_e32 v105, 4, v105
	v_and_b32_e32 v108, 0xf0f0f0f, v108
	v_dot4c_i32_i8_e32 v119, v106, v14
	v_and_b32_e32 v105, 0xf0f0f0f, v105
	v_dot4c_i32_i8_e32 v118, v104, v17
	v_dot4c_i32_i8_e32 v119, v108, v18
	v_lshrrev_b32_e32 v108, 4, v109
	v_dot4c_i32_i8_e32 v118, v105, v21
	ds_read2_b32 v[156:157], v41 offset1:1
	ds_read2_b32 v[104:105], v45 offset0:2 offset1:3
	v_and_b32_e32 v106, 0xf0f0f0f, v109
	v_and_b32_e32 v111, 0xf0f0f0f, v108
	ds_read2_b32 v[108:109], v132 offset1:1
	v_dot4c_i32_i8_e32 v119, v106, v15
	v_dot4c_i32_i8_e32 v119, v111, v19
	ds_read2_b32 v[158:159], v133 offset1:1
	ds_read2_b32 v[160:161], v134 offset1:1
	ds_read2_b32 v[162:163], v135 offset1:1
	v_mov_b32_e32 v166, 0
	s_waitcnt lgkmcnt(3)
	v_and_b32_e32 v106, 0xf0f0f0f, v108
	v_lshrrev_b32_e32 v108, 4, v108
	v_and_b32_e32 v108, 0xf0f0f0f, v108
	v_dot4c_i32_i8_e32 v119, v106, v16
	v_dot4c_i32_i8_e32 v119, v108, v20
	v_and_b32_e32 v106, 0xf0f0f0f, v109
	v_lshrrev_b32_e32 v108, 4, v109
	v_and_b32_e32 v108, 0xf0f0f0f, v108
	v_dot4c_i32_i8_e32 v119, v106, v17
	v_dot4c_i32_i8_e32 v119, v108, v21
	s_waitcnt lgkmcnt(2)
	v_and_b32_e32 v106, 0xf0f0f0f, v158
	v_lshrrev_b32_e32 v108, 4, v158
	v_and_b32_e32 v108, 0xf0f0f0f, v108
	v_dot4c_i32_i8_e32 v166, v106, v14
	v_dot4c_i32_i8_e32 v166, v108, v18
	v_and_b32_e32 v106, 0xf0f0f0f, v159
	v_lshrrev_b32_e32 v108, 4, v159
	v_and_b32_e32 v108, 0xf0f0f0f, v108
	v_dot4c_i32_i8_e32 v166, v106, v15
	v_dot4c_i32_i8_e32 v166, v108, v19
	s_waitcnt lgkmcnt(1)
	v_and_b32_e32 v106, 0xf0f0f0f, v160
	v_lshrrev_b32_e32 v108, 4, v160
	v_and_b32_e32 v108, 0xf0f0f0f, v108
	v_dot4c_i32_i8_e32 v166, v106, v16
	v_dot4c_i32_i8_e32 v166, v108, v20
	v_and_b32_e32 v106, 0xf0f0f0f, v161
	v_dot4c_i32_i8_e32 v166, v106, v17
	s_waitcnt lgkmcnt(0)
	v_and_b32_e32 v106, 0xf0f0f0f, v162
	v_lshrrev_b32_e32 v109, 4, v162
	v_mov_b32_e32 v167, 0
	v_and_b32_e32 v109, 0xf0f0f0f, v109
	v_dot4c_i32_i8_e32 v167, v106, v14
	v_dot4c_i32_i8_e32 v167, v109, v18
	v_and_b32_e32 v14, 0xf0f0f0f, v163
	ds_read2_b32 v[164:165], v43 offset1:1
	ds_read2_b32 v[114:115], v41 offset0:2 offset1:3
	ds_read2_b32 v[124:125], v39 offset0:2 offset1:3
	v_dot4c_i32_i8_e32 v167, v14, v15
	ds_read2_b32 v[14:15], v136 offset1:1
	v_lshrrev_b32_e32 v18, 4, v163
	v_and_b32_e32 v18, 0xf0f0f0f, v18
	v_lshrrev_b32_e32 v108, 4, v161
	v_dot4c_i32_i8_e32 v167, v18, v19
	ds_read2_b32 v[18:19], v137 offset1:1
	ds_read2_b32 v[158:159], v138 offset1:1
	;; [unrolled: 1-line block ×4, first 2 shown]
	s_waitcnt lgkmcnt(4)
	v_and_b32_e32 v106, 0xf0f0f0f, v14
	v_lshrrev_b32_e32 v14, 4, v14
	v_and_b32_e32 v108, 0xf0f0f0f, v108
	v_and_b32_e32 v14, 0xf0f0f0f, v14
	v_dot4c_i32_i8_e32 v167, v106, v16
	v_dot4c_i32_i8_e32 v166, v108, v21
	;; [unrolled: 1-line block ×3, first 2 shown]
	v_and_b32_e32 v14, 0xf0f0f0f, v15
	v_pk_mul_f16 v156, v2, v156
	v_pk_mul_f16 v164, v2, v164
	v_dot4c_i32_i8_e32 v167, v14, v17
	ds_read2_b32 v[16:17], v43 offset0:2 offset1:3
	s_waitcnt lgkmcnt(1)
	v_pk_mul_f16 v162, v2, v162
	v_cvt_f32_i32_e32 v14, v166
	v_and_b32_e32 v2, 0xf0f0f0f, v120
	v_lshrrev_b32_e32 v20, 4, v120
	v_mov_b32_e32 v166, 0
	v_and_b32_e32 v20, 0xf0f0f0f, v20
	v_dot4c_i32_i8_e32 v166, v2, v6
	v_dot4c_i32_i8_e32 v166, v20, v10
	v_and_b32_e32 v2, 0xf0f0f0f, v121
	v_lshrrev_b32_e32 v20, 4, v121
	v_and_b32_e32 v20, 0xf0f0f0f, v20
	v_dot4c_i32_i8_e32 v166, v2, v7
	v_dot4c_i32_i8_e32 v166, v20, v11
	v_and_b32_e32 v2, 0xf0f0f0f, v122
	v_lshrrev_b32_e32 v20, 4, v122
	;; [unrolled: 5-line block ×3, first 2 shown]
	v_dot4c_i32_i8_e32 v166, v2, v9
	v_and_b32_e32 v2, 0xf0f0f0f, v18
	v_lshrrev_b32_e32 v18, 4, v18
	v_mov_b32_e32 v123, 0
	v_and_b32_e32 v18, 0xf0f0f0f, v18
	v_dot4c_i32_i8_e32 v123, v2, v6
	v_dot4c_i32_i8_e32 v123, v18, v10
	v_and_b32_e32 v2, 0xf0f0f0f, v19
	v_lshrrev_b32_e32 v18, 4, v19
	v_and_b32_e32 v18, 0xf0f0f0f, v18
	v_dot4c_i32_i8_e32 v123, v2, v7
	v_dot4c_i32_i8_e32 v123, v18, v11
	v_and_b32_e32 v2, 0xf0f0f0f, v158
	v_lshrrev_b32_e32 v18, 4, v158
	;; [unrolled: 5-line block ×4, first 2 shown]
	v_mov_b32_e32 v158, 0
	v_and_b32_e32 v18, 0xf0f0f0f, v18
	v_dot4c_i32_i8_e32 v158, v2, v6
	v_and_b32_e32 v20, 0xf0f0f0f, v20
	v_dot4c_i32_i8_e32 v158, v18, v10
	v_lshrrev_b32_e32 v18, 4, v161
	v_dot4c_i32_i8_e32 v166, v20, v13
	v_and_b32_e32 v20, 0xf0f0f0f, v18
	ds_read2_b32 v[18:19], v140 offset1:1
	v_and_b32_e32 v2, 0xf0f0f0f, v161
	v_lshrrev_b32_e32 v15, 4, v15
	v_dot4c_i32_i8_e32 v158, v2, v7
	v_and_b32_e32 v15, 0xf0f0f0f, v15
	v_dot4c_i32_i8_e32 v158, v20, v11
	s_waitcnt lgkmcnt(0)
	v_and_b32_e32 v2, 0xf0f0f0f, v18
	v_lshrrev_b32_e32 v18, 4, v18
	v_dot4c_i32_i8_e32 v167, v15, v21
	v_pk_mul_f16 v122, v3, v107
	ds_read2_b32 v[20:21], v141 offset1:1
	ds_read2_b32 v[106:107], v142 offset1:1
	;; [unrolled: 1-line block ×3, first 2 shown]
	v_and_b32_e32 v18, 0xf0f0f0f, v18
	v_dot4c_i32_i8_e32 v158, v2, v8
	v_dot4c_i32_i8_e32 v158, v18, v12
	v_and_b32_e32 v2, 0xf0f0f0f, v19
	v_lshrrev_b32_e32 v18, 4, v19
	v_and_b32_e32 v18, 0xf0f0f0f, v18
	v_dot4c_i32_i8_e32 v158, v2, v9
	v_dot4c_i32_i8_e32 v158, v18, v13
	s_waitcnt lgkmcnt(2)
	v_and_b32_e32 v2, 0xf0f0f0f, v20
	v_lshrrev_b32_e32 v18, 4, v20
	v_mov_b32_e32 v160, 0
	v_and_b32_e32 v18, 0xf0f0f0f, v18
	v_dot4c_i32_i8_e32 v160, v2, v6
	v_dot4c_i32_i8_e32 v160, v18, v10
	v_and_b32_e32 v2, 0xf0f0f0f, v21
	v_lshrrev_b32_e32 v6, 4, v21
	v_and_b32_e32 v6, 0xf0f0f0f, v6
	v_dot4c_i32_i8_e32 v160, v2, v7
	v_dot4c_i32_i8_e32 v160, v6, v11
	s_waitcnt lgkmcnt(1)
	v_and_b32_e32 v2, 0xf0f0f0f, v106
	v_lshrrev_b32_e32 v6, 4, v106
	v_and_b32_e32 v6, 0xf0f0f0f, v6
	v_dot4c_i32_i8_e32 v160, v2, v8
	v_dot4c_i32_i8_e32 v160, v6, v12
	v_and_b32_e32 v2, 0xf0f0f0f, v107
	v_lshrrev_b32_e32 v6, 4, v107
	v_and_b32_e32 v6, 0xf0f0f0f, v6
	v_dot4c_i32_i8_e32 v160, v2, v9
	v_dot4c_i32_i8_e32 v160, v6, v13
	ds_read_b128 v[6:9], v33 offset:64
	ds_read_b128 v[10:13], v33 offset:80
	v_pk_mul_f16 v157, v3, v157
	v_pk_mul_f16 v159, v3, v165
	v_pk_mul_f16 v161, v3, v163
	v_and_b32_e32 v2, 0xf0f0f0f, v126
	v_lshrrev_b32_e32 v3, 4, v126
	v_mov_b32_e32 v126, 0
	v_and_b32_e32 v3, 0xf0f0f0f, v3
	s_waitcnt lgkmcnt(1)
	v_dot4c_i32_i8_e32 v126, v2, v6
	s_waitcnt lgkmcnt(0)
	v_dot4c_i32_i8_e32 v126, v3, v10
	v_and_b32_e32 v2, 0xf0f0f0f, v127
	v_lshrrev_b32_e32 v3, 4, v127
	v_and_b32_e32 v3, 0xf0f0f0f, v3
	v_dot4c_i32_i8_e32 v126, v2, v7
	v_dot4c_i32_i8_e32 v126, v3, v11
	v_and_b32_e32 v2, 0xf0f0f0f, v128
	v_lshrrev_b32_e32 v3, 4, v128
	v_and_b32_e32 v3, 0xf0f0f0f, v3
	v_dot4c_i32_i8_e32 v126, v2, v8
	;; [unrolled: 5-line block ×3, first 2 shown]
	v_dot4c_i32_i8_e32 v126, v3, v13
	v_and_b32_e32 v2, 0xf0f0f0f, v120
	v_lshrrev_b32_e32 v3, 4, v120
	v_mov_b32_e32 v120, 0
	v_and_b32_e32 v3, 0xf0f0f0f, v3
	v_dot4c_i32_i8_e32 v120, v2, v6
	v_dot4c_i32_i8_e32 v120, v3, v10
	v_and_b32_e32 v2, 0xf0f0f0f, v121
	v_lshrrev_b32_e32 v3, 4, v121
	v_and_b32_e32 v18, 0xf0f0f0f, v3
	v_dot4c_i32_i8_e32 v120, v2, v7
	ds_read2_b32 v[2:3], v144 offset1:1
	v_dot4c_i32_i8_e32 v120, v18, v11
	ds_read2_b32 v[18:19], v145 offset1:1
	ds_read2_b32 v[20:21], v146 offset1:1
	;; [unrolled: 1-line block ×3, first 2 shown]
	v_mov_b32_e32 v127, 0
	v_pk_mul_f16 v124, v4, v124
	s_waitcnt lgkmcnt(3)
	v_and_b32_e32 v121, 0xf0f0f0f, v2
	v_lshrrev_b32_e32 v2, 4, v2
	v_and_b32_e32 v2, 0xf0f0f0f, v2
	v_dot4c_i32_i8_e32 v120, v121, v8
	v_dot4c_i32_i8_e32 v120, v2, v12
	v_and_b32_e32 v2, 0xf0f0f0f, v3
	v_lshrrev_b32_e32 v3, 4, v3
	v_and_b32_e32 v3, 0xf0f0f0f, v3
	v_dot4c_i32_i8_e32 v120, v2, v9
	v_dot4c_i32_i8_e32 v120, v3, v13
	s_waitcnt lgkmcnt(2)
	v_and_b32_e32 v2, 0xf0f0f0f, v18
	v_lshrrev_b32_e32 v3, 4, v18
	v_mov_b32_e32 v121, 0
	v_and_b32_e32 v3, 0xf0f0f0f, v3
	v_dot4c_i32_i8_e32 v121, v2, v6
	v_dot4c_i32_i8_e32 v121, v3, v10
	v_and_b32_e32 v2, 0xf0f0f0f, v19
	v_lshrrev_b32_e32 v3, 4, v19
	v_and_b32_e32 v3, 0xf0f0f0f, v3
	v_dot4c_i32_i8_e32 v121, v2, v7
	v_dot4c_i32_i8_e32 v121, v3, v11
	s_waitcnt lgkmcnt(1)
	v_and_b32_e32 v2, 0xf0f0f0f, v20
	v_lshrrev_b32_e32 v3, 4, v20
	v_and_b32_e32 v3, 0xf0f0f0f, v3
	v_dot4c_i32_i8_e32 v121, v2, v8
	v_dot4c_i32_i8_e32 v121, v3, v12
	v_and_b32_e32 v2, 0xf0f0f0f, v21
	v_lshrrev_b32_e32 v3, 4, v21
	v_and_b32_e32 v3, 0xf0f0f0f, v3
	v_dot4c_i32_i8_e32 v121, v2, v9
	v_dot4c_i32_i8_e32 v121, v3, v13
	s_waitcnt lgkmcnt(0)
	v_and_b32_e32 v2, 0xf0f0f0f, v106
	v_lshrrev_b32_e32 v3, 4, v106
	v_and_b32_e32 v3, 0xf0f0f0f, v3
	v_dot4c_i32_i8_e32 v127, v2, v6
	v_dot4c_i32_i8_e32 v127, v3, v10
	v_and_b32_e32 v2, 0xf0f0f0f, v107
	v_lshrrev_b32_e32 v3, 4, v107
	v_and_b32_e32 v6, 0xf0f0f0f, v3
	v_dot4c_i32_i8_e32 v127, v2, v7
	ds_read2_b32 v[2:3], v148 offset1:1
	v_dot4c_i32_i8_e32 v127, v6, v11
	ds_read2_b32 v[18:19], v149 offset1:1
	ds_read2_b32 v[20:21], v150 offset1:1
	ds_read2_b32 v[106:107], v151 offset1:1
	v_pk_mul_f16 v114, v4, v114
	v_pk_mul_f16 v16, v4, v16
	s_waitcnt lgkmcnt(3)
	v_and_b32_e32 v6, 0xf0f0f0f, v2
	v_lshrrev_b32_e32 v2, 4, v2
	v_and_b32_e32 v2, 0xf0f0f0f, v2
	v_dot4c_i32_i8_e32 v127, v6, v8
	v_dot4c_i32_i8_e32 v127, v2, v12
	v_and_b32_e32 v2, 0xf0f0f0f, v3
	v_lshrrev_b32_e32 v3, 4, v3
	v_and_b32_e32 v3, 0xf0f0f0f, v3
	v_dot4c_i32_i8_e32 v127, v2, v9
	v_dot4c_i32_i8_e32 v127, v3, v13
	ds_read_b128 v[6:9], v33 offset:96
	ds_read_b128 v[10:13], v33 offset:112
	v_pk_mul_f16 v104, v4, v104
	v_and_b32_e32 v2, 0xf0f0f0f, v112
	v_lshrrev_b32_e32 v3, 4, v112
	v_mov_b32_e32 v4, 0
	v_and_b32_e32 v3, 0xf0f0f0f, v3
	s_waitcnt lgkmcnt(1)
	v_dot4c_i32_i8_e32 v4, v2, v6
	s_waitcnt lgkmcnt(0)
	v_dot4c_i32_i8_e32 v4, v3, v10
	v_and_b32_e32 v2, 0xf0f0f0f, v113
	v_lshrrev_b32_e32 v3, 4, v113
	v_and_b32_e32 v3, 0xf0f0f0f, v3
	v_dot4c_i32_i8_e32 v4, v2, v7
	v_dot4c_i32_i8_e32 v4, v3, v11
	v_and_b32_e32 v2, 0xf0f0f0f, v116
	v_lshrrev_b32_e32 v3, 4, v116
	v_and_b32_e32 v3, 0xf0f0f0f, v3
	v_dot4c_i32_i8_e32 v4, v2, v8
	;; [unrolled: 5-line block ×3, first 2 shown]
	v_dot4c_i32_i8_e32 v4, v3, v13
	v_and_b32_e32 v2, 0xf0f0f0f, v18
	v_lshrrev_b32_e32 v3, 4, v18
	v_mov_b32_e32 v117, 0
	v_and_b32_e32 v3, 0xf0f0f0f, v3
	v_dot4c_i32_i8_e32 v117, v2, v6
	v_dot4c_i32_i8_e32 v117, v3, v10
	v_and_b32_e32 v2, 0xf0f0f0f, v19
	v_lshrrev_b32_e32 v3, 4, v19
	v_and_b32_e32 v3, 0xf0f0f0f, v3
	v_dot4c_i32_i8_e32 v117, v2, v7
	v_dot4c_i32_i8_e32 v117, v3, v11
	v_and_b32_e32 v2, 0xf0f0f0f, v20
	v_lshrrev_b32_e32 v3, 4, v20
	;; [unrolled: 5-line block ×3, first 2 shown]
	v_and_b32_e32 v3, 0xf0f0f0f, v3
	v_dot4c_i32_i8_e32 v117, v2, v9
	v_cvt_f32_f16_e32 v110, v155
	v_cvt_f32_f16_e32 v111, v156
	v_cvt_f32_i32_e32 v119, v119
	v_cvt_f32_i32_e32 v118, v118
	v_dot4c_i32_i8_e32 v117, v3, v13
	v_cvt_f32_f16_sdwa v3, v156 dst_sel:DWORD dst_unused:UNUSED_PAD src0_sel:WORD_1
	v_cvt_f32_f16_sdwa v2, v155 dst_sel:DWORD dst_unused:UNUSED_PAD src0_sel:WORD_1
	v_cvt_f32_f16_e32 v19, v157
	v_cvt_f32_f16_e32 v18, v122
	v_cvt_f32_f16_sdwa v21, v157 dst_sel:DWORD dst_unused:UNUSED_PAD src0_sel:WORD_1
	v_cvt_f32_f16_sdwa v20, v122 dst_sel:DWORD dst_unused:UNUSED_PAD src0_sel:WORD_1
	v_cvt_f32_i32_e32 v113, v123
	v_cvt_f32_i32_e32 v112, v166
	v_pk_fma_f32 v[2:3], v[110:111], v[118:119], v[2:3]
	v_pk_mul_f16 v116, v5, v125
	v_pk_mul_f16 v115, v5, v115
	v_pk_add_f32 v[2:3], v[22:23], v[2:3]
	v_pk_fma_f32 v[18:19], v[18:19], v[112:113], v[20:21]
	v_cvt_f32_f16_e32 v21, v114
	v_cvt_f32_f16_e32 v20, v124
	v_cvt_f32_f16_sdwa v23, v114 dst_sel:DWORD dst_unused:UNUSED_PAD src0_sel:WORD_1
	v_cvt_f32_f16_sdwa v22, v124 dst_sel:DWORD dst_unused:UNUSED_PAD src0_sel:WORD_1
	v_cvt_f32_i32_e32 v111, v120
	v_cvt_f32_i32_e32 v110, v126
	v_cvt_f32_f16_e32 v113, v115
	v_cvt_f32_f16_e32 v112, v116
	v_cvt_f32_f16_sdwa v115, v115 dst_sel:DWORD dst_unused:UNUSED_PAD src0_sel:WORD_1
	v_cvt_f32_f16_sdwa v114, v116 dst_sel:DWORD dst_unused:UNUSED_PAD src0_sel:WORD_1
	v_cvt_f32_i32_e32 v117, v117
	v_cvt_f32_i32_e32 v116, v4
	v_pk_add_f32 v[2:3], v[2:3], v[18:19]
	v_pk_fma_f32 v[18:19], v[20:21], v[110:111], v[22:23]
	v_and_b32_e32 v4, 0xf0f0f0f, v107
	v_pk_add_f32 v[2:3], v[2:3], v[18:19]
	v_pk_fma_f32 v[18:19], v[112:113], v[116:117], v[114:115]
	v_cvt_f32_f16_e32 v108, v164
	v_pk_add_f32 v[22:23], v[2:3], v[18:19]
	v_and_b32_e32 v2, 0xf0f0f0f, v106
	v_lshrrev_b32_e32 v3, 4, v106
	v_mov_b32_e32 v106, 0
	v_and_b32_e32 v3, 0xf0f0f0f, v3
	v_dot4c_i32_i8_e32 v106, v2, v6
	v_lshrrev_b32_e32 v2, 4, v107
	v_dot4c_i32_i8_e32 v106, v3, v10
	v_and_b32_e32 v18, 0xf0f0f0f, v2
	ds_read2_b32 v[2:3], v152 offset1:1
	v_dot4c_i32_i8_e32 v106, v4, v7
	v_dot4c_i32_i8_e32 v106, v18, v11
	ds_read2_b32 v[18:19], v153 offset1:1
	ds_read2_b32 v[20:21], v154 offset1:1
	v_cvt_f32_f16_e32 v109, v162
	s_waitcnt lgkmcnt(2)
	v_and_b32_e32 v4, 0xf0f0f0f, v2
	v_lshrrev_b32_e32 v2, 4, v2
	v_and_b32_e32 v2, 0xf0f0f0f, v2
	v_dot4c_i32_i8_e32 v106, v4, v8
	v_dot4c_i32_i8_e32 v106, v2, v12
	v_and_b32_e32 v2, 0xf0f0f0f, v3
	v_lshrrev_b32_e32 v3, 4, v3
	v_and_b32_e32 v3, 0xf0f0f0f, v3
	v_dot4c_i32_i8_e32 v106, v2, v9
	v_dot4c_i32_i8_e32 v106, v3, v13
	s_waitcnt lgkmcnt(1)
	v_and_b32_e32 v2, 0xf0f0f0f, v18
	v_lshrrev_b32_e32 v3, 4, v18
	v_mov_b32_e32 v18, 0
	v_and_b32_e32 v3, 0xf0f0f0f, v3
	v_dot4c_i32_i8_e32 v18, v2, v6
	v_dot4c_i32_i8_e32 v18, v3, v10
	v_and_b32_e32 v2, 0xf0f0f0f, v19
	v_lshrrev_b32_e32 v3, 4, v19
	v_and_b32_e32 v3, 0xf0f0f0f, v3
	v_dot4c_i32_i8_e32 v18, v2, v7
	v_dot4c_i32_i8_e32 v18, v3, v11
	s_waitcnt lgkmcnt(0)
	v_and_b32_e32 v2, 0xf0f0f0f, v20
	v_lshrrev_b32_e32 v3, 4, v20
	v_and_b32_e32 v3, 0xf0f0f0f, v3
	v_dot4c_i32_i8_e32 v18, v2, v8
	v_dot4c_i32_i8_e32 v18, v3, v12
	v_and_b32_e32 v2, 0xf0f0f0f, v21
	v_lshrrev_b32_e32 v3, 4, v21
	v_and_b32_e32 v3, 0xf0f0f0f, v3
	v_dot4c_i32_i8_e32 v18, v2, v9
	v_cvt_f32_f16_e32 v7, v161
	v_cvt_f32_f16_e32 v6, v159
	v_cvt_f32_f16_sdwa v9, v161 dst_sel:DWORD dst_unused:UNUSED_PAD src0_sel:WORD_1
	v_cvt_f32_f16_sdwa v8, v159 dst_sel:DWORD dst_unused:UNUSED_PAD src0_sel:WORD_1
	v_cvt_f32_i32_e32 v11, v160
	v_cvt_f32_i32_e32 v10, v158
	;; [unrolled: 1-line block ×3, first 2 shown]
	v_dot4c_i32_i8_e32 v18, v3, v13
	v_cvt_f32_f16_sdwa v3, v162 dst_sel:DWORD dst_unused:UNUSED_PAD src0_sel:WORD_1
	v_cvt_f32_f16_sdwa v2, v164 dst_sel:DWORD dst_unused:UNUSED_PAD src0_sel:WORD_1
	v_pk_mul_f16 v17, v5, v17
	v_pk_mul_f16 v19, v5, v105
	v_pk_fma_f32 v[4:5], v[6:7], v[10:11], v[8:9]
	v_cvt_f32_f16_e32 v7, v104
	v_cvt_f32_f16_e32 v6, v16
	v_cvt_f32_f16_sdwa v9, v104 dst_sel:DWORD dst_unused:UNUSED_PAD src0_sel:WORD_1
	v_cvt_f32_f16_sdwa v8, v16 dst_sel:DWORD dst_unused:UNUSED_PAD src0_sel:WORD_1
	v_cvt_f32_i32_e32 v11, v127
	v_cvt_f32_i32_e32 v10, v121
	v_pk_fma_f32 v[2:3], v[108:109], v[14:15], v[2:3]
	v_cvt_f32_f16_e32 v13, v19
	v_cvt_f32_f16_e32 v12, v17
	v_cvt_f32_f16_sdwa v15, v19 dst_sel:DWORD dst_unused:UNUSED_PAD src0_sel:WORD_1
	v_cvt_f32_f16_sdwa v14, v17 dst_sel:DWORD dst_unused:UNUSED_PAD src0_sel:WORD_1
	v_cvt_f32_i32_e32 v17, v18
	v_cvt_f32_i32_e32 v16, v106
	v_pk_add_f32 v[2:3], v[100:101], v[2:3]
	s_cmp_ge_i32 s6, s5
	v_pk_add_f32 v[2:3], v[2:3], v[4:5]
	v_pk_fma_f32 v[4:5], v[6:7], v[10:11], v[8:9]
	s_nop 0
	v_pk_add_f32 v[2:3], v[2:3], v[4:5]
	v_pk_fma_f32 v[4:5], v[12:13], v[16:17], v[14:15]
	s_barrier
	v_pk_add_f32 v[100:101], v[2:3], v[4:5]
	s_cbranch_scc1 .LBB220_5
; %bb.13:                               ;   in Loop: Header=BB220_6 Depth=1
	v_add_u32_e32 v2, s4, v47
	v_cmp_gt_i32_e64 s[2:3], s8, v2
	s_and_b64 s[22:23], s[0:1], s[2:3]
	s_and_saveexec_b64 s[2:3], s[22:23]
	s_cbranch_execz .LBB220_15
; %bb.14:                               ;   in Loop: Header=BB220_6 Depth=1
	v_add_u32_e32 v2, s4, v49
	v_mad_i64_i32 v[2:3], s[22:23], v2, 36, v[58:59]
	global_load_dword v2, v[2:3], off offset:4
	s_waitcnt vmcnt(0)
	ds_write_b32 v29, v2
.LBB220_15:                             ;   in Loop: Header=BB220_6 Depth=1
	s_or_b64 exec, exec, s[2:3]
	s_and_saveexec_b64 s[22:23], vcc
	s_cbranch_execz .LBB220_4
; %bb.16:                               ;   in Loop: Header=BB220_6 Depth=1
	v_add3_u32 v2, v24, s4, 4
	v_cmp_gt_i32_e64 s[2:3], s8, v2
	s_and_b64 s[2:3], s[0:1], s[2:3]
	s_and_b64 exec, exec, s[2:3]
	s_cbranch_execz .LBB220_4
; %bb.17:                               ;   in Loop: Header=BB220_6 Depth=1
	global_load_dword v2, v[60:61], off
	s_waitcnt vmcnt(0)
	ds_write_b32 v31, v2
	s_branch .LBB220_4
.LBB220_18:
	v_mov_b32_e32 v100, v101
	v_mov_b32_e32 v23, v101
	;; [unrolled: 1-line block ×3, first 2 shown]
.LBB220_19:
	s_mul_i32 s0, s10, s7
	s_waitcnt vmcnt(0)
	v_cmp_gt_i32_e32 vcc, s0, v1
	s_and_saveexec_b64 s[0:1], vcc
	s_cbranch_execz .LBB220_28
; %bb.20:
	v_and_b32_e32 v0, 0x3ff, v0
	v_add_u32_e32 v2, s11, v0
	v_mul_lo_u32 v0, v1, s9
	v_cmp_gt_u32_e32 vcc, s9, v2
	s_and_saveexec_b64 s[0:1], vcc
	s_cbranch_execz .LBB220_22
; %bb.21:
	v_bfe_u32 v1, v22, 16, 1
	s_movk_i32 s2, 0x7fff
	v_add3_u32 v1, v22, v1, s2
	v_lshrrev_b32_e32 v1, 16, v1
	v_mov_b32_e32 v3, 0x7fc0
	v_cmp_o_f32_e32 vcc, v22, v22
	v_add_u32_e32 v4, v0, v2
	v_mov_b32_e32 v5, 0
	v_cndmask_b32_e32 v1, v3, v1, vcc
	v_lshl_add_u64 v[4:5], v[4:5], 1, s[16:17]
	global_store_short v[4:5], v1, off
.LBB220_22:
	s_or_b64 exec, exec, s[0:1]
	v_add_u32_e32 v1, 32, v2
	v_cmp_gt_u32_e32 vcc, s9, v1
	s_and_saveexec_b64 s[0:1], vcc
	s_cbranch_execz .LBB220_24
; %bb.23:
	v_bfe_u32 v3, v23, 16, 1
	s_movk_i32 s2, 0x7fff
	v_add3_u32 v3, v23, v3, s2
	v_lshrrev_b32_e32 v3, 16, v3
	v_mov_b32_e32 v4, 0x7fc0
	v_cmp_o_f32_e32 vcc, v23, v23
	v_mov_b32_e32 v5, 0
	s_nop 0
	v_cndmask_b32_e32 v3, v4, v3, vcc
	v_add_u32_e32 v4, v0, v1
	v_lshl_add_u64 v[4:5], v[4:5], 1, s[16:17]
	global_store_short v[4:5], v3, off
.LBB220_24:
	s_or_b64 exec, exec, s[0:1]
	v_add_u32_e32 v1, 64, v2
	v_cmp_gt_u32_e32 vcc, s9, v1
	s_and_saveexec_b64 s[0:1], vcc
	s_cbranch_execz .LBB220_26
; %bb.25:
	v_bfe_u32 v3, v100, 16, 1
	s_movk_i32 s2, 0x7fff
	v_add3_u32 v3, v100, v3, s2
	v_lshrrev_b32_e32 v3, 16, v3
	v_mov_b32_e32 v4, 0x7fc0
	v_cmp_o_f32_e32 vcc, v100, v100
	v_mov_b32_e32 v5, 0
	s_nop 0
	v_cndmask_b32_e32 v3, v4, v3, vcc
	v_add_u32_e32 v4, v0, v1
	v_lshl_add_u64 v[4:5], v[4:5], 1, s[16:17]
	global_store_short v[4:5], v3, off
.LBB220_26:
	s_or_b64 exec, exec, s[0:1]
	v_add_u32_e32 v1, 0x60, v2
	v_cmp_gt_u32_e32 vcc, s9, v1
	s_and_b64 exec, exec, vcc
	s_cbranch_execz .LBB220_28
; %bb.27:
	v_bfe_u32 v2, v101, 16, 1
	s_movk_i32 s0, 0x7fff
	v_add3_u32 v2, v101, v2, s0
	v_lshrrev_b32_e32 v2, 16, v2
	v_mov_b32_e32 v3, 0x7fc0
	v_cmp_o_f32_e32 vcc, v101, v101
	v_add_u32_e32 v0, v0, v1
	v_mov_b32_e32 v1, 0
	v_cndmask_b32_e32 v2, v3, v2, vcc
	v_lshl_add_u64 v[0:1], v[0:1], 1, s[16:17]
	global_store_short v[0:1], v2, off
.LBB220_28:
	s_endpgm
	.section	.rodata,"a",@progbits
	.p2align	6, 0x0
	.amdhsa_kernel _ZL8moe_q4_1IN3c108BFloat16ELb1EEvPKvS3_PT_PKiS7_S7_iiiiiii
		.amdhsa_group_segment_fixed_size 22272
		.amdhsa_private_segment_fixed_size 0
		.amdhsa_kernarg_size 76
		.amdhsa_user_sgpr_count 2
		.amdhsa_user_sgpr_dispatch_ptr 0
		.amdhsa_user_sgpr_queue_ptr 0
		.amdhsa_user_sgpr_kernarg_segment_ptr 1
		.amdhsa_user_sgpr_dispatch_id 0
		.amdhsa_user_sgpr_kernarg_preload_length 0
		.amdhsa_user_sgpr_kernarg_preload_offset 0
		.amdhsa_user_sgpr_private_segment_size 0
		.amdhsa_uses_dynamic_stack 0
		.amdhsa_enable_private_segment 0
		.amdhsa_system_sgpr_workgroup_id_x 1
		.amdhsa_system_sgpr_workgroup_id_y 1
		.amdhsa_system_sgpr_workgroup_id_z 0
		.amdhsa_system_sgpr_workgroup_info 0
		.amdhsa_system_vgpr_workitem_id 1
		.amdhsa_next_free_vgpr 168
		.amdhsa_next_free_sgpr 25
		.amdhsa_accum_offset 168
		.amdhsa_reserve_vcc 1
		.amdhsa_float_round_mode_32 0
		.amdhsa_float_round_mode_16_64 0
		.amdhsa_float_denorm_mode_32 3
		.amdhsa_float_denorm_mode_16_64 3
		.amdhsa_dx10_clamp 1
		.amdhsa_ieee_mode 1
		.amdhsa_fp16_overflow 0
		.amdhsa_tg_split 0
		.amdhsa_exception_fp_ieee_invalid_op 0
		.amdhsa_exception_fp_denorm_src 0
		.amdhsa_exception_fp_ieee_div_zero 0
		.amdhsa_exception_fp_ieee_overflow 0
		.amdhsa_exception_fp_ieee_underflow 0
		.amdhsa_exception_fp_ieee_inexact 0
		.amdhsa_exception_int_div_zero 0
	.end_amdhsa_kernel
	.section	.text._ZL8moe_q4_1IN3c108BFloat16ELb1EEvPKvS3_PT_PKiS7_S7_iiiiiii,"axG",@progbits,_ZL8moe_q4_1IN3c108BFloat16ELb1EEvPKvS3_PT_PKiS7_S7_iiiiiii,comdat
.Lfunc_end220:
	.size	_ZL8moe_q4_1IN3c108BFloat16ELb1EEvPKvS3_PT_PKiS7_S7_iiiiiii, .Lfunc_end220-_ZL8moe_q4_1IN3c108BFloat16ELb1EEvPKvS3_PT_PKiS7_S7_iiiiiii
                                        ; -- End function
	.section	.AMDGPU.csdata,"",@progbits
; Kernel info:
; codeLenInByte = 9564
; NumSgprs: 31
; NumVgprs: 168
; NumAgprs: 0
; TotalNumVgprs: 168
; ScratchSize: 0
; MemoryBound: 0
; FloatMode: 240
; IeeeMode: 1
; LDSByteSize: 22272 bytes/workgroup (compile time only)
; SGPRBlocks: 3
; VGPRBlocks: 20
; NumSGPRsForWavesPerEU: 31
; NumVGPRsForWavesPerEU: 168
; AccumOffset: 168
; Occupancy: 2
; WaveLimiterHint : 1
; COMPUTE_PGM_RSRC2:SCRATCH_EN: 0
; COMPUTE_PGM_RSRC2:USER_SGPR: 2
; COMPUTE_PGM_RSRC2:TRAP_HANDLER: 0
; COMPUTE_PGM_RSRC2:TGID_X_EN: 1
; COMPUTE_PGM_RSRC2:TGID_Y_EN: 1
; COMPUTE_PGM_RSRC2:TGID_Z_EN: 0
; COMPUTE_PGM_RSRC2:TIDIG_COMP_CNT: 1
; COMPUTE_PGM_RSRC3_GFX90A:ACCUM_OFFSET: 41
; COMPUTE_PGM_RSRC3_GFX90A:TG_SPLIT: 0
	.section	.text._ZL8moe_q5_0IN3c108BFloat16ELb0EEvPKvS3_PT_PKiS7_S7_iiiiiii,"axG",@progbits,_ZL8moe_q5_0IN3c108BFloat16ELb0EEvPKvS3_PT_PKiS7_S7_iiiiiii,comdat
	.globl	_ZL8moe_q5_0IN3c108BFloat16ELb0EEvPKvS3_PT_PKiS7_S7_iiiiiii ; -- Begin function _ZL8moe_q5_0IN3c108BFloat16ELb0EEvPKvS3_PT_PKiS7_S7_iiiiiii
	.p2align	8
	.type	_ZL8moe_q5_0IN3c108BFloat16ELb0EEvPKvS3_PT_PKiS7_S7_iiiiiii,@function
_ZL8moe_q5_0IN3c108BFloat16ELb0EEvPKvS3_PT_PKiS7_S7_iiiiiii: ; @_ZL8moe_q5_0IN3c108BFloat16ELb0EEvPKvS3_PT_PKiS7_S7_iiiiiii
; %bb.0:
	s_load_dwordx4 s[4:7], s[0:1], 0x18
	s_mov_b32 s8, s3
	s_mov_b32 s9, 0
	s_lshl_b64 s[10:11], s[8:9], 2
	s_waitcnt lgkmcnt(0)
	s_add_u32 s6, s6, s10
	s_addc_u32 s7, s7, s11
	s_load_dword s3, s[6:7], 0x0
	s_waitcnt lgkmcnt(0)
	s_cmpk_gt_u32 s3, 0xff
	s_cbranch_scc1 .LBB221_28
; %bb.1:
	s_load_dwordx2 s[6:7], s[0:1], 0x28
	s_waitcnt lgkmcnt(0)
	s_load_dword s7, s[6:7], 0x0
	s_lshl_b32 s6, s8, 3
	s_waitcnt lgkmcnt(0)
	s_cmp_gt_u32 s6, s7
	s_cbranch_scc1 .LBB221_28
; %bb.2:
	v_bfe_u32 v2, v0, 10, 10
	v_mov_b32_e32 v4, s4
	v_mov_b32_e32 v5, s5
	v_add_u32_e32 v90, s6, v2
	v_mov_b32_e32 v91, 0
	v_lshl_add_u64 v[4:5], v[90:91], 2, v[4:5]
	global_load_dword v1, v[4:5], off
	s_load_dwordx2 s[14:15], s[0:1], 0x30
	s_load_dwordx2 s[12:13], s[0:1], 0x10
	s_load_dwordx4 s[4:7], s[0:1], 0x3c
	s_lshl_b32 s22, s2, 7
	s_waitcnt lgkmcnt(0)
	s_cmp_lt_i32 s15, 32
	s_cbranch_scc1 .LBB221_18
; %bb.3:
	s_load_dwordx4 s[8:11], s[0:1], 0x0
	s_ashr_i32 s0, s15, 31
	s_ashr_i32 s1, s5, 31
	s_lshr_b32 s0, s0, 27
	s_lshr_b32 s1, s1, 27
	s_add_i32 s0, s15, s0
	s_add_i32 s1, s5, s1
	v_and_b32_e32 v22, 0x3ff, v0
	s_ashr_i32 s23, s0, 5
	s_ashr_i32 s5, s1, 5
	v_lshlrev_b32_e32 v4, 3, v22
	s_movk_i32 s1, 0x104
	v_mul_lo_u32 v9, s23, v2
	v_mad_u32_u24 v108, v2, s1, v4
	s_lshl_b32 s1, s23, 3
	v_add_u32_e32 v10, s1, v9
	v_add_u32_e32 v11, s1, v10
	v_add_u32_e32 v12, s1, v11
	v_add_u32_e32 v13, s1, v12
	v_add_u32_e32 v14, s1, v13
	v_add_u32_e32 v15, s1, v14
	v_add_u32_e32 v16, s1, v15
	v_add_u32_e32 v17, s1, v16
	v_add_u32_e32 v18, s1, v17
	v_add_u32_e32 v19, s1, v18
	v_add_u32_e32 v20, s1, v19
	v_add_u32_e32 v21, s1, v20
	v_add_u32_e32 v82, s1, v21
	v_lshlrev_b32_e32 v6, 2, v2
	v_lshrrev_b32_e32 v124, 3, v22
	v_add_u32_e32 v86, s1, v82
	v_and_b32_e32 v91, 7, v22
	v_add_u32_e32 v4, v124, v6
	v_add_u32_e32 v90, s1, v86
	v_and_b32_e32 v5, 0x1ffc, v4
	v_lshlrev_b32_e32 v7, 2, v91
	s_mov_b32 s1, 0x8200
	v_add3_u32 v104, v5, v7, s1
	v_add_u32_e32 v5, 32, v4
	v_mul_lo_u32 v96, s23, v4
	v_lshlrev_b32_e32 v105, 5, v4
	v_and_b32_e32 v23, 0x3ffc, v5
	v_lshlrev_b32_e32 v107, 5, v5
	v_add_u32_e32 v5, 64, v4
	v_add_u32_e32 v4, 0x60, v4
	v_lshlrev_b32_e32 v3, 2, v22
	v_mov_b32_e32 v25, 0
	v_add3_u32 v106, v23, v7, s1
	v_and_b32_e32 v23, 0x3ffc, v5
	v_lshlrev_b32_e32 v140, 5, v5
	v_and_b32_e32 v5, 0x3ffc, v4
	v_add3_u32 v141, v5, v7, s1
	v_lshlrev_b32_e32 v142, 5, v4
	v_and_b32_e32 v4, 28, v3
	v_mov_b32_e32 v5, v25
	v_and_b32_e32 v24, 12, v3
	v_add3_u32 v139, v23, v7, s1
	v_and_b32_e32 v7, 31, v22
	s_waitcnt lgkmcnt(0)
	v_lshl_add_u64 v[26:27], s[10:11], 0, v[4:5]
	v_lshlrev_b32_e32 v3, 7, v2
	v_mov_b32_e32 v5, 0x9680
	v_lshl_or_b32 v4, v7, 2, v3
	v_add_u32_e32 v127, 0x9280, v3
	v_lshl_add_u32 v128, v2, 4, v5
	v_and_b32_e32 v2, 0xfc, v22
	v_lshlrev_b32_e32 v3, 5, v22
	v_add_u32_e32 v125, 0x9280, v4
	v_or_b32_e32 v4, v6, v22
	v_add3_u32 v130, v3, v2, s1
	v_add_u32_e32 v2, 32, v22
	v_lshl_add_u32 v126, v4, 2, v5
	v_and_b32_e32 v3, 0x1fc, v2
	v_lshlrev_b32_e32 v4, 5, v2
	v_add3_u32 v131, v4, v3, s1
	v_add_u32_e32 v3, 64, v22
	s_mul_i32 s16, s3, s14
	v_and_b32_e32 v4, 0x1fc, v3
	v_lshlrev_b32_e32 v3, 5, v3
	s_abs_i32 s3, s7
	v_add3_u32 v132, v3, v4, s1
	v_cvt_f32_u32_e32 v4, s3
	v_add_u32_e32 v3, 0x60, v22
	v_and_b32_e32 v5, 0x1fc, v3
	v_lshlrev_b32_e32 v3, 5, v3
	v_add3_u32 v133, v3, v5, s1
	v_rcp_iflag_f32_e32 v3, v4
	s_andn2_b32 s0, s0, 31
	v_add_u32_e32 v98, s0, v96
	v_add_u32_e32 v100, s0, v98
	v_mul_f32_e32 v3, 0x4f7ffffe, v3
	v_cvt_u32_f32_e32 v3, v3
	v_add_u32_e32 v102, s0, v100
	s_sub_i32 s0, 0, s3
	s_waitcnt vmcnt(0)
	v_sub_u32_e32 v4, 0, v1
	v_mul_lo_u32 v5, s0, v3
	v_mul_hi_u32 v5, v3, v5
	v_max_i32_e32 v4, v1, v4
	v_add_u32_e32 v3, v3, v5
	v_mul_hi_u32 v3, v4, v3
	v_mul_lo_u32 v5, v3, s3
	v_sub_u32_e32 v4, v4, v5
	v_add_u32_e32 v5, 1, v3
	v_cmp_le_u32_e64 s[0:1], s3, v4
	v_lshrrev_b32_e32 v134, 3, v2
	v_xor_b32_e32 v2, s7, v1
	v_cndmask_b32_e64 v3, v3, v5, s[0:1]
	v_subrev_u32_e32 v5, s3, v4
	v_cndmask_b32_e64 v4, v4, v5, s[0:1]
	v_add_u32_e32 v5, 1, v3
	v_cmp_le_u32_e64 s[0:1], s3, v4
	v_ashrrev_i32_e32 v2, 31, v2
	v_mov_b32_e32 v23, v25
	v_cndmask_b32_e64 v3, v3, v5, s[0:1]
	v_xor_b32_e32 v3, v3, v2
	v_sub_u32_e32 v2, v3, v2
	v_cmp_gt_i32_e64 s[0:1], s4, v2
	v_mul_lo_u32 v2, v2, s5
	v_ashrrev_i32_e32 v3, 31, v2
	v_lshl_add_u64 v[4:5], v[2:3], 0, v[22:23]
	v_mad_u64_u32 v[6:7], s[18:19], v4, 36, s[10:11]
	s_mul_i32 s2, s23, s22
	v_mad_i32_i24 v7, v5, 36, v7
	s_mov_b64 s[18:19], 0x90
	v_lshl_add_u64 v[28:29], v[6:7], 0, s[18:19]
	s_mul_hi_i32 s3, s2, 22
	s_mul_i32 s18, s2, 22
	v_lshrrev_b32_e32 v8, 2, v22
	v_add_u32_e32 v23, v22, v2
	v_add_u32_e32 v135, v134, v2
	;; [unrolled: 1-line block ×3, first 2 shown]
	v_mov_b32_e32 v2, s18
	v_mov_b32_e32 v3, s3
	v_mad_u64_u32 v[2:3], s[18:19], v8, 22, v[2:3]
	v_mad_u64_u32 v[4:5], s[18:19], v9, 22, v[2:3]
	v_lshl_add_u64 v[6:7], v[4:5], 0, v[24:25]
	v_lshl_add_u64 v[32:33], s[8:9], 0, v[4:5]
	v_mad_u64_u32 v[4:5], s[18:19], v10, 22, v[2:3]
	v_lshl_add_u64 v[4:5], v[4:5], 0, s[8:9]
	v_lshl_add_u64 v[34:35], v[4:5], 0, v[24:25]
	v_lshl_add_u64 v[36:37], v[4:5], 0, 2
	v_mad_u64_u32 v[4:5], s[18:19], v11, 22, v[2:3]
	v_lshl_add_u64 v[4:5], v[4:5], 0, s[8:9]
	v_lshl_add_u64 v[38:39], v[4:5], 0, v[24:25]
	v_lshl_add_u64 v[40:41], v[4:5], 0, 2
	v_mad_u64_u32 v[4:5], s[18:19], v12, 22, v[2:3]
	v_lshl_add_u64 v[4:5], v[4:5], 0, s[8:9]
	v_lshl_add_u64 v[42:43], v[4:5], 0, v[24:25]
	v_lshl_add_u64 v[44:45], v[4:5], 0, 2
	v_mad_u64_u32 v[4:5], s[18:19], v13, 22, v[2:3]
	v_lshl_add_u64 v[4:5], v[4:5], 0, s[8:9]
	v_lshl_add_u64 v[46:47], v[4:5], 0, v[24:25]
	v_lshl_add_u64 v[48:49], v[4:5], 0, 2
	v_mad_u64_u32 v[4:5], s[18:19], v14, 22, v[2:3]
	v_lshl_add_u64 v[4:5], v[4:5], 0, s[8:9]
	v_lshl_add_u64 v[50:51], v[4:5], 0, v[24:25]
	v_lshl_add_u64 v[52:53], v[4:5], 0, 2
	v_mad_u64_u32 v[4:5], s[18:19], v15, 22, v[2:3]
	v_lshl_add_u64 v[4:5], v[4:5], 0, s[8:9]
	v_lshl_add_u64 v[54:55], v[4:5], 0, v[24:25]
	v_lshl_add_u64 v[56:57], v[4:5], 0, 2
	v_mad_u64_u32 v[4:5], s[18:19], v16, 22, v[2:3]
	v_lshl_add_u64 v[4:5], v[4:5], 0, s[8:9]
	v_lshl_add_u64 v[58:59], v[4:5], 0, v[24:25]
	v_lshl_add_u64 v[60:61], v[4:5], 0, 2
	v_mad_u64_u32 v[4:5], s[18:19], v17, 22, v[2:3]
	v_lshl_add_u64 v[4:5], v[4:5], 0, s[8:9]
	v_lshl_add_u64 v[62:63], v[4:5], 0, v[24:25]
	v_lshl_add_u64 v[64:65], v[4:5], 0, 2
	v_mad_u64_u32 v[4:5], s[18:19], v18, 22, v[2:3]
	v_lshl_add_u64 v[4:5], v[4:5], 0, s[8:9]
	v_lshl_add_u64 v[66:67], v[4:5], 0, v[24:25]
	v_lshl_add_u64 v[68:69], v[4:5], 0, 2
	v_mad_u64_u32 v[4:5], s[18:19], v19, 22, v[2:3]
	v_lshl_add_u64 v[4:5], v[4:5], 0, s[8:9]
	v_lshl_add_u64 v[70:71], v[4:5], 0, v[24:25]
	v_lshl_add_u64 v[72:73], v[4:5], 0, 2
	v_mad_u64_u32 v[4:5], s[18:19], v20, 22, v[2:3]
	v_lshl_add_u64 v[4:5], v[4:5], 0, s[8:9]
	v_lshl_add_u64 v[74:75], v[4:5], 0, v[24:25]
	v_lshl_add_u64 v[76:77], v[4:5], 0, 2
	v_mad_u64_u32 v[4:5], s[18:19], v21, 22, v[2:3]
	v_lshl_add_u64 v[4:5], v[4:5], 0, s[8:9]
	v_lshl_add_u64 v[78:79], v[4:5], 0, v[24:25]
	v_lshl_add_u64 v[80:81], v[4:5], 0, 2
	v_mad_u64_u32 v[4:5], s[18:19], v82, 22, v[2:3]
	v_lshl_add_u64 v[4:5], v[4:5], 0, s[8:9]
	v_lshl_add_u64 v[82:83], v[4:5], 0, v[24:25]
	v_lshl_add_u64 v[84:85], v[4:5], 0, 2
	v_mad_u64_u32 v[4:5], s[18:19], v86, 22, v[2:3]
	v_mad_u64_u32 v[2:3], s[18:19], v90, 22, v[2:3]
	v_lshl_add_u64 v[2:3], v[2:3], 0, s[8:9]
	v_lshl_add_u64 v[92:93], v[2:3], 0, v[24:25]
	;; [unrolled: 1-line block ×3, first 2 shown]
	v_mad_u64_u32 v[2:3], s[18:19], v96, 22, 0
	v_mad_i64_i32 v[2:3], s[18:19], s2, 22, v[2:3]
	v_mad_u64_u32 v[2:3], s[18:19], v91, 22, v[2:3]
	v_lshl_add_u64 v[96:97], s[8:9], 0, v[2:3]
	v_mad_u64_u32 v[2:3], s[18:19], v98, 22, 0
	v_mad_i64_i32 v[2:3], s[18:19], s2, 22, v[2:3]
	v_mad_u64_u32 v[2:3], s[18:19], v91, 22, v[2:3]
	v_lshl_add_u64 v[98:99], s[8:9], 0, v[2:3]
	;; [unrolled: 4-line block ×3, first 2 shown]
	v_mad_u64_u32 v[2:3], s[18:19], v102, 22, 0
	v_mad_i64_i32 v[2:3], s[2:3], s2, 22, v[2:3]
	v_lshl_add_u64 v[4:5], v[4:5], 0, s[8:9]
	v_mad_u64_u32 v[2:3], s[2:3], v91, 22, v[2:3]
	s_ashr_i32 s17, s16, 31
	s_mov_b32 s14, 0
	v_add_u32_e32 v109, 0x820, v108
	v_add_u32_e32 v110, 0x1040, v108
	;; [unrolled: 1-line block ×15, first 2 shown]
	v_cmp_gt_u32_e32 vcc, 4, v22
	v_mul_u32_u24_e32 v129, 0x104, v22
	v_lshl_add_u64 v[30:31], s[8:9], 0, v[6:7]
	v_lshl_add_u64 v[86:87], v[4:5], 0, v[24:25]
	;; [unrolled: 1-line block ×4, first 2 shown]
	s_movk_i32 s24, 0x80
	s_movk_i32 s25, 0x1f00
	;; [unrolled: 1-line block ×4, first 2 shown]
	v_add_u32_e32 v137, v104, v105
	v_add_u32_e32 v138, v106, v107
	;; [unrolled: 1-line block ×4, first 2 shown]
	s_mov_b64 s[8:9], 0x120
	s_mov_b64 s[18:19], 0xb0
	v_mov_b32_e32 v141, 8
	v_mov_b32_e32 v104, v25
	v_mov_b32_e32 v105, v25
	v_mov_b32_e32 v90, v25
	v_mov_b32_e32 v91, v25
	s_branch .LBB221_6
.LBB221_4:                              ;   in Loop: Header=BB221_6 Depth=1
	s_or_b64 exec, exec, s[20:21]
	s_waitcnt lgkmcnt(0)
	s_barrier
	ds_read_b128 v[2:5], v128
	ds_read2_b32 v[106:107], v129 offset0:32 offset1:33
	ds_read_b128 v[14:17], v127
	ds_read_b128 v[18:21], v127 offset:16
	ds_read_b128 v[6:9], v127 offset:32
	;; [unrolled: 1-line block ×3, first 2 shown]
	ds_read2_b32 v[142:143], v129 offset0:34 offset1:35
	v_mov_b32_e32 v25, 0
	s_waitcnt lgkmcnt(4)
	v_dot4c_i32_i8_e32 v25, v106, v14
	s_waitcnt lgkmcnt(3)
	v_dot4c_i32_i8_e32 v25, v107, v18
	ds_read2_b32 v[106:107], v129 offset0:36 offset1:37
	ds_read2_b32 v[144:145], v129 offset0:38 offset1:39
	;; [unrolled: 1-line block ×3, first 2 shown]
	s_waitcnt lgkmcnt(3)
	v_dot4c_i32_i8_e32 v25, v142, v15
	v_dot4c_i32_i8_e32 v25, v143, v19
	s_waitcnt lgkmcnt(2)
	v_dot4c_i32_i8_e32 v25, v106, v16
	v_add_u32_e32 v106, 0x2100, v129
	ds_read2_b32 v[142:143], v106 offset1:1
	v_mov_b32_e32 v156, 0
	v_dot4c_i32_i8_e32 v25, v107, v20
	ds_read2_b32 v[106:107], v133 offset0:6 offset1:7
	s_waitcnt lgkmcnt(3)
	v_dot4c_i32_i8_e32 v25, v144, v17
	s_waitcnt lgkmcnt(1)
	v_dot4c_i32_i8_e32 v156, v142, v14
	v_add_u32_e32 v142, 0x2108, v129
	v_dot4c_i32_i8_e32 v156, v143, v18
	ds_read2_b32 v[142:143], v142 offset1:1
	v_add_u32_e32 v144, 0x2110, v129
	v_add_u32_e32 v148, 0x2118, v129
	;; [unrolled: 1-line block ×3, first 2 shown]
	v_dot4c_i32_i8_e32 v25, v145, v21
	ds_read2_b32 v[144:145], v144 offset1:1
	ds_read2_b32 v[148:149], v148 offset1:1
	;; [unrolled: 1-line block ×3, first 2 shown]
	s_waitcnt lgkmcnt(3)
	v_dot4c_i32_i8_e32 v156, v142, v15
	v_dot4c_i32_i8_e32 v156, v143, v19
	s_waitcnt lgkmcnt(2)
	v_dot4c_i32_i8_e32 v156, v144, v16
	v_dot4c_i32_i8_e32 v156, v145, v20
	v_mov_b32_e32 v157, 0
	s_waitcnt lgkmcnt(1)
	v_dot4c_i32_i8_e32 v156, v148, v17
	s_waitcnt lgkmcnt(0)
	v_dot4c_i32_i8_e32 v157, v150, v14
	v_add_u32_e32 v142, 0x4188, v129
	v_add_u32_e32 v144, 0x4190, v129
	;; [unrolled: 1-line block ×4, first 2 shown]
	v_dot4c_i32_i8_e32 v156, v149, v21
	v_dot4c_i32_i8_e32 v157, v151, v18
	ds_read2_b32 v[142:143], v142 offset1:1
	ds_read2_b32 v[144:145], v144 offset1:1
	;; [unrolled: 1-line block ×4, first 2 shown]
	v_mov_b32_e32 v158, 0
	v_mov_b32_e32 v159, 0
	v_dot4c_i32_i8_e32 v159, v146, v6
	s_waitcnt lgkmcnt(3)
	v_dot4c_i32_i8_e32 v157, v142, v15
	s_waitcnt lgkmcnt(0)
	v_dot4c_i32_i8_e32 v158, v150, v14
	v_add_u32_e32 v14, 0x6208, v129
	v_dot4c_i32_i8_e32 v157, v143, v19
	ds_read2_b32 v[142:143], v14 offset1:1
	v_dot4c_i32_i8_e32 v157, v144, v16
	v_dot4c_i32_i8_e32 v157, v145, v20
	;; [unrolled: 1-line block ×4, first 2 shown]
	v_add_u32_e32 v18, 0x6210, v129
	v_add_u32_e32 v148, 0x6218, v129
	v_dot4c_i32_i8_e32 v157, v149, v21
	v_add_u32_e32 v14, 0x2120, v129
	ds_read2_b32 v[144:145], v18 offset1:1
	ds_read2_b32 v[148:149], v148 offset1:1
	;; [unrolled: 1-line block ×3, first 2 shown]
	s_waitcnt lgkmcnt(3)
	v_dot4c_i32_i8_e32 v158, v142, v15
	v_dot4c_i32_i8_e32 v158, v143, v19
	ds_read2_b32 v[14:15], v129 offset0:42 offset1:43
	s_waitcnt lgkmcnt(3)
	v_dot4c_i32_i8_e32 v158, v144, v16
	v_dot4c_i32_i8_e32 v158, v145, v20
	s_waitcnt lgkmcnt(2)
	v_dot4c_i32_i8_e32 v158, v148, v17
	v_dot4c_i32_i8_e32 v158, v149, v21
	;; [unrolled: 1-line block ×3, first 2 shown]
	ds_read2_b32 v[16:17], v129 offset0:44 offset1:45
	ds_read2_b32 v[18:19], v129 offset0:46 offset1:47
	;; [unrolled: 1-line block ×3, first 2 shown]
	s_waitcnt lgkmcnt(3)
	v_dot4c_i32_i8_e32 v159, v14, v7
	v_add_u32_e32 v14, 0x2128, v129
	v_dot4c_i32_i8_e32 v159, v15, v11
	ds_read2_b32 v[14:15], v14 offset1:1
	s_waitcnt lgkmcnt(3)
	v_dot4c_i32_i8_e32 v159, v16, v8
	v_dot4c_i32_i8_e32 v159, v17, v12
	v_mov_b32_e32 v160, 0
	s_waitcnt lgkmcnt(2)
	v_dot4c_i32_i8_e32 v159, v18, v9
	v_dot4c_i32_i8_e32 v160, v150, v6
	v_add_u32_e32 v16, 0x2130, v129
	v_add_u32_e32 v18, 0x2138, v129
	v_add_u32_e32 v142, 0x41a0, v129
	v_dot4c_i32_i8_e32 v159, v19, v13
	v_dot4c_i32_i8_e32 v160, v151, v10
	ds_read2_b32 v[16:17], v16 offset1:1
	ds_read2_b32 v[18:19], v18 offset1:1
	;; [unrolled: 1-line block ×3, first 2 shown]
	s_waitcnt lgkmcnt(3)
	v_dot4c_i32_i8_e32 v160, v14, v7
	v_dot4c_i32_i8_e32 v160, v15, v11
	s_waitcnt lgkmcnt(2)
	v_dot4c_i32_i8_e32 v160, v16, v8
	v_dot4c_i32_i8_e32 v160, v17, v12
	v_mov_b32_e32 v161, 0
	s_waitcnt lgkmcnt(1)
	v_dot4c_i32_i8_e32 v160, v18, v9
	s_waitcnt lgkmcnt(0)
	v_dot4c_i32_i8_e32 v161, v142, v6
	v_add_u32_e32 v14, 0x41a8, v129
	v_add_u32_e32 v16, 0x41b0, v129
	;; [unrolled: 1-line block ×4, first 2 shown]
	v_dot4c_i32_i8_e32 v160, v19, v13
	v_dot4c_i32_i8_e32 v161, v143, v10
	ds_read2_b32 v[14:15], v14 offset1:1
	ds_read2_b32 v[16:17], v16 offset1:1
	;; [unrolled: 1-line block ×4, first 2 shown]
	v_mov_b32_e32 v162, 0
	v_mov_b32_e32 v163, 0
	;; [unrolled: 1-line block ×3, first 2 shown]
	s_waitcnt lgkmcnt(3)
	v_dot4c_i32_i8_e32 v161, v14, v7
	s_waitcnt lgkmcnt(0)
	v_dot4c_i32_i8_e32 v162, v142, v6
	v_add_u32_e32 v6, 0x6228, v129
	v_dot4c_i32_i8_e32 v161, v15, v11
	ds_read2_b32 v[14:15], v6 offset1:1
	v_dot4c_i32_i8_e32 v161, v16, v8
	v_dot4c_i32_i8_e32 v161, v17, v12
	;; [unrolled: 1-line block ×4, first 2 shown]
	v_add_u32_e32 v10, 0x6230, v129
	v_add_u32_e32 v18, 0x6238, v129
	v_dot4c_i32_i8_e32 v161, v19, v13
	v_add_u32_e32 v6, 0x2140, v129
	ds_read2_b32 v[16:17], v10 offset1:1
	ds_read2_b32 v[18:19], v18 offset1:1
	;; [unrolled: 1-line block ×3, first 2 shown]
	s_waitcnt lgkmcnt(3)
	v_dot4c_i32_i8_e32 v162, v14, v7
	v_dot4c_i32_i8_e32 v162, v15, v11
	s_waitcnt lgkmcnt(2)
	v_dot4c_i32_i8_e32 v162, v16, v8
	v_dot4c_i32_i8_e32 v162, v17, v12
	;; [unrolled: 3-line block ×3, first 2 shown]
	ds_read_b128 v[8:11], v127 offset:64
	ds_read_b128 v[12:15], v127 offset:80
	ds_read2_b32 v[6:7], v132 offset0:4 offset1:5
	ds_read2_b32 v[144:145], v131 offset0:6 offset1:7
	;; [unrolled: 1-line block ×5, first 2 shown]
	s_waitcnt lgkmcnt(6)
	v_dot4c_i32_i8_e32 v163, v20, v8
	s_waitcnt lgkmcnt(5)
	v_dot4c_i32_i8_e32 v163, v21, v12
	ds_read2_b32 v[18:19], v129 offset0:52 offset1:53
	ds_read2_b32 v[20:21], v129 offset0:54 offset1:55
	;; [unrolled: 1-line block ×3, first 2 shown]
	v_dot4c_i32_i8_e32 v164, v142, v8
	s_waitcnt lgkmcnt(3)
	v_dot4c_i32_i8_e32 v163, v16, v9
	v_add_u32_e32 v16, 0x2148, v129
	v_dot4c_i32_i8_e32 v163, v17, v13
	ds_read2_b32 v[16:17], v16 offset1:1
	s_waitcnt lgkmcnt(3)
	v_dot4c_i32_i8_e32 v163, v18, v10
	v_dot4c_i32_i8_e32 v163, v19, v14
	s_waitcnt lgkmcnt(2)
	v_dot4c_i32_i8_e32 v163, v20, v11
	v_add_u32_e32 v18, 0x2150, v129
	v_add_u32_e32 v20, 0x2158, v129
	;; [unrolled: 1-line block ×3, first 2 shown]
	v_dot4c_i32_i8_e32 v163, v21, v15
	v_dot4c_i32_i8_e32 v164, v143, v12
	ds_read2_b32 v[18:19], v18 offset1:1
	ds_read2_b32 v[20:21], v20 offset1:1
	;; [unrolled: 1-line block ×3, first 2 shown]
	s_waitcnt lgkmcnt(3)
	v_dot4c_i32_i8_e32 v164, v16, v9
	v_dot4c_i32_i8_e32 v164, v17, v13
	s_waitcnt lgkmcnt(2)
	v_dot4c_i32_i8_e32 v164, v18, v10
	v_dot4c_i32_i8_e32 v164, v19, v14
	v_mov_b32_e32 v165, 0
	s_waitcnt lgkmcnt(1)
	v_dot4c_i32_i8_e32 v164, v20, v11
	s_waitcnt lgkmcnt(0)
	v_dot4c_i32_i8_e32 v165, v142, v8
	v_add_u32_e32 v16, 0x41c8, v129
	v_add_u32_e32 v18, 0x41d0, v129
	;; [unrolled: 1-line block ×4, first 2 shown]
	v_dot4c_i32_i8_e32 v164, v21, v15
	ds_read2_b32 v[20:21], v133 offset0:4 offset1:5
	ds_read2_b32 v[152:153], v132 offset0:6 offset1:7
	v_dot4c_i32_i8_e32 v165, v143, v12
	ds_read2_b32 v[16:17], v16 offset1:1
	ds_read2_b32 v[18:19], v18 offset1:1
	;; [unrolled: 1-line block ×4, first 2 shown]
	v_mov_b32_e32 v166, 0
	v_mov_b32_e32 v167, 0
	;; [unrolled: 1-line block ×3, first 2 shown]
	s_waitcnt lgkmcnt(3)
	v_dot4c_i32_i8_e32 v165, v16, v9
	s_waitcnt lgkmcnt(0)
	v_dot4c_i32_i8_e32 v166, v154, v8
	v_add_u32_e32 v8, 0x6248, v129
	v_dot4c_i32_i8_e32 v165, v17, v13
	ds_read2_b32 v[16:17], v8 offset1:1
	v_dot4c_i32_i8_e32 v165, v18, v10
	v_dot4c_i32_i8_e32 v165, v19, v14
	;; [unrolled: 1-line block ×4, first 2 shown]
	v_add_u32_e32 v12, 0x6250, v129
	v_add_u32_e32 v142, 0x6258, v129
	v_dot4c_i32_i8_e32 v165, v143, v15
	v_add_u32_e32 v8, 0x2160, v129
	ds_read2_b32 v[18:19], v12 offset1:1
	ds_read2_b32 v[142:143], v142 offset1:1
	;; [unrolled: 1-line block ×3, first 2 shown]
	s_waitcnt lgkmcnt(3)
	v_dot4c_i32_i8_e32 v166, v16, v9
	v_dot4c_i32_i8_e32 v166, v17, v13
	s_waitcnt lgkmcnt(2)
	v_dot4c_i32_i8_e32 v166, v18, v10
	v_dot4c_i32_i8_e32 v166, v19, v14
	ds_read_b128 v[16:19], v127 offset:96
	s_waitcnt lgkmcnt(2)
	v_dot4c_i32_i8_e32 v166, v142, v11
	ds_read_b128 v[8:11], v127 offset:112
	ds_read2_b32 v[12:13], v129 offset0:58 offset1:59
	v_dot4c_i32_i8_e32 v166, v143, v15
	s_waitcnt lgkmcnt(2)
	v_dot4c_i32_i8_e32 v167, v150, v16
	v_dot4c_i32_i8_e32 v168, v154, v16
	s_waitcnt lgkmcnt(1)
	v_dot4c_i32_i8_e32 v167, v151, v8
	ds_read2_b32 v[14:15], v129 offset0:60 offset1:61
	ds_read2_b32 v[142:143], v130 offset0:4 offset1:5
	;; [unrolled: 1-line block ×3, first 2 shown]
	s_waitcnt lgkmcnt(3)
	v_dot4c_i32_i8_e32 v167, v12, v17
	v_add_u32_e32 v12, 0x2168, v129
	v_dot4c_i32_i8_e32 v167, v13, v9
	ds_read2_b32 v[12:13], v12 offset1:1
	s_waitcnt lgkmcnt(3)
	v_dot4c_i32_i8_e32 v167, v14, v18
	v_dot4c_i32_i8_e32 v167, v15, v10
	s_waitcnt lgkmcnt(1)
	v_dot4c_i32_i8_e32 v167, v150, v19
	v_add_u32_e32 v14, 0x2170, v129
	v_add_u32_e32 v150, 0x2178, v129
	;; [unrolled: 1-line block ×3, first 2 shown]
	v_dot4c_i32_i8_e32 v167, v151, v11
	v_dot4c_i32_i8_e32 v168, v155, v8
	ds_read2_b32 v[14:15], v14 offset1:1
	ds_read2_b32 v[150:151], v150 offset1:1
	;; [unrolled: 1-line block ×3, first 2 shown]
	s_waitcnt lgkmcnt(3)
	v_dot4c_i32_i8_e32 v168, v12, v17
	v_dot4c_i32_i8_e32 v168, v13, v9
	s_waitcnt lgkmcnt(2)
	v_dot4c_i32_i8_e32 v168, v14, v18
	v_dot4c_i32_i8_e32 v168, v15, v10
	s_waitcnt lgkmcnt(1)
	v_dot4c_i32_i8_e32 v168, v150, v19
	v_cvt_f32_i32_e32 v15, v156
	v_cvt_f32_i32_e32 v14, v25
	v_dot4c_i32_i8_e32 v168, v151, v11
	v_cvt_f32_i32_e32 v151, v160
	v_cvt_f32_i32_e32 v150, v159
	v_mov_b32_e32 v12, v142
	v_mov_b32_e32 v13, v146
	v_pk_mul_f32 v[12:13], v[2:3], v[12:13] op_sel_hi:[0,1]
	v_mov_b32_e32 v146, v143
	v_pk_fma_f32 v[12:13], v[12:13], v[14:15], v[104:105]
	v_pk_mul_f32 v[14:15], v[2:3], v[146:147] op_sel:[1,0]
	v_mov_b32_e32 v104, v148
	v_pk_fma_f32 v[12:13], v[14:15], v[150:151], v[12:13]
	v_cvt_f32_i32_e32 v15, v164
	v_cvt_f32_i32_e32 v14, v163
	v_mov_b32_e32 v105, v144
	v_pk_mul_f32 v[104:105], v[4:5], v[104:105] op_sel_hi:[0,1]
	v_mov_b32_e32 v142, v5
	v_pk_fma_f32 v[12:13], v[104:105], v[14:15], v[12:13]
	v_cvt_f32_i32_e32 v15, v168
	v_cvt_f32_i32_e32 v14, v167
	v_mov_b32_e32 v144, v149
	v_pk_mul_f32 v[104:105], v[142:143], v[144:145] op_sel_hi:[0,1]
	v_add_u32_e32 v5, 0x41e8, v129
	v_pk_fma_f32 v[104:105], v[104:105], v[14:15], v[12:13]
	ds_read2_b32 v[12:13], v5 offset1:1
	v_mov_b32_e32 v25, 0
	s_waitcnt lgkmcnt(1)
	v_dot4c_i32_i8_e32 v25, v154, v16
	v_add_u32_e32 v14, 0x41f0, v129
	v_dot4c_i32_i8_e32 v25, v155, v8
	v_add_u32_e32 v143, 0x41f8, v129
	v_add_u32_e32 v5, 0x6260, v129
	ds_read2_b32 v[14:15], v14 offset1:1
	ds_read2_b32 v[144:145], v143 offset1:1
	;; [unrolled: 1-line block ×3, first 2 shown]
	s_waitcnt lgkmcnt(3)
	v_dot4c_i32_i8_e32 v25, v12, v17
	v_add_u32_e32 v5, 0x6268, v129
	v_dot4c_i32_i8_e32 v25, v13, v9
	ds_read2_b32 v[12:13], v5 offset1:1
	s_waitcnt lgkmcnt(3)
	v_dot4c_i32_i8_e32 v25, v14, v18
	v_add_u32_e32 v5, 0x6270, v129
	v_dot4c_i32_i8_e32 v25, v15, v10
	v_mov_b32_e32 v143, 0
	ds_read2_b32 v[14:15], v5 offset1:1
	s_waitcnt lgkmcnt(3)
	v_dot4c_i32_i8_e32 v25, v144, v19
	s_waitcnt lgkmcnt(2)
	v_dot4c_i32_i8_e32 v143, v146, v16
	v_add_u32_e32 v5, 0x6278, v129
	v_dot4c_i32_i8_e32 v25, v145, v11
	v_dot4c_i32_i8_e32 v143, v147, v8
	ds_read2_b32 v[144:145], v5 offset1:1
	s_waitcnt lgkmcnt(2)
	v_dot4c_i32_i8_e32 v143, v12, v17
	v_dot4c_i32_i8_e32 v143, v13, v9
	s_waitcnt lgkmcnt(1)
	v_dot4c_i32_i8_e32 v143, v14, v18
	v_dot4c_i32_i8_e32 v143, v15, v10
	;; [unrolled: 3-line block ×3, first 2 shown]
	v_cvt_f32_i32_e32 v11, v158
	v_cvt_f32_i32_e32 v10, v157
	;; [unrolled: 1-line block ×4, first 2 shown]
	v_mov_b32_e32 v8, v6
	v_mov_b32_e32 v9, v20
	v_pk_mul_f32 v[8:9], v[2:3], v[8:9] op_sel_hi:[0,1]
	v_mov_b32_e32 v20, v7
	v_pk_fma_f32 v[8:9], v[8:9], v[10:11], v[90:91]
	v_pk_mul_f32 v[2:3], v[2:3], v[20:21] op_sel:[1,0]
	v_mov_b32_e32 v6, v152
	v_pk_fma_f32 v[2:3], v[2:3], v[12:13], v[8:9]
	v_mov_b32_e32 v7, v106
	v_cvt_f32_i32_e32 v9, v166
	v_cvt_f32_i32_e32 v8, v165
	v_pk_mul_f32 v[4:5], v[4:5], v[6:7] op_sel_hi:[0,1]
	v_cvt_f32_i32_e32 v7, v143
	v_cvt_f32_i32_e32 v6, v25
	v_mov_b32_e32 v106, v153
	v_pk_fma_f32 v[2:3], v[4:5], v[8:9], v[2:3]
	v_pk_mul_f32 v[4:5], v[142:143], v[106:107] op_sel_hi:[0,1]
	v_pk_fma_f32 v[90:91], v[4:5], v[6:7], v[2:3]
	s_barrier
.LBB221_5:                              ;   in Loop: Header=BB221_6 Depth=1
	s_add_i32 s14, s14, 8
	s_addk_i32 s24, 0x100
	v_lshl_add_u64 v[28:29], v[28:29], 0, s[8:9]
	v_lshl_add_u64 v[30:31], v[30:31], 0, s[18:19]
	v_lshl_add_u64 v[32:33], v[32:33], 0, s[18:19]
	v_lshl_add_u64 v[34:35], v[34:35], 0, s[18:19]
	v_lshl_add_u64 v[36:37], v[36:37], 0, s[18:19]
	v_lshl_add_u64 v[38:39], v[38:39], 0, s[18:19]
	v_lshl_add_u64 v[40:41], v[40:41], 0, s[18:19]
	v_lshl_add_u64 v[42:43], v[42:43], 0, s[18:19]
	v_lshl_add_u64 v[44:45], v[44:45], 0, s[18:19]
	v_lshl_add_u64 v[46:47], v[46:47], 0, s[18:19]
	v_lshl_add_u64 v[48:49], v[48:49], 0, s[18:19]
	v_lshl_add_u64 v[50:51], v[50:51], 0, s[18:19]
	v_lshl_add_u64 v[52:53], v[52:53], 0, s[18:19]
	v_lshl_add_u64 v[54:55], v[54:55], 0, s[18:19]
	v_lshl_add_u64 v[56:57], v[56:57], 0, s[18:19]
	v_lshl_add_u64 v[58:59], v[58:59], 0, s[18:19]
	v_lshl_add_u64 v[60:61], v[60:61], 0, s[18:19]
	v_lshl_add_u64 v[62:63], v[62:63], 0, s[18:19]
	v_lshl_add_u64 v[64:65], v[64:65], 0, s[18:19]
	v_lshl_add_u64 v[66:67], v[66:67], 0, s[18:19]
	v_lshl_add_u64 v[68:69], v[68:69], 0, s[18:19]
	v_lshl_add_u64 v[70:71], v[70:71], 0, s[18:19]
	v_lshl_add_u64 v[72:73], v[72:73], 0, s[18:19]
	v_lshl_add_u64 v[74:75], v[74:75], 0, s[18:19]
	v_lshl_add_u64 v[76:77], v[76:77], 0, s[18:19]
	v_lshl_add_u64 v[78:79], v[78:79], 0, s[18:19]
	v_lshl_add_u64 v[80:81], v[80:81], 0, s[18:19]
	v_lshl_add_u64 v[82:83], v[82:83], 0, s[18:19]
	v_lshl_add_u64 v[84:85], v[84:85], 0, s[18:19]
	v_lshl_add_u64 v[86:87], v[86:87], 0, s[18:19]
	v_lshl_add_u64 v[88:89], v[88:89], 0, s[18:19]
	v_lshl_add_u64 v[92:93], v[92:93], 0, s[18:19]
	v_lshl_add_u64 v[94:95], v[94:95], 0, s[18:19]
	v_lshl_add_u64 v[96:97], v[96:97], 0, s[18:19]
	v_lshl_add_u64 v[98:99], v[98:99], 0, s[18:19]
	v_lshl_add_u64 v[100:101], v[100:101], 0, s[18:19]
	s_cmp_ge_i32 s14, s23
	v_lshl_add_u64 v[102:103], v[102:103], 0, s[18:19]
	s_cbranch_scc1 .LBB221_19
.LBB221_6:                              ; =>This Inner Loop Header: Depth=1
	v_lshl_add_u64 v[2:3], v[30:31], 0, s[16:17]
	global_load_dword v10, v[2:3], off offset:6
	v_lshl_add_u64 v[2:3], v[32:33], 0, s[16:17]
	global_load_dword v11, v[2:3], off offset:2
	v_lshl_add_u64 v[4:5], v[36:37], 0, s[16:17]
	v_lshl_add_u64 v[2:3], v[34:35], 0, s[16:17]
	global_load_dword v12, v[4:5], off
	global_load_dword v13, v[2:3], off offset:6
	v_lshl_add_u64 v[2:3], v[38:39], 0, s[16:17]
	v_lshl_add_u64 v[6:7], v[42:43], 0, s[16:17]
	;; [unrolled: 1-line block ×4, first 2 shown]
	global_load_dword v14, v[2:3], off offset:6
	s_nop 0
	global_load_dword v2, v[4:5], off
	s_nop 0
	global_load_dword v6, v[6:7], off offset:6
	s_nop 0
	global_load_dword v7, v[8:9], off
	s_add_i32 s2, s24, 0xffffff80
	s_cmp_lt_i32 s2, s15
	s_waitcnt vmcnt(7)
	v_and_b32_e32 v4, 0xf0f0f0f, v10
	v_lshrrev_b32_e32 v5, 4, v10
	s_waitcnt vmcnt(6)
	v_ashrrev_i32_e32 v3, v24, v11
	v_lshlrev_b32_e32 v11, 4, v3
	s_waitcnt vmcnt(5)
	v_ashrrev_i32_e32 v8, v24, v12
	s_waitcnt vmcnt(4)
	v_and_b32_e32 v9, 0xf0f0f0f, v13
	v_lshrrev_b32_e32 v10, 4, v13
	v_lshlrev_b32_e32 v12, 11, v3
	v_lshlrev_b32_e32 v13, 18, v3
	;; [unrolled: 1-line block ×3, first 2 shown]
	v_lshrrev_b32_e32 v16, 12, v3
	v_lshrrev_b32_e32 v17, 5, v3
	v_lshlrev_b32_e32 v18, 2, v3
	v_lshlrev_b32_e32 v3, 9, v3
	;; [unrolled: 1-line block ×6, first 2 shown]
	v_and_b32_e32 v11, 16, v11
	v_and_b32_e32 v12, 0x1000, v12
	;; [unrolled: 1-line block ×13, first 2 shown]
	v_or3_b32 v11, v11, v4, v12
	v_or3_b32 v4, v4, v13, v15
	;; [unrolled: 1-line block ×5, first 2 shown]
	v_and_b32_e32 v15, 0x1f00, v11
	v_lshlrev_b16_e32 v11, 8, v11
	v_and_b32_sdwa v16, v4, s25 dst_sel:DWORD dst_unused:UNUSED_PAD src0_sel:WORD_1 src1_sel:DWORD
	v_lshlrev_b16_sdwa v4, v141, v4 dst_sel:DWORD dst_unused:UNUSED_PAD src0_sel:DWORD src1_sel:WORD_1
	v_or3_b32 v3, v12, v3, v5
	v_and_b32_e32 v5, 0x1f00, v13
	v_lshlrev_b16_e32 v12, 8, v13
	v_and_b32_sdwa v13, v9, s25 dst_sel:DWORD dst_unused:UNUSED_PAD src0_sel:WORD_1 src1_sel:DWORD
	v_lshlrev_b16_sdwa v9, v141, v9 dst_sel:DWORD dst_unused:UNUSED_PAD src0_sel:DWORD src1_sel:WORD_1
	v_add_u16_e32 v11, 0xf000, v11
	v_add_u16_e32 v4, 0xf000, v4
	v_lshlrev_b16_e32 v18, 8, v3
	v_and_b32_sdwa v19, v3, s27 dst_sel:DWORD dst_unused:UNUSED_PAD src0_sel:WORD_1 src1_sel:DWORD
	v_and_b32_e32 v17, 0x1f00, v3
	v_lshlrev_b16_sdwa v3, v141, v3 dst_sel:DWORD dst_unused:UNUSED_PAD src0_sel:DWORD src1_sel:WORD_1
	v_add_u16_e32 v12, 0xf000, v12
	v_add_u16_e32 v9, 0xf000, v9
	v_or_b32_sdwa v11, v15, v11 dst_sel:DWORD dst_unused:UNUSED_PAD src0_sel:DWORD src1_sel:BYTE_1
	v_or_b32_sdwa v4, v16, v4 dst_sel:DWORD dst_unused:UNUSED_PAD src0_sel:DWORD src1_sel:BYTE_1
	v_add_i16 v15, v18, s26 clamp
	v_add_i16 v16, v19, s26 clamp
	;; [unrolled: 1-line block ×3, first 2 shown]
	v_or_b32_sdwa v5, v5, v12 dst_sel:DWORD dst_unused:UNUSED_PAD src0_sel:DWORD src1_sel:BYTE_1
	v_or_b32_sdwa v9, v13, v9 dst_sel:DWORD dst_unused:UNUSED_PAD src0_sel:DWORD src1_sel:BYTE_1
	v_add_u16_e32 v11, 0xf000, v11
	v_add_u16_sdwa v4, v4, s26 dst_sel:WORD_1 dst_unused:UNUSED_PAD src0_sel:DWORD src1_sel:DWORD
	v_or_b32_sdwa v12, v17, v15 dst_sel:DWORD dst_unused:UNUSED_PAD src0_sel:DWORD src1_sel:BYTE_1
	v_and_b32_e32 v13, 0xffffff00, v16
	v_or_b32_e32 v4, v11, v4
	v_add_u16_e32 v11, 0xf000, v12
	v_or_b32_sdwa v3, v3, v13 dst_sel:WORD_1 dst_unused:UNUSED_PAD src0_sel:BYTE_1 src1_sel:DWORD
	v_lshrrev_b32_e32 v106, 12, v8
	v_or_b32_e32 v3, v11, v3
	v_lshrrev_b32_e32 v107, 5, v8
	ds_write2_b32 v108, v4, v3 offset1:1
	v_lshlrev_b32_e32 v4, 2, v8
	v_and_b32_e32 v106, 16, v106
	v_and_b32_e32 v3, 0x1000, v107
	;; [unrolled: 1-line block ×3, first 2 shown]
	v_lshlrev_b32_e32 v8, 9, v8
	v_and_b32_e32 v10, 0xf0f0f0f, v10
	v_and_b32_e32 v8, 0x10000000, v8
	v_or3_b32 v3, v3, v106, v4
	v_or3_b32 v3, v3, v8, v10
	v_lshlrev_b16_e32 v8, 8, v3
	v_and_b32_e32 v4, 0x1f00, v3
	v_add_i16 v8, v8, s26 clamp
	v_or_b32_sdwa v4, v4, v8 dst_sel:DWORD dst_unused:UNUSED_PAD src0_sel:DWORD src1_sel:BYTE_1
	v_and_b32_sdwa v8, v3, s27 dst_sel:DWORD dst_unused:UNUSED_PAD src0_sel:WORD_1 src1_sel:DWORD
	v_add_i16 v8, v8, s26 clamp
	v_lshlrev_b16_sdwa v3, v141, v3 dst_sel:DWORD dst_unused:UNUSED_PAD src0_sel:DWORD src1_sel:WORD_1
	v_and_b32_e32 v8, 0xffffff00, v8
	v_add_i16 v3, v3, s26 clamp
	v_add_u16_e32 v5, 0xf000, v5
	v_add_u16_sdwa v9, v9, s26 dst_sel:WORD_1 dst_unused:UNUSED_PAD src0_sel:DWORD src1_sel:DWORD
	v_add_u16_e32 v4, 0xf000, v4
	v_or_b32_sdwa v3, v3, v8 dst_sel:WORD_1 dst_unused:UNUSED_PAD src0_sel:BYTE_1 src1_sel:DWORD
	v_or_b32_e32 v5, v5, v9
	v_or_b32_e32 v3, v4, v3
	s_waitcnt vmcnt(2)
	v_ashrrev_i32_e32 v8, v24, v2
	ds_write2_b32 v109, v5, v3 offset1:1
	v_lshlrev_b32_e32 v3, 4, v8
	v_lshlrev_b32_e32 v4, 11, v8
	v_and_b32_e32 v2, 0xf0f0f0f, v14
	v_and_b32_e32 v3, 16, v3
	;; [unrolled: 1-line block ×3, first 2 shown]
	v_or3_b32 v3, v3, v2, v4
	v_lshlrev_b32_e32 v4, 18, v8
	v_lshlrev_b32_e32 v5, 25, v8
	v_and_b32_e32 v4, 0x100000, v4
	v_and_b32_e32 v5, 0x10000000, v5
	v_or3_b32 v2, v2, v4, v5
	v_and_b32_e32 v4, 0x1f00, v3
	v_lshlrev_b16_e32 v3, 8, v3
	v_add_u16_e32 v3, 0xf000, v3
	v_or_b32_sdwa v3, v4, v3 dst_sel:DWORD dst_unused:UNUSED_PAD src0_sel:DWORD src1_sel:BYTE_1
	v_add_u16_e32 v9, 0xf000, v3
	v_and_b32_sdwa v3, v2, s25 dst_sel:DWORD dst_unused:UNUSED_PAD src0_sel:WORD_1 src1_sel:DWORD
	v_lshlrev_b16_sdwa v2, v141, v2 dst_sel:DWORD dst_unused:UNUSED_PAD src0_sel:DWORD src1_sel:WORD_1
	v_add_u16_e32 v2, 0xf000, v2
	v_or_b32_sdwa v2, v3, v2 dst_sel:DWORD dst_unused:UNUSED_PAD src0_sel:DWORD src1_sel:BYTE_1
	v_lshl_add_u64 v[4:5], v[48:49], 0, s[16:17]
	v_add_u16_sdwa v10, v2, s26 dst_sel:WORD_1 dst_unused:UNUSED_PAD src0_sel:DWORD src1_sel:DWORD
	v_lshl_add_u64 v[2:3], v[46:47], 0, s[16:17]
	global_load_dword v11, v[4:5], off
	global_load_dword v12, v[2:3], off offset:6
	v_or_b32_e32 v2, v9, v10
	v_lshrrev_b32_e32 v4, 12, v8
	v_lshrrev_b32_e32 v5, 5, v8
	v_lshlrev_b32_e32 v9, 2, v8
	v_lshrrev_b32_e32 v3, 4, v14
	v_and_b32_e32 v4, 16, v4
	v_and_b32_e32 v5, 0x1000, v5
	;; [unrolled: 1-line block ×3, first 2 shown]
	v_lshlrev_b32_e32 v8, 9, v8
	v_and_b32_e32 v3, 0xf0f0f0f, v3
	v_and_b32_e32 v8, 0x10000000, v8
	v_or3_b32 v4, v5, v4, v9
	v_or3_b32 v3, v4, v8, v3
	v_lshlrev_b16_e32 v5, 8, v3
	v_and_b32_e32 v4, 0x1f00, v3
	v_add_i16 v5, v5, s26 clamp
	v_or_b32_sdwa v4, v4, v5 dst_sel:DWORD dst_unused:UNUSED_PAD src0_sel:DWORD src1_sel:BYTE_1
	v_and_b32_sdwa v5, v3, s27 dst_sel:DWORD dst_unused:UNUSED_PAD src0_sel:WORD_1 src1_sel:DWORD
	v_add_i16 v5, v5, s26 clamp
	v_lshlrev_b16_sdwa v3, v141, v3 dst_sel:DWORD dst_unused:UNUSED_PAD src0_sel:DWORD src1_sel:WORD_1
	v_and_b32_e32 v5, 0xffffff00, v5
	v_add_i16 v3, v3, s26 clamp
	v_add_u16_e32 v4, 0xf000, v4
	v_or_b32_sdwa v3, v3, v5 dst_sel:WORD_1 dst_unused:UNUSED_PAD src0_sel:BYTE_1 src1_sel:DWORD
	s_waitcnt vmcnt(2)
	v_ashrrev_i32_e32 v7, v24, v7
	v_or_b32_e32 v3, v4, v3
	ds_write2_b32 v110, v2, v3 offset1:1
	v_lshlrev_b32_e32 v3, 4, v7
	v_lshlrev_b32_e32 v4, 11, v7
	v_and_b32_e32 v2, 0xf0f0f0f, v6
	v_and_b32_e32 v3, 16, v3
	;; [unrolled: 1-line block ×3, first 2 shown]
	v_or3_b32 v3, v3, v2, v4
	v_lshlrev_b32_e32 v4, 18, v7
	v_lshlrev_b32_e32 v5, 25, v7
	v_and_b32_e32 v4, 0x100000, v4
	v_and_b32_e32 v5, 0x10000000, v5
	v_or3_b32 v2, v2, v4, v5
	v_and_b32_e32 v4, 0x1f00, v3
	v_lshlrev_b16_e32 v3, 8, v3
	v_add_u16_e32 v3, 0xf000, v3
	v_or_b32_sdwa v3, v4, v3 dst_sel:DWORD dst_unused:UNUSED_PAD src0_sel:DWORD src1_sel:BYTE_1
	v_add_u16_e32 v8, 0xf000, v3
	v_and_b32_sdwa v3, v2, s25 dst_sel:DWORD dst_unused:UNUSED_PAD src0_sel:WORD_1 src1_sel:DWORD
	v_lshlrev_b16_sdwa v2, v141, v2 dst_sel:DWORD dst_unused:UNUSED_PAD src0_sel:DWORD src1_sel:WORD_1
	v_add_u16_e32 v2, 0xf000, v2
	v_or_b32_sdwa v2, v3, v2 dst_sel:DWORD dst_unused:UNUSED_PAD src0_sel:DWORD src1_sel:BYTE_1
	v_lshl_add_u64 v[4:5], v[52:53], 0, s[16:17]
	v_add_u16_sdwa v9, v2, s26 dst_sel:WORD_1 dst_unused:UNUSED_PAD src0_sel:DWORD src1_sel:DWORD
	v_lshl_add_u64 v[2:3], v[50:51], 0, s[16:17]
	global_load_dword v10, v[4:5], off
	global_load_dword v13, v[2:3], off offset:6
	v_lshrrev_b32_e32 v3, 4, v6
	v_lshrrev_b32_e32 v4, 12, v7
	;; [unrolled: 1-line block ×3, first 2 shown]
	v_lshlrev_b32_e32 v6, 2, v7
	v_and_b32_e32 v4, 16, v4
	v_and_b32_e32 v5, 0x1000, v5
	;; [unrolled: 1-line block ×3, first 2 shown]
	v_lshlrev_b32_e32 v7, 9, v7
	v_and_b32_e32 v3, 0xf0f0f0f, v3
	v_and_b32_e32 v7, 0x10000000, v7
	v_or3_b32 v4, v5, v4, v6
	v_or3_b32 v3, v4, v7, v3
	v_lshlrev_b16_e32 v5, 8, v3
	v_and_b32_e32 v4, 0x1f00, v3
	v_add_i16 v5, v5, s26 clamp
	v_or_b32_sdwa v4, v4, v5 dst_sel:DWORD dst_unused:UNUSED_PAD src0_sel:DWORD src1_sel:BYTE_1
	v_and_b32_sdwa v5, v3, s27 dst_sel:DWORD dst_unused:UNUSED_PAD src0_sel:WORD_1 src1_sel:DWORD
	v_add_i16 v5, v5, s26 clamp
	v_lshlrev_b16_sdwa v3, v141, v3 dst_sel:DWORD dst_unused:UNUSED_PAD src0_sel:DWORD src1_sel:WORD_1
	v_and_b32_e32 v5, 0xffffff00, v5
	v_add_i16 v3, v3, s26 clamp
	v_add_u16_e32 v4, 0xf000, v4
	v_or_b32_sdwa v3, v3, v5 dst_sel:WORD_1 dst_unused:UNUSED_PAD src0_sel:BYTE_1 src1_sel:DWORD
	v_or_b32_e32 v2, v8, v9
	v_or_b32_e32 v3, v4, v3
	ds_write2_b32 v111, v2, v3 offset1:1
	s_waitcnt vmcnt(3)
	v_ashrrev_i32_e32 v6, v24, v11
	v_lshlrev_b32_e32 v3, 4, v6
	v_lshlrev_b32_e32 v4, 11, v6
	s_waitcnt vmcnt(2)
	v_and_b32_e32 v2, 0xf0f0f0f, v12
	v_and_b32_e32 v3, 16, v3
	v_and_b32_e32 v4, 0x1000, v4
	v_or3_b32 v3, v3, v2, v4
	v_lshlrev_b32_e32 v4, 18, v6
	v_lshlrev_b32_e32 v5, 25, v6
	v_and_b32_e32 v4, 0x100000, v4
	v_and_b32_e32 v5, 0x10000000, v5
	v_or3_b32 v2, v2, v4, v5
	v_and_b32_e32 v4, 0x1f00, v3
	v_lshlrev_b16_e32 v3, 8, v3
	v_add_u16_e32 v3, 0xf000, v3
	v_or_b32_sdwa v3, v4, v3 dst_sel:DWORD dst_unused:UNUSED_PAD src0_sel:DWORD src1_sel:BYTE_1
	v_add_u16_e32 v7, 0xf000, v3
	v_and_b32_sdwa v3, v2, s25 dst_sel:DWORD dst_unused:UNUSED_PAD src0_sel:WORD_1 src1_sel:DWORD
	v_lshlrev_b16_sdwa v2, v141, v2 dst_sel:DWORD dst_unused:UNUSED_PAD src0_sel:DWORD src1_sel:WORD_1
	v_add_u16_e32 v2, 0xf000, v2
	v_or_b32_sdwa v2, v3, v2 dst_sel:DWORD dst_unused:UNUSED_PAD src0_sel:DWORD src1_sel:BYTE_1
	v_lshl_add_u64 v[4:5], v[56:57], 0, s[16:17]
	v_add_u16_sdwa v8, v2, s26 dst_sel:WORD_1 dst_unused:UNUSED_PAD src0_sel:DWORD src1_sel:DWORD
	v_lshl_add_u64 v[2:3], v[54:55], 0, s[16:17]
	global_load_dword v9, v[4:5], off
	global_load_dword v11, v[2:3], off offset:6
	v_or_b32_e32 v2, v7, v8
	v_lshrrev_b32_e32 v4, 12, v6
	v_lshrrev_b32_e32 v5, 5, v6
	v_lshlrev_b32_e32 v7, 2, v6
	v_lshrrev_b32_e32 v3, 4, v12
	v_and_b32_e32 v4, 16, v4
	v_and_b32_e32 v5, 0x1000, v5
	v_and_b32_e32 v7, 0x100000, v7
	v_lshlrev_b32_e32 v6, 9, v6
	v_and_b32_e32 v3, 0xf0f0f0f, v3
	v_and_b32_e32 v6, 0x10000000, v6
	v_or3_b32 v4, v5, v4, v7
	v_or3_b32 v3, v4, v6, v3
	v_lshlrev_b16_e32 v5, 8, v3
	v_and_b32_e32 v4, 0x1f00, v3
	v_add_i16 v5, v5, s26 clamp
	v_or_b32_sdwa v4, v4, v5 dst_sel:DWORD dst_unused:UNUSED_PAD src0_sel:DWORD src1_sel:BYTE_1
	v_and_b32_sdwa v5, v3, s27 dst_sel:DWORD dst_unused:UNUSED_PAD src0_sel:WORD_1 src1_sel:DWORD
	v_add_i16 v5, v5, s26 clamp
	v_lshlrev_b16_sdwa v3, v141, v3 dst_sel:DWORD dst_unused:UNUSED_PAD src0_sel:DWORD src1_sel:WORD_1
	v_and_b32_e32 v5, 0xffffff00, v5
	v_add_i16 v3, v3, s26 clamp
	v_add_u16_e32 v4, 0xf000, v4
	v_or_b32_sdwa v3, v3, v5 dst_sel:WORD_1 dst_unused:UNUSED_PAD src0_sel:BYTE_1 src1_sel:DWORD
	s_waitcnt vmcnt(3)
	v_ashrrev_i32_e32 v6, v24, v10
	v_or_b32_e32 v3, v4, v3
	ds_write2_b32 v112, v2, v3 offset1:1
	v_lshlrev_b32_e32 v3, 4, v6
	v_lshlrev_b32_e32 v4, 11, v6
	s_waitcnt vmcnt(2)
	v_and_b32_e32 v2, 0xf0f0f0f, v13
	v_and_b32_e32 v3, 16, v3
	v_and_b32_e32 v4, 0x1000, v4
	v_or3_b32 v3, v3, v2, v4
	v_lshlrev_b32_e32 v4, 18, v6
	v_lshlrev_b32_e32 v5, 25, v6
	v_and_b32_e32 v4, 0x100000, v4
	v_and_b32_e32 v5, 0x10000000, v5
	v_or3_b32 v2, v2, v4, v5
	v_and_b32_e32 v4, 0x1f00, v3
	v_lshlrev_b16_e32 v3, 8, v3
	v_add_u16_e32 v3, 0xf000, v3
	v_or_b32_sdwa v3, v4, v3 dst_sel:DWORD dst_unused:UNUSED_PAD src0_sel:DWORD src1_sel:BYTE_1
	v_add_u16_e32 v7, 0xf000, v3
	v_and_b32_sdwa v3, v2, s25 dst_sel:DWORD dst_unused:UNUSED_PAD src0_sel:WORD_1 src1_sel:DWORD
	v_lshlrev_b16_sdwa v2, v141, v2 dst_sel:DWORD dst_unused:UNUSED_PAD src0_sel:DWORD src1_sel:WORD_1
	v_add_u16_e32 v2, 0xf000, v2
	v_or_b32_sdwa v2, v3, v2 dst_sel:DWORD dst_unused:UNUSED_PAD src0_sel:DWORD src1_sel:BYTE_1
	v_lshl_add_u64 v[4:5], v[60:61], 0, s[16:17]
	v_add_u16_sdwa v8, v2, s26 dst_sel:WORD_1 dst_unused:UNUSED_PAD src0_sel:DWORD src1_sel:DWORD
	v_lshl_add_u64 v[2:3], v[58:59], 0, s[16:17]
	global_load_dword v10, v[4:5], off
	global_load_dword v12, v[2:3], off offset:6
	v_or_b32_e32 v2, v7, v8
	v_lshrrev_b32_e32 v4, 12, v6
	v_lshrrev_b32_e32 v5, 5, v6
	v_lshlrev_b32_e32 v7, 2, v6
	v_lshrrev_b32_e32 v3, 4, v13
	v_and_b32_e32 v4, 16, v4
	v_and_b32_e32 v5, 0x1000, v5
	v_and_b32_e32 v7, 0x100000, v7
	v_lshlrev_b32_e32 v6, 9, v6
	v_and_b32_e32 v3, 0xf0f0f0f, v3
	v_and_b32_e32 v6, 0x10000000, v6
	v_or3_b32 v4, v5, v4, v7
	v_or3_b32 v3, v4, v6, v3
	v_lshlrev_b16_e32 v5, 8, v3
	v_and_b32_e32 v4, 0x1f00, v3
	v_add_i16 v5, v5, s26 clamp
	v_or_b32_sdwa v4, v4, v5 dst_sel:DWORD dst_unused:UNUSED_PAD src0_sel:DWORD src1_sel:BYTE_1
	v_and_b32_sdwa v5, v3, s27 dst_sel:DWORD dst_unused:UNUSED_PAD src0_sel:WORD_1 src1_sel:DWORD
	v_add_i16 v5, v5, s26 clamp
	v_lshlrev_b16_sdwa v3, v141, v3 dst_sel:DWORD dst_unused:UNUSED_PAD src0_sel:DWORD src1_sel:WORD_1
	v_and_b32_e32 v5, 0xffffff00, v5
	v_add_i16 v3, v3, s26 clamp
	v_add_u16_e32 v4, 0xf000, v4
	v_or_b32_sdwa v3, v3, v5 dst_sel:WORD_1 dst_unused:UNUSED_PAD src0_sel:BYTE_1 src1_sel:DWORD
	s_waitcnt vmcnt(3)
	v_ashrrev_i32_e32 v6, v24, v9
	v_or_b32_e32 v3, v4, v3
	ds_write2_b32 v113, v2, v3 offset1:1
	v_lshlrev_b32_e32 v3, 4, v6
	v_lshlrev_b32_e32 v4, 11, v6
	s_waitcnt vmcnt(2)
	v_and_b32_e32 v2, 0xf0f0f0f, v11
	v_and_b32_e32 v3, 16, v3
	v_and_b32_e32 v4, 0x1000, v4
	v_or3_b32 v3, v3, v2, v4
	v_lshlrev_b32_e32 v4, 18, v6
	v_lshlrev_b32_e32 v5, 25, v6
	v_and_b32_e32 v4, 0x100000, v4
	v_and_b32_e32 v5, 0x10000000, v5
	v_or3_b32 v2, v2, v4, v5
	v_and_b32_e32 v4, 0x1f00, v3
	v_lshlrev_b16_e32 v3, 8, v3
	v_add_u16_e32 v3, 0xf000, v3
	v_or_b32_sdwa v3, v4, v3 dst_sel:DWORD dst_unused:UNUSED_PAD src0_sel:DWORD src1_sel:BYTE_1
	v_add_u16_e32 v7, 0xf000, v3
	v_and_b32_sdwa v3, v2, s25 dst_sel:DWORD dst_unused:UNUSED_PAD src0_sel:WORD_1 src1_sel:DWORD
	v_lshlrev_b16_sdwa v2, v141, v2 dst_sel:DWORD dst_unused:UNUSED_PAD src0_sel:DWORD src1_sel:WORD_1
	v_add_u16_e32 v2, 0xf000, v2
	v_or_b32_sdwa v2, v3, v2 dst_sel:DWORD dst_unused:UNUSED_PAD src0_sel:DWORD src1_sel:BYTE_1
	v_lshl_add_u64 v[4:5], v[64:65], 0, s[16:17]
	v_add_u16_sdwa v8, v2, s26 dst_sel:WORD_1 dst_unused:UNUSED_PAD src0_sel:DWORD src1_sel:DWORD
	v_lshl_add_u64 v[2:3], v[62:63], 0, s[16:17]
	global_load_dword v9, v[4:5], off
	global_load_dword v13, v[2:3], off offset:6
	v_or_b32_e32 v2, v7, v8
	v_lshrrev_b32_e32 v4, 12, v6
	v_lshrrev_b32_e32 v5, 5, v6
	v_lshlrev_b32_e32 v7, 2, v6
	v_lshrrev_b32_e32 v3, 4, v11
	v_and_b32_e32 v4, 16, v4
	v_and_b32_e32 v5, 0x1000, v5
	v_and_b32_e32 v7, 0x100000, v7
	v_lshlrev_b32_e32 v6, 9, v6
	v_and_b32_e32 v3, 0xf0f0f0f, v3
	v_and_b32_e32 v6, 0x10000000, v6
	v_or3_b32 v4, v5, v4, v7
	v_or3_b32 v3, v4, v6, v3
	v_lshlrev_b16_e32 v5, 8, v3
	v_and_b32_e32 v4, 0x1f00, v3
	v_add_i16 v5, v5, s26 clamp
	v_or_b32_sdwa v4, v4, v5 dst_sel:DWORD dst_unused:UNUSED_PAD src0_sel:DWORD src1_sel:BYTE_1
	v_and_b32_sdwa v5, v3, s27 dst_sel:DWORD dst_unused:UNUSED_PAD src0_sel:WORD_1 src1_sel:DWORD
	v_add_i16 v5, v5, s26 clamp
	v_lshlrev_b16_sdwa v3, v141, v3 dst_sel:DWORD dst_unused:UNUSED_PAD src0_sel:DWORD src1_sel:WORD_1
	v_and_b32_e32 v5, 0xffffff00, v5
	v_add_i16 v3, v3, s26 clamp
	v_add_u16_e32 v4, 0xf000, v4
	v_or_b32_sdwa v3, v3, v5 dst_sel:WORD_1 dst_unused:UNUSED_PAD src0_sel:BYTE_1 src1_sel:DWORD
	s_waitcnt vmcnt(3)
	v_ashrrev_i32_e32 v6, v24, v10
	v_or_b32_e32 v3, v4, v3
	ds_write2_b32 v114, v2, v3 offset1:1
	v_lshlrev_b32_e32 v3, 4, v6
	v_lshlrev_b32_e32 v4, 11, v6
	s_waitcnt vmcnt(2)
	v_and_b32_e32 v2, 0xf0f0f0f, v12
	v_and_b32_e32 v3, 16, v3
	v_and_b32_e32 v4, 0x1000, v4
	v_or3_b32 v3, v3, v2, v4
	v_lshlrev_b32_e32 v4, 18, v6
	v_lshlrev_b32_e32 v5, 25, v6
	v_and_b32_e32 v4, 0x100000, v4
	v_and_b32_e32 v5, 0x10000000, v5
	v_or3_b32 v2, v2, v4, v5
	v_and_b32_e32 v4, 0x1f00, v3
	v_lshlrev_b16_e32 v3, 8, v3
	v_add_u16_e32 v3, 0xf000, v3
	v_or_b32_sdwa v3, v4, v3 dst_sel:DWORD dst_unused:UNUSED_PAD src0_sel:DWORD src1_sel:BYTE_1
	v_add_u16_e32 v7, 0xf000, v3
	v_and_b32_sdwa v3, v2, s25 dst_sel:DWORD dst_unused:UNUSED_PAD src0_sel:WORD_1 src1_sel:DWORD
	v_lshlrev_b16_sdwa v2, v141, v2 dst_sel:DWORD dst_unused:UNUSED_PAD src0_sel:DWORD src1_sel:WORD_1
	v_add_u16_e32 v2, 0xf000, v2
	v_or_b32_sdwa v2, v3, v2 dst_sel:DWORD dst_unused:UNUSED_PAD src0_sel:DWORD src1_sel:BYTE_1
	v_lshl_add_u64 v[4:5], v[68:69], 0, s[16:17]
	v_add_u16_sdwa v8, v2, s26 dst_sel:WORD_1 dst_unused:UNUSED_PAD src0_sel:DWORD src1_sel:DWORD
	v_lshl_add_u64 v[2:3], v[66:67], 0, s[16:17]
	global_load_dword v10, v[4:5], off
	global_load_dword v11, v[2:3], off offset:6
	v_or_b32_e32 v2, v7, v8
	v_lshrrev_b32_e32 v4, 12, v6
	v_lshrrev_b32_e32 v5, 5, v6
	v_lshlrev_b32_e32 v7, 2, v6
	v_lshrrev_b32_e32 v3, 4, v12
	v_and_b32_e32 v4, 16, v4
	v_and_b32_e32 v5, 0x1000, v5
	v_and_b32_e32 v7, 0x100000, v7
	v_lshlrev_b32_e32 v6, 9, v6
	v_and_b32_e32 v3, 0xf0f0f0f, v3
	v_and_b32_e32 v6, 0x10000000, v6
	v_or3_b32 v4, v5, v4, v7
	v_or3_b32 v3, v4, v6, v3
	v_lshlrev_b16_e32 v5, 8, v3
	v_and_b32_e32 v4, 0x1f00, v3
	v_add_i16 v5, v5, s26 clamp
	v_or_b32_sdwa v4, v4, v5 dst_sel:DWORD dst_unused:UNUSED_PAD src0_sel:DWORD src1_sel:BYTE_1
	v_and_b32_sdwa v5, v3, s27 dst_sel:DWORD dst_unused:UNUSED_PAD src0_sel:WORD_1 src1_sel:DWORD
	v_add_i16 v5, v5, s26 clamp
	v_lshlrev_b16_sdwa v3, v141, v3 dst_sel:DWORD dst_unused:UNUSED_PAD src0_sel:DWORD src1_sel:WORD_1
	v_and_b32_e32 v5, 0xffffff00, v5
	v_add_i16 v3, v3, s26 clamp
	v_add_u16_e32 v4, 0xf000, v4
	v_or_b32_sdwa v3, v3, v5 dst_sel:WORD_1 dst_unused:UNUSED_PAD src0_sel:BYTE_1 src1_sel:DWORD
	s_waitcnt vmcnt(3)
	v_ashrrev_i32_e32 v6, v24, v9
	v_or_b32_e32 v3, v4, v3
	ds_write2_b32 v115, v2, v3 offset1:1
	v_lshlrev_b32_e32 v3, 4, v6
	v_lshlrev_b32_e32 v4, 11, v6
	s_waitcnt vmcnt(2)
	v_and_b32_e32 v2, 0xf0f0f0f, v13
	v_and_b32_e32 v3, 16, v3
	v_and_b32_e32 v4, 0x1000, v4
	v_or3_b32 v3, v3, v2, v4
	v_lshlrev_b32_e32 v4, 18, v6
	v_lshlrev_b32_e32 v5, 25, v6
	v_and_b32_e32 v4, 0x100000, v4
	v_and_b32_e32 v5, 0x10000000, v5
	v_or3_b32 v2, v2, v4, v5
	v_and_b32_e32 v4, 0x1f00, v3
	v_lshlrev_b16_e32 v3, 8, v3
	v_add_u16_e32 v3, 0xf000, v3
	v_or_b32_sdwa v3, v4, v3 dst_sel:DWORD dst_unused:UNUSED_PAD src0_sel:DWORD src1_sel:BYTE_1
	v_add_u16_e32 v7, 0xf000, v3
	v_and_b32_sdwa v3, v2, s25 dst_sel:DWORD dst_unused:UNUSED_PAD src0_sel:WORD_1 src1_sel:DWORD
	v_lshlrev_b16_sdwa v2, v141, v2 dst_sel:DWORD dst_unused:UNUSED_PAD src0_sel:DWORD src1_sel:WORD_1
	v_add_u16_e32 v2, 0xf000, v2
	v_or_b32_sdwa v2, v3, v2 dst_sel:DWORD dst_unused:UNUSED_PAD src0_sel:DWORD src1_sel:BYTE_1
	v_lshl_add_u64 v[4:5], v[72:73], 0, s[16:17]
	v_add_u16_sdwa v8, v2, s26 dst_sel:WORD_1 dst_unused:UNUSED_PAD src0_sel:DWORD src1_sel:DWORD
	v_lshl_add_u64 v[2:3], v[70:71], 0, s[16:17]
	global_load_dword v9, v[4:5], off
	global_load_dword v12, v[2:3], off offset:6
	v_or_b32_e32 v2, v7, v8
	v_lshrrev_b32_e32 v4, 12, v6
	v_lshrrev_b32_e32 v5, 5, v6
	v_lshlrev_b32_e32 v7, 2, v6
	v_lshrrev_b32_e32 v3, 4, v13
	v_and_b32_e32 v4, 16, v4
	v_and_b32_e32 v5, 0x1000, v5
	v_and_b32_e32 v7, 0x100000, v7
	v_lshlrev_b32_e32 v6, 9, v6
	v_and_b32_e32 v3, 0xf0f0f0f, v3
	v_and_b32_e32 v6, 0x10000000, v6
	v_or3_b32 v4, v5, v4, v7
	v_or3_b32 v3, v4, v6, v3
	v_lshlrev_b16_e32 v5, 8, v3
	v_and_b32_e32 v4, 0x1f00, v3
	v_add_i16 v5, v5, s26 clamp
	v_or_b32_sdwa v4, v4, v5 dst_sel:DWORD dst_unused:UNUSED_PAD src0_sel:DWORD src1_sel:BYTE_1
	v_and_b32_sdwa v5, v3, s27 dst_sel:DWORD dst_unused:UNUSED_PAD src0_sel:WORD_1 src1_sel:DWORD
	v_add_i16 v5, v5, s26 clamp
	v_lshlrev_b16_sdwa v3, v141, v3 dst_sel:DWORD dst_unused:UNUSED_PAD src0_sel:DWORD src1_sel:WORD_1
	v_and_b32_e32 v5, 0xffffff00, v5
	v_add_i16 v3, v3, s26 clamp
	v_add_u16_e32 v4, 0xf000, v4
	v_or_b32_sdwa v3, v3, v5 dst_sel:WORD_1 dst_unused:UNUSED_PAD src0_sel:BYTE_1 src1_sel:DWORD
	s_waitcnt vmcnt(3)
	v_ashrrev_i32_e32 v6, v24, v10
	v_or_b32_e32 v3, v4, v3
	ds_write2_b32 v116, v2, v3 offset1:1
	v_lshlrev_b32_e32 v3, 4, v6
	v_lshlrev_b32_e32 v4, 11, v6
	s_waitcnt vmcnt(2)
	v_and_b32_e32 v2, 0xf0f0f0f, v11
	v_and_b32_e32 v3, 16, v3
	v_and_b32_e32 v4, 0x1000, v4
	v_or3_b32 v3, v3, v2, v4
	v_lshlrev_b32_e32 v4, 18, v6
	v_lshlrev_b32_e32 v5, 25, v6
	v_and_b32_e32 v4, 0x100000, v4
	v_and_b32_e32 v5, 0x10000000, v5
	v_or3_b32 v2, v2, v4, v5
	v_and_b32_e32 v4, 0x1f00, v3
	v_lshlrev_b16_e32 v3, 8, v3
	v_add_u16_e32 v3, 0xf000, v3
	v_or_b32_sdwa v3, v4, v3 dst_sel:DWORD dst_unused:UNUSED_PAD src0_sel:DWORD src1_sel:BYTE_1
	v_add_u16_e32 v7, 0xf000, v3
	v_and_b32_sdwa v3, v2, s25 dst_sel:DWORD dst_unused:UNUSED_PAD src0_sel:WORD_1 src1_sel:DWORD
	v_lshlrev_b16_sdwa v2, v141, v2 dst_sel:DWORD dst_unused:UNUSED_PAD src0_sel:DWORD src1_sel:WORD_1
	v_add_u16_e32 v2, 0xf000, v2
	v_or_b32_sdwa v2, v3, v2 dst_sel:DWORD dst_unused:UNUSED_PAD src0_sel:DWORD src1_sel:BYTE_1
	v_lshl_add_u64 v[4:5], v[76:77], 0, s[16:17]
	v_add_u16_sdwa v8, v2, s26 dst_sel:WORD_1 dst_unused:UNUSED_PAD src0_sel:DWORD src1_sel:DWORD
	v_lshl_add_u64 v[2:3], v[74:75], 0, s[16:17]
	global_load_dword v10, v[4:5], off
	global_load_dword v13, v[2:3], off offset:6
	v_or_b32_e32 v2, v7, v8
	v_lshrrev_b32_e32 v4, 12, v6
	v_lshrrev_b32_e32 v5, 5, v6
	v_lshlrev_b32_e32 v7, 2, v6
	v_lshrrev_b32_e32 v3, 4, v11
	v_and_b32_e32 v4, 16, v4
	v_and_b32_e32 v5, 0x1000, v5
	v_and_b32_e32 v7, 0x100000, v7
	v_lshlrev_b32_e32 v6, 9, v6
	v_and_b32_e32 v3, 0xf0f0f0f, v3
	v_and_b32_e32 v6, 0x10000000, v6
	v_or3_b32 v4, v5, v4, v7
	v_or3_b32 v3, v4, v6, v3
	v_lshlrev_b16_e32 v5, 8, v3
	v_and_b32_e32 v4, 0x1f00, v3
	v_add_i16 v5, v5, s26 clamp
	v_or_b32_sdwa v4, v4, v5 dst_sel:DWORD dst_unused:UNUSED_PAD src0_sel:DWORD src1_sel:BYTE_1
	v_and_b32_sdwa v5, v3, s27 dst_sel:DWORD dst_unused:UNUSED_PAD src0_sel:WORD_1 src1_sel:DWORD
	v_add_i16 v5, v5, s26 clamp
	v_lshlrev_b16_sdwa v3, v141, v3 dst_sel:DWORD dst_unused:UNUSED_PAD src0_sel:DWORD src1_sel:WORD_1
	v_and_b32_e32 v5, 0xffffff00, v5
	v_add_i16 v3, v3, s26 clamp
	v_add_u16_e32 v4, 0xf000, v4
	v_or_b32_sdwa v3, v3, v5 dst_sel:WORD_1 dst_unused:UNUSED_PAD src0_sel:BYTE_1 src1_sel:DWORD
	s_waitcnt vmcnt(3)
	v_ashrrev_i32_e32 v6, v24, v9
	v_or_b32_e32 v3, v4, v3
	ds_write2_b32 v117, v2, v3 offset1:1
	v_lshlrev_b32_e32 v3, 4, v6
	v_lshlrev_b32_e32 v4, 11, v6
	s_waitcnt vmcnt(2)
	v_and_b32_e32 v2, 0xf0f0f0f, v12
	v_and_b32_e32 v3, 16, v3
	v_and_b32_e32 v4, 0x1000, v4
	v_or3_b32 v3, v3, v2, v4
	v_lshlrev_b32_e32 v4, 18, v6
	v_lshlrev_b32_e32 v5, 25, v6
	v_and_b32_e32 v4, 0x100000, v4
	v_and_b32_e32 v5, 0x10000000, v5
	v_or3_b32 v2, v2, v4, v5
	v_and_b32_e32 v4, 0x1f00, v3
	v_lshlrev_b16_e32 v3, 8, v3
	v_add_u16_e32 v3, 0xf000, v3
	v_or_b32_sdwa v3, v4, v3 dst_sel:DWORD dst_unused:UNUSED_PAD src0_sel:DWORD src1_sel:BYTE_1
	v_add_u16_e32 v7, 0xf000, v3
	v_and_b32_sdwa v3, v2, s25 dst_sel:DWORD dst_unused:UNUSED_PAD src0_sel:WORD_1 src1_sel:DWORD
	v_lshlrev_b16_sdwa v2, v141, v2 dst_sel:DWORD dst_unused:UNUSED_PAD src0_sel:DWORD src1_sel:WORD_1
	v_add_u16_e32 v2, 0xf000, v2
	v_or_b32_sdwa v2, v3, v2 dst_sel:DWORD dst_unused:UNUSED_PAD src0_sel:DWORD src1_sel:BYTE_1
	v_lshl_add_u64 v[4:5], v[80:81], 0, s[16:17]
	v_add_u16_sdwa v8, v2, s26 dst_sel:WORD_1 dst_unused:UNUSED_PAD src0_sel:DWORD src1_sel:DWORD
	v_lshl_add_u64 v[2:3], v[78:79], 0, s[16:17]
	global_load_dword v9, v[4:5], off
	global_load_dword v11, v[2:3], off offset:6
	v_or_b32_e32 v2, v7, v8
	v_lshrrev_b32_e32 v4, 12, v6
	v_lshrrev_b32_e32 v5, 5, v6
	v_lshlrev_b32_e32 v7, 2, v6
	v_lshrrev_b32_e32 v3, 4, v12
	v_and_b32_e32 v4, 16, v4
	v_and_b32_e32 v5, 0x1000, v5
	v_and_b32_e32 v7, 0x100000, v7
	v_lshlrev_b32_e32 v6, 9, v6
	v_and_b32_e32 v3, 0xf0f0f0f, v3
	v_and_b32_e32 v6, 0x10000000, v6
	v_or3_b32 v4, v5, v4, v7
	v_or3_b32 v3, v4, v6, v3
	v_lshlrev_b16_e32 v5, 8, v3
	v_and_b32_e32 v4, 0x1f00, v3
	v_add_i16 v5, v5, s26 clamp
	v_or_b32_sdwa v4, v4, v5 dst_sel:DWORD dst_unused:UNUSED_PAD src0_sel:DWORD src1_sel:BYTE_1
	v_and_b32_sdwa v5, v3, s27 dst_sel:DWORD dst_unused:UNUSED_PAD src0_sel:WORD_1 src1_sel:DWORD
	v_add_i16 v5, v5, s26 clamp
	v_lshlrev_b16_sdwa v3, v141, v3 dst_sel:DWORD dst_unused:UNUSED_PAD src0_sel:DWORD src1_sel:WORD_1
	v_and_b32_e32 v5, 0xffffff00, v5
	v_add_i16 v3, v3, s26 clamp
	v_add_u16_e32 v4, 0xf000, v4
	v_or_b32_sdwa v3, v3, v5 dst_sel:WORD_1 dst_unused:UNUSED_PAD src0_sel:BYTE_1 src1_sel:DWORD
	s_waitcnt vmcnt(3)
	v_ashrrev_i32_e32 v6, v24, v10
	v_or_b32_e32 v3, v4, v3
	ds_write2_b32 v118, v2, v3 offset1:1
	v_lshlrev_b32_e32 v3, 4, v6
	v_lshlrev_b32_e32 v4, 11, v6
	s_waitcnt vmcnt(2)
	v_and_b32_e32 v2, 0xf0f0f0f, v13
	v_and_b32_e32 v3, 16, v3
	v_and_b32_e32 v4, 0x1000, v4
	v_or3_b32 v3, v3, v2, v4
	v_lshlrev_b32_e32 v4, 18, v6
	v_lshlrev_b32_e32 v5, 25, v6
	v_and_b32_e32 v4, 0x100000, v4
	v_and_b32_e32 v5, 0x10000000, v5
	v_or3_b32 v2, v2, v4, v5
	v_and_b32_e32 v4, 0x1f00, v3
	v_lshlrev_b16_e32 v3, 8, v3
	v_add_u16_e32 v3, 0xf000, v3
	v_or_b32_sdwa v3, v4, v3 dst_sel:DWORD dst_unused:UNUSED_PAD src0_sel:DWORD src1_sel:BYTE_1
	v_add_u16_e32 v7, 0xf000, v3
	v_and_b32_sdwa v3, v2, s25 dst_sel:DWORD dst_unused:UNUSED_PAD src0_sel:WORD_1 src1_sel:DWORD
	v_lshlrev_b16_sdwa v2, v141, v2 dst_sel:DWORD dst_unused:UNUSED_PAD src0_sel:DWORD src1_sel:WORD_1
	v_add_u16_e32 v2, 0xf000, v2
	v_or_b32_sdwa v2, v3, v2 dst_sel:DWORD dst_unused:UNUSED_PAD src0_sel:DWORD src1_sel:BYTE_1
	v_lshl_add_u64 v[4:5], v[84:85], 0, s[16:17]
	v_add_u16_sdwa v8, v2, s26 dst_sel:WORD_1 dst_unused:UNUSED_PAD src0_sel:DWORD src1_sel:DWORD
	v_lshl_add_u64 v[2:3], v[82:83], 0, s[16:17]
	global_load_dword v10, v[4:5], off
	global_load_dword v12, v[2:3], off offset:6
	v_or_b32_e32 v2, v7, v8
	v_lshrrev_b32_e32 v4, 12, v6
	v_lshrrev_b32_e32 v5, 5, v6
	v_lshlrev_b32_e32 v7, 2, v6
	v_lshrrev_b32_e32 v3, 4, v13
	v_and_b32_e32 v4, 16, v4
	v_and_b32_e32 v5, 0x1000, v5
	v_and_b32_e32 v7, 0x100000, v7
	v_lshlrev_b32_e32 v6, 9, v6
	v_and_b32_e32 v3, 0xf0f0f0f, v3
	v_and_b32_e32 v6, 0x10000000, v6
	v_or3_b32 v4, v5, v4, v7
	v_or3_b32 v3, v4, v6, v3
	v_lshlrev_b16_e32 v5, 8, v3
	v_and_b32_e32 v4, 0x1f00, v3
	v_add_i16 v5, v5, s26 clamp
	v_or_b32_sdwa v4, v4, v5 dst_sel:DWORD dst_unused:UNUSED_PAD src0_sel:DWORD src1_sel:BYTE_1
	v_and_b32_sdwa v5, v3, s27 dst_sel:DWORD dst_unused:UNUSED_PAD src0_sel:WORD_1 src1_sel:DWORD
	v_add_i16 v5, v5, s26 clamp
	v_lshlrev_b16_sdwa v3, v141, v3 dst_sel:DWORD dst_unused:UNUSED_PAD src0_sel:DWORD src1_sel:WORD_1
	v_and_b32_e32 v5, 0xffffff00, v5
	v_add_i16 v3, v3, s26 clamp
	v_add_u16_e32 v4, 0xf000, v4
	v_or_b32_sdwa v3, v3, v5 dst_sel:WORD_1 dst_unused:UNUSED_PAD src0_sel:BYTE_1 src1_sel:DWORD
	s_waitcnt vmcnt(3)
	v_ashrrev_i32_e32 v6, v24, v9
	v_or_b32_e32 v3, v4, v3
	ds_write2_b32 v119, v2, v3 offset1:1
	v_lshlrev_b32_e32 v3, 4, v6
	v_lshlrev_b32_e32 v4, 11, v6
	s_waitcnt vmcnt(2)
	v_and_b32_e32 v2, 0xf0f0f0f, v11
	v_and_b32_e32 v3, 16, v3
	v_and_b32_e32 v4, 0x1000, v4
	v_or3_b32 v3, v3, v2, v4
	v_lshlrev_b32_e32 v4, 18, v6
	v_lshlrev_b32_e32 v5, 25, v6
	v_and_b32_e32 v4, 0x100000, v4
	v_and_b32_e32 v5, 0x10000000, v5
	v_or3_b32 v2, v2, v4, v5
	v_and_b32_e32 v4, 0x1f00, v3
	v_lshlrev_b16_e32 v3, 8, v3
	v_add_u16_e32 v3, 0xf000, v3
	v_or_b32_sdwa v3, v4, v3 dst_sel:DWORD dst_unused:UNUSED_PAD src0_sel:DWORD src1_sel:BYTE_1
	v_add_u16_e32 v7, 0xf000, v3
	v_and_b32_sdwa v3, v2, s25 dst_sel:DWORD dst_unused:UNUSED_PAD src0_sel:WORD_1 src1_sel:DWORD
	v_lshlrev_b16_sdwa v2, v141, v2 dst_sel:DWORD dst_unused:UNUSED_PAD src0_sel:DWORD src1_sel:WORD_1
	v_add_u16_e32 v2, 0xf000, v2
	v_or_b32_sdwa v2, v3, v2 dst_sel:DWORD dst_unused:UNUSED_PAD src0_sel:DWORD src1_sel:BYTE_1
	v_lshl_add_u64 v[4:5], v[88:89], 0, s[16:17]
	v_add_u16_sdwa v8, v2, s26 dst_sel:WORD_1 dst_unused:UNUSED_PAD src0_sel:DWORD src1_sel:DWORD
	v_lshl_add_u64 v[2:3], v[86:87], 0, s[16:17]
	global_load_dword v9, v[4:5], off
	global_load_dword v13, v[2:3], off offset:6
	v_or_b32_e32 v2, v7, v8
	v_lshrrev_b32_e32 v4, 12, v6
	v_lshrrev_b32_e32 v5, 5, v6
	v_lshlrev_b32_e32 v7, 2, v6
	v_lshrrev_b32_e32 v3, 4, v11
	v_and_b32_e32 v4, 16, v4
	v_and_b32_e32 v5, 0x1000, v5
	v_and_b32_e32 v7, 0x100000, v7
	v_lshlrev_b32_e32 v6, 9, v6
	v_and_b32_e32 v3, 0xf0f0f0f, v3
	v_and_b32_e32 v6, 0x10000000, v6
	v_or3_b32 v4, v5, v4, v7
	v_or3_b32 v3, v4, v6, v3
	v_lshlrev_b16_e32 v5, 8, v3
	v_and_b32_e32 v4, 0x1f00, v3
	v_add_i16 v5, v5, s26 clamp
	v_or_b32_sdwa v4, v4, v5 dst_sel:DWORD dst_unused:UNUSED_PAD src0_sel:DWORD src1_sel:BYTE_1
	v_and_b32_sdwa v5, v3, s27 dst_sel:DWORD dst_unused:UNUSED_PAD src0_sel:WORD_1 src1_sel:DWORD
	v_add_i16 v5, v5, s26 clamp
	v_lshlrev_b16_sdwa v3, v141, v3 dst_sel:DWORD dst_unused:UNUSED_PAD src0_sel:DWORD src1_sel:WORD_1
	v_and_b32_e32 v5, 0xffffff00, v5
	v_add_i16 v3, v3, s26 clamp
	v_add_u16_e32 v4, 0xf000, v4
	v_or_b32_sdwa v3, v3, v5 dst_sel:WORD_1 dst_unused:UNUSED_PAD src0_sel:BYTE_1 src1_sel:DWORD
	s_waitcnt vmcnt(3)
	v_ashrrev_i32_e32 v6, v24, v10
	v_or_b32_e32 v3, v4, v3
	ds_write2_b32 v120, v2, v3 offset1:1
	v_lshlrev_b32_e32 v3, 4, v6
	v_lshlrev_b32_e32 v4, 11, v6
	s_waitcnt vmcnt(2)
	v_and_b32_e32 v2, 0xf0f0f0f, v12
	v_and_b32_e32 v3, 16, v3
	;; [unrolled: 1-line block ×3, first 2 shown]
	v_or3_b32 v3, v3, v2, v4
	v_lshlrev_b32_e32 v4, 18, v6
	v_lshlrev_b32_e32 v5, 25, v6
	v_and_b32_e32 v4, 0x100000, v4
	v_and_b32_e32 v5, 0x10000000, v5
	v_or3_b32 v2, v2, v4, v5
	v_and_b32_e32 v4, 0x1f00, v3
	v_lshlrev_b16_e32 v3, 8, v3
	v_add_u16_e32 v3, 0xf000, v3
	v_or_b32_sdwa v3, v4, v3 dst_sel:DWORD dst_unused:UNUSED_PAD src0_sel:DWORD src1_sel:BYTE_1
	v_and_b32_sdwa v4, v2, s25 dst_sel:DWORD dst_unused:UNUSED_PAD src0_sel:WORD_1 src1_sel:DWORD
	v_lshlrev_b16_sdwa v2, v141, v2 dst_sel:DWORD dst_unused:UNUSED_PAD src0_sel:DWORD src1_sel:WORD_1
	v_add_u16_e32 v2, 0xf000, v2
	v_or_b32_sdwa v2, v4, v2 dst_sel:DWORD dst_unused:UNUSED_PAD src0_sel:DWORD src1_sel:BYTE_1
	v_add_u16_e32 v3, 0xf000, v3
	v_add_u16_sdwa v2, v2, s26 dst_sel:WORD_1 dst_unused:UNUSED_PAD src0_sel:DWORD src1_sel:DWORD
	v_lshrrev_b32_e32 v10, 12, v6
	v_or_b32_e32 v7, v3, v2
	v_lshrrev_b32_e32 v2, 4, v12
	v_and_b32_e32 v8, 0xf0f0f0f, v2
	v_lshl_add_u64 v[2:3], v[92:93], 0, s[16:17]
	v_lshl_add_u64 v[4:5], v[94:95], 0, s[16:17]
	global_load_dword v4, v[4:5], off
	s_nop 0
	global_load_dword v5, v[2:3], off offset:6
	v_and_b32_e32 v2, 16, v10
	v_lshrrev_b32_e32 v3, 5, v6
	v_lshlrev_b32_e32 v10, 2, v6
	v_and_b32_e32 v3, 0x1000, v3
	v_and_b32_e32 v10, 0x100000, v10
	v_lshlrev_b32_e32 v6, 9, v6
	v_and_b32_e32 v6, 0x10000000, v6
	v_or3_b32 v2, v3, v2, v10
	v_or3_b32 v2, v2, v6, v8
	v_lshlrev_b16_e32 v6, 8, v2
	v_and_b32_e32 v3, 0x1f00, v2
	v_add_i16 v6, v6, s26 clamp
	v_or_b32_sdwa v3, v3, v6 dst_sel:DWORD dst_unused:UNUSED_PAD src0_sel:DWORD src1_sel:BYTE_1
	v_and_b32_sdwa v6, v2, s27 dst_sel:DWORD dst_unused:UNUSED_PAD src0_sel:WORD_1 src1_sel:DWORD
	v_add_i16 v6, v6, s26 clamp
	v_lshlrev_b16_sdwa v2, v141, v2 dst_sel:DWORD dst_unused:UNUSED_PAD src0_sel:DWORD src1_sel:WORD_1
	v_and_b32_e32 v6, 0xffffff00, v6
	v_add_i16 v2, v2, s26 clamp
	v_add_u16_e32 v3, 0xf000, v3
	v_or_b32_sdwa v2, v2, v6 dst_sel:WORD_1 dst_unused:UNUSED_PAD src0_sel:BYTE_1 src1_sel:DWORD
	s_waitcnt vmcnt(3)
	v_ashrrev_i32_e32 v6, v24, v9
	v_or_b32_e32 v2, v3, v2
	ds_write2_b32 v121, v7, v2 offset1:1
	v_lshlrev_b32_e32 v3, 4, v6
	v_lshlrev_b32_e32 v7, 11, v6
	s_waitcnt vmcnt(2)
	v_and_b32_e32 v2, 0xf0f0f0f, v13
	v_and_b32_e32 v3, 16, v3
	;; [unrolled: 1-line block ×3, first 2 shown]
	v_or3_b32 v3, v3, v2, v7
	v_lshlrev_b32_e32 v7, 18, v6
	v_lshlrev_b32_e32 v8, 25, v6
	v_and_b32_e32 v7, 0x100000, v7
	v_and_b32_e32 v8, 0x10000000, v8
	v_or3_b32 v2, v2, v7, v8
	v_and_b32_e32 v7, 0x1f00, v3
	v_lshlrev_b16_e32 v3, 8, v3
	v_add_u16_e32 v3, 0xf000, v3
	v_or_b32_sdwa v3, v7, v3 dst_sel:DWORD dst_unused:UNUSED_PAD src0_sel:DWORD src1_sel:BYTE_1
	v_add_u16_e32 v7, 0xf000, v3
	v_and_b32_sdwa v3, v2, s25 dst_sel:DWORD dst_unused:UNUSED_PAD src0_sel:WORD_1 src1_sel:DWORD
	v_lshlrev_b16_sdwa v2, v141, v2 dst_sel:DWORD dst_unused:UNUSED_PAD src0_sel:DWORD src1_sel:WORD_1
	v_add_u16_e32 v2, 0xf000, v2
	v_or_b32_sdwa v8, v3, v2 dst_sel:DWORD dst_unused:UNUSED_PAD src0_sel:DWORD src1_sel:BYTE_1
	v_lshl_add_u64 v[2:3], v[96:97], 0, s[16:17]
	global_load_ushort v9, v[2:3], off
	v_lshl_add_u64 v[2:3], v[98:99], 0, s[16:17]
	global_load_ushort v10, v[2:3], off
	;; [unrolled: 2-line block ×4, first 2 shown]
	v_add_u16_sdwa v8, v8, s26 dst_sel:WORD_1 dst_unused:UNUSED_PAD src0_sel:DWORD src1_sel:DWORD
	v_lshrrev_b32_e32 v12, 5, v6
	v_or_b32_e32 v3, v7, v8
	v_lshrrev_b32_e32 v7, 4, v13
	v_lshrrev_b32_e32 v8, 12, v6
	v_lshlrev_b32_e32 v13, 2, v6
	v_and_b32_e32 v8, 16, v8
	v_and_b32_e32 v12, 0x1000, v12
	;; [unrolled: 1-line block ×3, first 2 shown]
	v_lshlrev_b32_e32 v6, 9, v6
	v_and_b32_e32 v7, 0xf0f0f0f, v7
	v_and_b32_e32 v6, 0x10000000, v6
	v_or3_b32 v8, v12, v8, v13
	v_or3_b32 v6, v8, v6, v7
	v_lshlrev_b16_e32 v8, 8, v6
	v_and_b32_e32 v7, 0x1f00, v6
	v_add_i16 v8, v8, s26 clamp
	v_or_b32_sdwa v7, v7, v8 dst_sel:DWORD dst_unused:UNUSED_PAD src0_sel:DWORD src1_sel:BYTE_1
	v_and_b32_sdwa v8, v6, s27 dst_sel:DWORD dst_unused:UNUSED_PAD src0_sel:WORD_1 src1_sel:DWORD
	v_add_i16 v8, v8, s26 clamp
	v_lshlrev_b16_sdwa v6, v141, v6 dst_sel:DWORD dst_unused:UNUSED_PAD src0_sel:DWORD src1_sel:WORD_1
	v_and_b32_e32 v8, 0xffffff00, v8
	v_add_i16 v6, v6, s26 clamp
	v_add_u16_e32 v7, 0xf000, v7
	v_or_b32_sdwa v6, v6, v8 dst_sel:WORD_1 dst_unused:UNUSED_PAD src0_sel:BYTE_1 src1_sel:DWORD
	s_waitcnt vmcnt(0)
	v_cvt_f32_f16_e32 v2, v2
	v_or_b32_e32 v6, v7, v6
	ds_write2_b32 v122, v3, v6 offset1:1
	v_ashrrev_i32_e32 v3, v24, v4
	v_lshlrev_b32_e32 v6, 4, v3
	v_lshlrev_b32_e32 v7, 11, v3
	v_and_b32_e32 v4, 0xf0f0f0f, v5
	v_and_b32_e32 v6, 16, v6
	v_and_b32_e32 v7, 0x1000, v7
	v_or3_b32 v6, v6, v4, v7
	v_lshlrev_b32_e32 v7, 18, v3
	v_lshlrev_b32_e32 v8, 25, v3
	v_and_b32_e32 v7, 0x100000, v7
	v_and_b32_e32 v8, 0x10000000, v8
	v_or3_b32 v4, v4, v7, v8
	v_and_b32_e32 v7, 0x1f00, v6
	v_lshlrev_b16_e32 v6, 8, v6
	v_add_u16_e32 v6, 0xf000, v6
	v_or_b32_sdwa v6, v7, v6 dst_sel:DWORD dst_unused:UNUSED_PAD src0_sel:DWORD src1_sel:BYTE_1
	v_and_b32_sdwa v7, v4, s25 dst_sel:DWORD dst_unused:UNUSED_PAD src0_sel:WORD_1 src1_sel:DWORD
	v_lshlrev_b16_sdwa v4, v141, v4 dst_sel:DWORD dst_unused:UNUSED_PAD src0_sel:DWORD src1_sel:WORD_1
	v_add_u16_e32 v4, 0xf000, v4
	v_or_b32_sdwa v4, v7, v4 dst_sel:DWORD dst_unused:UNUSED_PAD src0_sel:DWORD src1_sel:BYTE_1
	v_add_u16_e32 v6, 0xf000, v6
	v_add_u16_sdwa v4, v4, s26 dst_sel:WORD_1 dst_unused:UNUSED_PAD src0_sel:DWORD src1_sel:DWORD
	v_lshrrev_b32_e32 v7, 5, v3
	v_or_b32_e32 v4, v6, v4
	v_lshrrev_b32_e32 v6, 12, v3
	v_lshlrev_b32_e32 v8, 2, v3
	v_lshrrev_b32_e32 v5, 4, v5
	v_and_b32_e32 v6, 16, v6
	v_and_b32_e32 v7, 0x1000, v7
	;; [unrolled: 1-line block ×3, first 2 shown]
	v_lshlrev_b32_e32 v3, 9, v3
	v_and_b32_e32 v5, 0xf0f0f0f, v5
	v_and_b32_e32 v3, 0x10000000, v3
	v_or3_b32 v6, v7, v6, v8
	v_or3_b32 v3, v6, v3, v5
	v_lshlrev_b16_e32 v6, 8, v3
	v_and_b32_e32 v5, 0x1f00, v3
	v_add_i16 v6, v6, s26 clamp
	v_or_b32_sdwa v5, v5, v6 dst_sel:DWORD dst_unused:UNUSED_PAD src0_sel:DWORD src1_sel:BYTE_1
	v_and_b32_sdwa v6, v3, s27 dst_sel:DWORD dst_unused:UNUSED_PAD src0_sel:WORD_1 src1_sel:DWORD
	v_add_i16 v6, v6, s26 clamp
	v_lshlrev_b16_sdwa v3, v141, v3 dst_sel:DWORD dst_unused:UNUSED_PAD src0_sel:DWORD src1_sel:WORD_1
	v_and_b32_e32 v6, 0xffffff00, v6
	v_add_i16 v3, v3, s26 clamp
	v_add_u16_e32 v5, 0xf000, v5
	v_or_b32_sdwa v3, v3, v6 dst_sel:WORD_1 dst_unused:UNUSED_PAD src0_sel:BYTE_1 src1_sel:DWORD
	v_cvt_f32_f16_e32 v6, v10
	v_or_b32_e32 v3, v5, v3
	v_cvt_f32_f16_e32 v5, v9
	ds_write2_b32 v123, v4, v3 offset1:1
	v_cvt_f32_f16_e32 v3, v11
	ds_write_b32 v137, v5
	ds_write_b32 v138, v6
	;; [unrolled: 1-line block ×4, first 2 shown]
	s_cbranch_scc0 .LBB221_5
; %bb.7:                                ;   in Loop: Header=BB221_6 Depth=1
	v_add_u32_e32 v2, s14, v124
	v_cmp_gt_i32_e64 s[2:3], s5, v2
	s_and_b64 s[20:21], s[0:1], s[2:3]
	s_and_saveexec_b64 s[2:3], s[20:21]
	s_cbranch_execz .LBB221_9
; %bb.8:                                ;   in Loop: Header=BB221_6 Depth=1
	v_add_u32_e32 v2, s14, v136
	v_mad_i64_i32 v[2:3], s[20:21], v2, 36, v[26:27]
	global_load_dword v2, v[2:3], off offset:4
	s_waitcnt vmcnt(0)
	ds_write_b32 v125, v2
.LBB221_9:                              ;   in Loop: Header=BB221_6 Depth=1
	s_or_b64 exec, exec, s[2:3]
	s_and_saveexec_b64 s[20:21], vcc
	s_cbranch_execz .LBB221_12
; %bb.10:                               ;   in Loop: Header=BB221_6 Depth=1
	v_add_u32_e32 v2, s14, v22
	v_cmp_gt_i32_e64 s[2:3], s5, v2
	s_and_b64 s[2:3], s[0:1], s[2:3]
	s_and_b64 exec, exec, s[2:3]
	s_cbranch_execz .LBB221_12
; %bb.11:                               ;   in Loop: Header=BB221_6 Depth=1
	v_add_u32_e32 v2, s14, v23
	v_mad_i64_i32 v[2:3], s[2:3], v2, 36, s[10:11]
	global_load_dword v2, v[2:3], off
	s_waitcnt vmcnt(0)
	v_cvt_f32_f16_e32 v2, v2
	ds_write_b32 v126, v2
.LBB221_12:                             ;   in Loop: Header=BB221_6 Depth=1
	s_or_b64 exec, exec, s[20:21]
	s_waitcnt lgkmcnt(0)
	s_barrier
	ds_read_b128 v[2:5], v128
	ds_read2_b32 v[106:107], v129 offset1:1
	ds_read_b128 v[14:17], v127
	ds_read_b128 v[18:21], v127 offset:16
	ds_read_b128 v[6:9], v127 offset:32
	;; [unrolled: 1-line block ×3, first 2 shown]
	ds_read2_b32 v[142:143], v129 offset0:2 offset1:3
	v_mov_b32_e32 v25, 0
	s_waitcnt lgkmcnt(4)
	v_dot4c_i32_i8_e32 v25, v106, v14
	s_waitcnt lgkmcnt(3)
	v_dot4c_i32_i8_e32 v25, v107, v18
	ds_read2_b32 v[106:107], v129 offset0:4 offset1:5
	ds_read2_b32 v[144:145], v129 offset0:6 offset1:7
	;; [unrolled: 1-line block ×3, first 2 shown]
	s_waitcnt lgkmcnt(3)
	v_dot4c_i32_i8_e32 v25, v142, v15
	v_dot4c_i32_i8_e32 v25, v143, v19
	s_waitcnt lgkmcnt(2)
	v_dot4c_i32_i8_e32 v25, v106, v16
	v_add_u32_e32 v106, 0x2080, v129
	ds_read2_b32 v[142:143], v106 offset1:1
	v_mov_b32_e32 v156, 0
	v_dot4c_i32_i8_e32 v25, v107, v20
	ds_read2_b32 v[106:107], v133 offset0:2 offset1:3
	s_waitcnt lgkmcnt(3)
	v_dot4c_i32_i8_e32 v25, v144, v17
	s_waitcnt lgkmcnt(1)
	v_dot4c_i32_i8_e32 v156, v142, v14
	v_add_u32_e32 v142, 0x2088, v129
	v_dot4c_i32_i8_e32 v156, v143, v18
	ds_read2_b32 v[142:143], v142 offset1:1
	v_add_u32_e32 v144, 0x2090, v129
	v_add_u32_e32 v148, 0x2098, v129
	;; [unrolled: 1-line block ×3, first 2 shown]
	v_dot4c_i32_i8_e32 v25, v145, v21
	ds_read2_b32 v[144:145], v144 offset1:1
	ds_read2_b32 v[148:149], v148 offset1:1
	;; [unrolled: 1-line block ×3, first 2 shown]
	s_waitcnt lgkmcnt(3)
	v_dot4c_i32_i8_e32 v156, v142, v15
	v_dot4c_i32_i8_e32 v156, v143, v19
	s_waitcnt lgkmcnt(2)
	v_dot4c_i32_i8_e32 v156, v144, v16
	v_dot4c_i32_i8_e32 v156, v145, v20
	v_mov_b32_e32 v157, 0
	s_waitcnt lgkmcnt(1)
	v_dot4c_i32_i8_e32 v156, v148, v17
	s_waitcnt lgkmcnt(0)
	v_dot4c_i32_i8_e32 v157, v150, v14
	v_add_u32_e32 v142, 0x4108, v129
	v_add_u32_e32 v144, 0x4110, v129
	;; [unrolled: 1-line block ×4, first 2 shown]
	v_dot4c_i32_i8_e32 v156, v149, v21
	v_dot4c_i32_i8_e32 v157, v151, v18
	ds_read2_b32 v[142:143], v142 offset1:1
	ds_read2_b32 v[144:145], v144 offset1:1
	;; [unrolled: 1-line block ×4, first 2 shown]
	v_mov_b32_e32 v158, 0
	v_mov_b32_e32 v159, 0
	v_dot4c_i32_i8_e32 v159, v146, v6
	s_waitcnt lgkmcnt(3)
	v_dot4c_i32_i8_e32 v157, v142, v15
	s_waitcnt lgkmcnt(0)
	v_dot4c_i32_i8_e32 v158, v150, v14
	v_add_u32_e32 v14, 0x6188, v129
	v_dot4c_i32_i8_e32 v157, v143, v19
	ds_read2_b32 v[142:143], v14 offset1:1
	v_dot4c_i32_i8_e32 v157, v144, v16
	v_dot4c_i32_i8_e32 v157, v145, v20
	;; [unrolled: 1-line block ×4, first 2 shown]
	v_add_u32_e32 v18, 0x6190, v129
	v_add_u32_e32 v148, 0x6198, v129
	v_dot4c_i32_i8_e32 v157, v149, v21
	v_add_u32_e32 v14, 0x20a0, v129
	ds_read2_b32 v[144:145], v18 offset1:1
	ds_read2_b32 v[148:149], v148 offset1:1
	;; [unrolled: 1-line block ×3, first 2 shown]
	s_waitcnt lgkmcnt(3)
	v_dot4c_i32_i8_e32 v158, v142, v15
	v_dot4c_i32_i8_e32 v158, v143, v19
	ds_read2_b32 v[14:15], v129 offset0:10 offset1:11
	s_waitcnt lgkmcnt(3)
	v_dot4c_i32_i8_e32 v158, v144, v16
	v_dot4c_i32_i8_e32 v158, v145, v20
	s_waitcnt lgkmcnt(2)
	v_dot4c_i32_i8_e32 v158, v148, v17
	v_dot4c_i32_i8_e32 v158, v149, v21
	;; [unrolled: 1-line block ×3, first 2 shown]
	ds_read2_b32 v[16:17], v129 offset0:12 offset1:13
	ds_read2_b32 v[18:19], v129 offset0:14 offset1:15
	;; [unrolled: 1-line block ×3, first 2 shown]
	s_waitcnt lgkmcnt(3)
	v_dot4c_i32_i8_e32 v159, v14, v7
	v_add_u32_e32 v14, 0x20a8, v129
	v_dot4c_i32_i8_e32 v159, v15, v11
	ds_read2_b32 v[14:15], v14 offset1:1
	s_waitcnt lgkmcnt(3)
	v_dot4c_i32_i8_e32 v159, v16, v8
	v_dot4c_i32_i8_e32 v159, v17, v12
	v_mov_b32_e32 v160, 0
	s_waitcnt lgkmcnt(2)
	v_dot4c_i32_i8_e32 v159, v18, v9
	v_dot4c_i32_i8_e32 v160, v150, v6
	v_add_u32_e32 v16, 0x20b0, v129
	v_add_u32_e32 v18, 0x20b8, v129
	;; [unrolled: 1-line block ×3, first 2 shown]
	v_dot4c_i32_i8_e32 v159, v19, v13
	v_dot4c_i32_i8_e32 v160, v151, v10
	ds_read2_b32 v[16:17], v16 offset1:1
	ds_read2_b32 v[18:19], v18 offset1:1
	;; [unrolled: 1-line block ×3, first 2 shown]
	s_waitcnt lgkmcnt(3)
	v_dot4c_i32_i8_e32 v160, v14, v7
	v_dot4c_i32_i8_e32 v160, v15, v11
	s_waitcnt lgkmcnt(2)
	v_dot4c_i32_i8_e32 v160, v16, v8
	v_dot4c_i32_i8_e32 v160, v17, v12
	v_mov_b32_e32 v161, 0
	s_waitcnt lgkmcnt(1)
	v_dot4c_i32_i8_e32 v160, v18, v9
	s_waitcnt lgkmcnt(0)
	v_dot4c_i32_i8_e32 v161, v142, v6
	v_add_u32_e32 v14, 0x4128, v129
	v_add_u32_e32 v16, 0x4130, v129
	v_add_u32_e32 v18, 0x4138, v129
	v_add_u32_e32 v142, 0x61a0, v129
	v_dot4c_i32_i8_e32 v160, v19, v13
	v_dot4c_i32_i8_e32 v161, v143, v10
	ds_read2_b32 v[14:15], v14 offset1:1
	ds_read2_b32 v[16:17], v16 offset1:1
	;; [unrolled: 1-line block ×4, first 2 shown]
	v_mov_b32_e32 v162, 0
	v_mov_b32_e32 v163, 0
	;; [unrolled: 1-line block ×3, first 2 shown]
	s_waitcnt lgkmcnt(3)
	v_dot4c_i32_i8_e32 v161, v14, v7
	s_waitcnt lgkmcnt(0)
	v_dot4c_i32_i8_e32 v162, v142, v6
	v_add_u32_e32 v6, 0x61a8, v129
	v_dot4c_i32_i8_e32 v161, v15, v11
	ds_read2_b32 v[14:15], v6 offset1:1
	v_dot4c_i32_i8_e32 v161, v16, v8
	v_dot4c_i32_i8_e32 v161, v17, v12
	v_dot4c_i32_i8_e32 v161, v18, v9
	v_dot4c_i32_i8_e32 v162, v143, v10
	v_add_u32_e32 v10, 0x61b0, v129
	v_add_u32_e32 v18, 0x61b8, v129
	v_dot4c_i32_i8_e32 v161, v19, v13
	v_add_u32_e32 v6, 0x20c0, v129
	ds_read2_b32 v[16:17], v10 offset1:1
	ds_read2_b32 v[18:19], v18 offset1:1
	;; [unrolled: 1-line block ×3, first 2 shown]
	s_waitcnt lgkmcnt(3)
	v_dot4c_i32_i8_e32 v162, v14, v7
	v_dot4c_i32_i8_e32 v162, v15, v11
	s_waitcnt lgkmcnt(2)
	v_dot4c_i32_i8_e32 v162, v16, v8
	v_dot4c_i32_i8_e32 v162, v17, v12
	;; [unrolled: 3-line block ×3, first 2 shown]
	ds_read_b128 v[8:11], v127 offset:64
	ds_read_b128 v[12:15], v127 offset:80
	ds_read2_b32 v[6:7], v132 offset1:1
	ds_read2_b32 v[144:145], v131 offset0:2 offset1:3
	ds_read2_b32 v[146:147], v131 offset1:1
	ds_read2_b32 v[148:149], v130 offset0:2 offset1:3
	ds_read2_b32 v[16:17], v129 offset0:18 offset1:19
	s_waitcnt lgkmcnt(6)
	v_dot4c_i32_i8_e32 v163, v20, v8
	s_waitcnt lgkmcnt(5)
	v_dot4c_i32_i8_e32 v163, v21, v12
	ds_read2_b32 v[18:19], v129 offset0:20 offset1:21
	ds_read2_b32 v[20:21], v129 offset0:22 offset1:23
	;; [unrolled: 1-line block ×3, first 2 shown]
	v_dot4c_i32_i8_e32 v164, v142, v8
	s_waitcnt lgkmcnt(3)
	v_dot4c_i32_i8_e32 v163, v16, v9
	v_add_u32_e32 v16, 0x20c8, v129
	v_dot4c_i32_i8_e32 v163, v17, v13
	ds_read2_b32 v[16:17], v16 offset1:1
	s_waitcnt lgkmcnt(3)
	v_dot4c_i32_i8_e32 v163, v18, v10
	v_dot4c_i32_i8_e32 v163, v19, v14
	s_waitcnt lgkmcnt(2)
	v_dot4c_i32_i8_e32 v163, v20, v11
	v_add_u32_e32 v18, 0x20d0, v129
	v_add_u32_e32 v20, 0x20d8, v129
	;; [unrolled: 1-line block ×3, first 2 shown]
	v_dot4c_i32_i8_e32 v163, v21, v15
	v_dot4c_i32_i8_e32 v164, v143, v12
	ds_read2_b32 v[18:19], v18 offset1:1
	ds_read2_b32 v[20:21], v20 offset1:1
	;; [unrolled: 1-line block ×3, first 2 shown]
	s_waitcnt lgkmcnt(3)
	v_dot4c_i32_i8_e32 v164, v16, v9
	v_dot4c_i32_i8_e32 v164, v17, v13
	s_waitcnt lgkmcnt(2)
	v_dot4c_i32_i8_e32 v164, v18, v10
	v_dot4c_i32_i8_e32 v164, v19, v14
	v_mov_b32_e32 v165, 0
	s_waitcnt lgkmcnt(1)
	v_dot4c_i32_i8_e32 v164, v20, v11
	s_waitcnt lgkmcnt(0)
	v_dot4c_i32_i8_e32 v165, v142, v8
	v_add_u32_e32 v16, 0x4148, v129
	v_add_u32_e32 v18, 0x4150, v129
	;; [unrolled: 1-line block ×4, first 2 shown]
	v_dot4c_i32_i8_e32 v164, v21, v15
	ds_read2_b32 v[20:21], v133 offset1:1
	ds_read2_b32 v[152:153], v132 offset0:2 offset1:3
	v_dot4c_i32_i8_e32 v165, v143, v12
	ds_read2_b32 v[16:17], v16 offset1:1
	ds_read2_b32 v[18:19], v18 offset1:1
	;; [unrolled: 1-line block ×4, first 2 shown]
	v_mov_b32_e32 v166, 0
	v_mov_b32_e32 v167, 0
	;; [unrolled: 1-line block ×3, first 2 shown]
	s_waitcnt lgkmcnt(3)
	v_dot4c_i32_i8_e32 v165, v16, v9
	s_waitcnt lgkmcnt(0)
	v_dot4c_i32_i8_e32 v166, v154, v8
	v_add_u32_e32 v8, 0x61c8, v129
	v_dot4c_i32_i8_e32 v165, v17, v13
	ds_read2_b32 v[16:17], v8 offset1:1
	v_dot4c_i32_i8_e32 v165, v18, v10
	v_dot4c_i32_i8_e32 v165, v19, v14
	;; [unrolled: 1-line block ×4, first 2 shown]
	v_add_u32_e32 v12, 0x61d0, v129
	v_add_u32_e32 v142, 0x61d8, v129
	v_dot4c_i32_i8_e32 v165, v143, v15
	v_add_u32_e32 v8, 0x20e0, v129
	ds_read2_b32 v[18:19], v12 offset1:1
	ds_read2_b32 v[142:143], v142 offset1:1
	;; [unrolled: 1-line block ×3, first 2 shown]
	s_waitcnt lgkmcnt(3)
	v_dot4c_i32_i8_e32 v166, v16, v9
	v_dot4c_i32_i8_e32 v166, v17, v13
	s_waitcnt lgkmcnt(2)
	v_dot4c_i32_i8_e32 v166, v18, v10
	v_dot4c_i32_i8_e32 v166, v19, v14
	ds_read_b128 v[16:19], v127 offset:96
	s_waitcnt lgkmcnt(2)
	v_dot4c_i32_i8_e32 v166, v142, v11
	ds_read_b128 v[8:11], v127 offset:112
	ds_read2_b32 v[12:13], v129 offset0:26 offset1:27
	v_dot4c_i32_i8_e32 v166, v143, v15
	s_waitcnt lgkmcnt(2)
	v_dot4c_i32_i8_e32 v167, v150, v16
	v_dot4c_i32_i8_e32 v168, v154, v16
	s_waitcnt lgkmcnt(1)
	v_dot4c_i32_i8_e32 v167, v151, v8
	ds_read2_b32 v[14:15], v129 offset0:28 offset1:29
	ds_read2_b32 v[142:143], v130 offset1:1
	ds_read2_b32 v[150:151], v129 offset0:30 offset1:31
	s_waitcnt lgkmcnt(3)
	v_dot4c_i32_i8_e32 v167, v12, v17
	v_add_u32_e32 v12, 0x20e8, v129
	v_dot4c_i32_i8_e32 v167, v13, v9
	ds_read2_b32 v[12:13], v12 offset1:1
	s_waitcnt lgkmcnt(3)
	v_dot4c_i32_i8_e32 v167, v14, v18
	v_dot4c_i32_i8_e32 v167, v15, v10
	s_waitcnt lgkmcnt(1)
	v_dot4c_i32_i8_e32 v167, v150, v19
	v_add_u32_e32 v14, 0x20f0, v129
	v_add_u32_e32 v150, 0x20f8, v129
	;; [unrolled: 1-line block ×3, first 2 shown]
	v_dot4c_i32_i8_e32 v167, v151, v11
	v_dot4c_i32_i8_e32 v168, v155, v8
	ds_read2_b32 v[14:15], v14 offset1:1
	ds_read2_b32 v[150:151], v150 offset1:1
	;; [unrolled: 1-line block ×3, first 2 shown]
	s_waitcnt lgkmcnt(3)
	v_dot4c_i32_i8_e32 v168, v12, v17
	v_dot4c_i32_i8_e32 v168, v13, v9
	s_waitcnt lgkmcnt(2)
	v_dot4c_i32_i8_e32 v168, v14, v18
	v_dot4c_i32_i8_e32 v168, v15, v10
	s_waitcnt lgkmcnt(1)
	v_dot4c_i32_i8_e32 v168, v150, v19
	v_cvt_f32_i32_e32 v15, v156
	v_cvt_f32_i32_e32 v14, v25
	v_dot4c_i32_i8_e32 v168, v151, v11
	v_cvt_f32_i32_e32 v151, v160
	v_cvt_f32_i32_e32 v150, v159
	v_mov_b32_e32 v12, v142
	v_mov_b32_e32 v13, v146
	v_pk_mul_f32 v[12:13], v[2:3], v[12:13] op_sel_hi:[0,1]
	v_mov_b32_e32 v146, v143
	v_pk_fma_f32 v[12:13], v[12:13], v[14:15], v[104:105]
	v_pk_mul_f32 v[14:15], v[2:3], v[146:147] op_sel:[1,0]
	v_mov_b32_e32 v104, v148
	v_pk_fma_f32 v[12:13], v[14:15], v[150:151], v[12:13]
	v_cvt_f32_i32_e32 v15, v164
	v_cvt_f32_i32_e32 v14, v163
	v_mov_b32_e32 v105, v144
	v_pk_mul_f32 v[104:105], v[4:5], v[104:105] op_sel_hi:[0,1]
	v_mov_b32_e32 v142, v5
	v_pk_fma_f32 v[12:13], v[104:105], v[14:15], v[12:13]
	v_cvt_f32_i32_e32 v15, v168
	v_cvt_f32_i32_e32 v14, v167
	v_mov_b32_e32 v144, v149
	v_pk_mul_f32 v[104:105], v[142:143], v[144:145] op_sel_hi:[0,1]
	v_add_u32_e32 v5, 0x4168, v129
	v_pk_fma_f32 v[104:105], v[104:105], v[14:15], v[12:13]
	ds_read2_b32 v[12:13], v5 offset1:1
	v_mov_b32_e32 v25, 0
	s_waitcnt lgkmcnt(1)
	v_dot4c_i32_i8_e32 v25, v154, v16
	v_add_u32_e32 v14, 0x4170, v129
	v_dot4c_i32_i8_e32 v25, v155, v8
	v_add_u32_e32 v143, 0x4178, v129
	v_add_u32_e32 v5, 0x61e0, v129
	ds_read2_b32 v[14:15], v14 offset1:1
	ds_read2_b32 v[144:145], v143 offset1:1
	;; [unrolled: 1-line block ×3, first 2 shown]
	s_waitcnt lgkmcnt(3)
	v_dot4c_i32_i8_e32 v25, v12, v17
	v_add_u32_e32 v5, 0x61e8, v129
	v_dot4c_i32_i8_e32 v25, v13, v9
	ds_read2_b32 v[12:13], v5 offset1:1
	s_waitcnt lgkmcnt(3)
	v_dot4c_i32_i8_e32 v25, v14, v18
	v_add_u32_e32 v5, 0x61f0, v129
	v_dot4c_i32_i8_e32 v25, v15, v10
	v_mov_b32_e32 v143, 0
	ds_read2_b32 v[14:15], v5 offset1:1
	s_waitcnt lgkmcnt(3)
	v_dot4c_i32_i8_e32 v25, v144, v19
	s_waitcnt lgkmcnt(2)
	v_dot4c_i32_i8_e32 v143, v146, v16
	v_add_u32_e32 v5, 0x61f8, v129
	v_dot4c_i32_i8_e32 v25, v145, v11
	v_dot4c_i32_i8_e32 v143, v147, v8
	ds_read2_b32 v[144:145], v5 offset1:1
	s_waitcnt lgkmcnt(2)
	v_dot4c_i32_i8_e32 v143, v12, v17
	v_dot4c_i32_i8_e32 v143, v13, v9
	s_waitcnt lgkmcnt(1)
	v_dot4c_i32_i8_e32 v143, v14, v18
	v_dot4c_i32_i8_e32 v143, v15, v10
	;; [unrolled: 3-line block ×3, first 2 shown]
	v_cvt_f32_i32_e32 v11, v158
	v_cvt_f32_i32_e32 v10, v157
	;; [unrolled: 1-line block ×4, first 2 shown]
	v_mov_b32_e32 v8, v6
	v_mov_b32_e32 v9, v20
	v_pk_mul_f32 v[8:9], v[2:3], v[8:9] op_sel_hi:[0,1]
	v_mov_b32_e32 v20, v7
	v_pk_fma_f32 v[8:9], v[8:9], v[10:11], v[90:91]
	v_pk_mul_f32 v[2:3], v[2:3], v[20:21] op_sel:[1,0]
	v_mov_b32_e32 v6, v152
	v_pk_fma_f32 v[2:3], v[2:3], v[12:13], v[8:9]
	v_mov_b32_e32 v7, v106
	v_cvt_f32_i32_e32 v9, v166
	v_cvt_f32_i32_e32 v8, v165
	v_pk_mul_f32 v[4:5], v[4:5], v[6:7] op_sel_hi:[0,1]
	v_cvt_f32_i32_e32 v7, v143
	v_cvt_f32_i32_e32 v6, v25
	v_mov_b32_e32 v106, v153
	v_pk_fma_f32 v[2:3], v[4:5], v[8:9], v[2:3]
	v_pk_mul_f32 v[4:5], v[142:143], v[106:107] op_sel_hi:[0,1]
	v_pk_fma_f32 v[90:91], v[4:5], v[6:7], v[2:3]
	s_cmp_ge_i32 s24, s15
	s_barrier
	s_cbranch_scc1 .LBB221_5
; %bb.13:                               ;   in Loop: Header=BB221_6 Depth=1
	v_add_u32_e32 v2, s14, v134
	v_cmp_gt_i32_e64 s[2:3], s5, v2
	s_and_b64 s[20:21], s[0:1], s[2:3]
	s_and_saveexec_b64 s[2:3], s[20:21]
	s_cbranch_execz .LBB221_15
; %bb.14:                               ;   in Loop: Header=BB221_6 Depth=1
	v_add_u32_e32 v2, s14, v135
	v_mad_i64_i32 v[2:3], s[20:21], v2, 36, v[26:27]
	global_load_dword v2, v[2:3], off offset:4
	s_waitcnt vmcnt(0)
	ds_write_b32 v125, v2
.LBB221_15:                             ;   in Loop: Header=BB221_6 Depth=1
	s_or_b64 exec, exec, s[2:3]
	s_and_saveexec_b64 s[20:21], vcc
	s_cbranch_execz .LBB221_4
; %bb.16:                               ;   in Loop: Header=BB221_6 Depth=1
	v_add3_u32 v2, v22, s14, 4
	v_cmp_gt_i32_e64 s[2:3], s5, v2
	s_and_b64 s[2:3], s[0:1], s[2:3]
	s_and_b64 exec, exec, s[2:3]
	s_cbranch_execz .LBB221_4
; %bb.17:                               ;   in Loop: Header=BB221_6 Depth=1
	global_load_dword v2, v[28:29], off
	s_waitcnt vmcnt(0)
	v_cvt_f32_f16_e32 v2, v2
	ds_write_b32 v126, v2
	s_branch .LBB221_4
.LBB221_18:
	v_mov_b32_e32 v90, v91
	v_mov_b32_e32 v105, v91
	;; [unrolled: 1-line block ×3, first 2 shown]
.LBB221_19:
	s_mul_i32 s0, s7, s4
	s_waitcnt vmcnt(0)
	v_cmp_gt_i32_e32 vcc, s0, v1
	s_and_saveexec_b64 s[0:1], vcc
	s_cbranch_execz .LBB221_28
; %bb.20:
	v_and_b32_e32 v0, 0x3ff, v0
	v_add_u32_e32 v2, s22, v0
	v_mul_lo_u32 v0, v1, s6
	v_cmp_gt_u32_e32 vcc, s6, v2
	s_and_saveexec_b64 s[0:1], vcc
	s_cbranch_execz .LBB221_22
; %bb.21:
	v_bfe_u32 v1, v104, 16, 1
	s_movk_i32 s2, 0x7fff
	v_add3_u32 v1, v104, v1, s2
	v_lshrrev_b32_e32 v1, 16, v1
	v_mov_b32_e32 v3, 0x7fc0
	v_cmp_o_f32_e32 vcc, v104, v104
	v_add_u32_e32 v4, v0, v2
	v_mov_b32_e32 v5, 0
	v_cndmask_b32_e32 v1, v3, v1, vcc
	v_lshl_add_u64 v[4:5], v[4:5], 1, s[12:13]
	global_store_short v[4:5], v1, off
.LBB221_22:
	s_or_b64 exec, exec, s[0:1]
	v_add_u32_e32 v1, 32, v2
	v_cmp_gt_u32_e32 vcc, s6, v1
	s_and_saveexec_b64 s[0:1], vcc
	s_cbranch_execz .LBB221_24
; %bb.23:
	v_bfe_u32 v3, v105, 16, 1
	s_movk_i32 s2, 0x7fff
	v_add3_u32 v3, v105, v3, s2
	v_lshrrev_b32_e32 v3, 16, v3
	v_mov_b32_e32 v4, 0x7fc0
	v_cmp_o_f32_e32 vcc, v105, v105
	v_mov_b32_e32 v5, 0
	s_nop 0
	v_cndmask_b32_e32 v3, v4, v3, vcc
	v_add_u32_e32 v4, v0, v1
	v_lshl_add_u64 v[4:5], v[4:5], 1, s[12:13]
	global_store_short v[4:5], v3, off
.LBB221_24:
	s_or_b64 exec, exec, s[0:1]
	v_add_u32_e32 v1, 64, v2
	v_cmp_gt_u32_e32 vcc, s6, v1
	s_and_saveexec_b64 s[0:1], vcc
	s_cbranch_execz .LBB221_26
; %bb.25:
	v_bfe_u32 v3, v90, 16, 1
	s_movk_i32 s2, 0x7fff
	v_add3_u32 v3, v90, v3, s2
	v_lshrrev_b32_e32 v3, 16, v3
	v_mov_b32_e32 v4, 0x7fc0
	v_cmp_o_f32_e32 vcc, v90, v90
	v_mov_b32_e32 v5, 0
	s_nop 0
	v_cndmask_b32_e32 v3, v4, v3, vcc
	v_add_u32_e32 v4, v0, v1
	v_lshl_add_u64 v[4:5], v[4:5], 1, s[12:13]
	global_store_short v[4:5], v3, off
.LBB221_26:
	s_or_b64 exec, exec, s[0:1]
	v_add_u32_e32 v1, 0x60, v2
	v_cmp_gt_u32_e32 vcc, s6, v1
	s_and_b64 exec, exec, vcc
	s_cbranch_execz .LBB221_28
; %bb.27:
	v_bfe_u32 v2, v91, 16, 1
	s_movk_i32 s0, 0x7fff
	v_add3_u32 v2, v91, v2, s0
	v_lshrrev_b32_e32 v2, 16, v2
	v_mov_b32_e32 v3, 0x7fc0
	v_cmp_o_f32_e32 vcc, v91, v91
	v_add_u32_e32 v0, v0, v1
	v_mov_b32_e32 v1, 0
	v_cndmask_b32_e32 v2, v3, v2, vcc
	v_lshl_add_u64 v[0:1], v[0:1], 1, s[12:13]
	global_store_short v[0:1], v2, off
.LBB221_28:
	s_endpgm
	.section	.rodata,"a",@progbits
	.p2align	6, 0x0
	.amdhsa_kernel _ZL8moe_q5_0IN3c108BFloat16ELb0EEvPKvS3_PT_PKiS7_S7_iiiiiii
		.amdhsa_group_segment_fixed_size 38656
		.amdhsa_private_segment_fixed_size 0
		.amdhsa_kernarg_size 76
		.amdhsa_user_sgpr_count 2
		.amdhsa_user_sgpr_dispatch_ptr 0
		.amdhsa_user_sgpr_queue_ptr 0
		.amdhsa_user_sgpr_kernarg_segment_ptr 1
		.amdhsa_user_sgpr_dispatch_id 0
		.amdhsa_user_sgpr_kernarg_preload_length 0
		.amdhsa_user_sgpr_kernarg_preload_offset 0
		.amdhsa_user_sgpr_private_segment_size 0
		.amdhsa_uses_dynamic_stack 0
		.amdhsa_enable_private_segment 0
		.amdhsa_system_sgpr_workgroup_id_x 1
		.amdhsa_system_sgpr_workgroup_id_y 1
		.amdhsa_system_sgpr_workgroup_id_z 0
		.amdhsa_system_sgpr_workgroup_info 0
		.amdhsa_system_vgpr_workitem_id 1
		.amdhsa_next_free_vgpr 169
		.amdhsa_next_free_sgpr 28
		.amdhsa_accum_offset 172
		.amdhsa_reserve_vcc 1
		.amdhsa_float_round_mode_32 0
		.amdhsa_float_round_mode_16_64 0
		.amdhsa_float_denorm_mode_32 3
		.amdhsa_float_denorm_mode_16_64 3
		.amdhsa_dx10_clamp 1
		.amdhsa_ieee_mode 1
		.amdhsa_fp16_overflow 0
		.amdhsa_tg_split 0
		.amdhsa_exception_fp_ieee_invalid_op 0
		.amdhsa_exception_fp_denorm_src 0
		.amdhsa_exception_fp_ieee_div_zero 0
		.amdhsa_exception_fp_ieee_overflow 0
		.amdhsa_exception_fp_ieee_underflow 0
		.amdhsa_exception_fp_ieee_inexact 0
		.amdhsa_exception_int_div_zero 0
	.end_amdhsa_kernel
	.section	.text._ZL8moe_q5_0IN3c108BFloat16ELb0EEvPKvS3_PT_PKiS7_S7_iiiiiii,"axG",@progbits,_ZL8moe_q5_0IN3c108BFloat16ELb0EEvPKvS3_PT_PKiS7_S7_iiiiiii,comdat
.Lfunc_end221:
	.size	_ZL8moe_q5_0IN3c108BFloat16ELb0EEvPKvS3_PT_PKiS7_S7_iiiiiii, .Lfunc_end221-_ZL8moe_q5_0IN3c108BFloat16ELb0EEvPKvS3_PT_PKiS7_S7_iiiiiii
                                        ; -- End function
	.section	.AMDGPU.csdata,"",@progbits
; Kernel info:
; codeLenInByte = 12808
; NumSgprs: 34
; NumVgprs: 169
; NumAgprs: 0
; TotalNumVgprs: 169
; ScratchSize: 0
; MemoryBound: 0
; FloatMode: 240
; IeeeMode: 1
; LDSByteSize: 38656 bytes/workgroup (compile time only)
; SGPRBlocks: 4
; VGPRBlocks: 21
; NumSGPRsForWavesPerEU: 34
; NumVGPRsForWavesPerEU: 169
; AccumOffset: 172
; Occupancy: 1
; WaveLimiterHint : 1
; COMPUTE_PGM_RSRC2:SCRATCH_EN: 0
; COMPUTE_PGM_RSRC2:USER_SGPR: 2
; COMPUTE_PGM_RSRC2:TRAP_HANDLER: 0
; COMPUTE_PGM_RSRC2:TGID_X_EN: 1
; COMPUTE_PGM_RSRC2:TGID_Y_EN: 1
; COMPUTE_PGM_RSRC2:TGID_Z_EN: 0
; COMPUTE_PGM_RSRC2:TIDIG_COMP_CNT: 1
; COMPUTE_PGM_RSRC3_GFX90A:ACCUM_OFFSET: 42
; COMPUTE_PGM_RSRC3_GFX90A:TG_SPLIT: 0
	.section	.text._ZL8moe_q5_0IN3c108BFloat16ELb1EEvPKvS3_PT_PKiS7_S7_iiiiiii,"axG",@progbits,_ZL8moe_q5_0IN3c108BFloat16ELb1EEvPKvS3_PT_PKiS7_S7_iiiiiii,comdat
	.globl	_ZL8moe_q5_0IN3c108BFloat16ELb1EEvPKvS3_PT_PKiS7_S7_iiiiiii ; -- Begin function _ZL8moe_q5_0IN3c108BFloat16ELb1EEvPKvS3_PT_PKiS7_S7_iiiiiii
	.p2align	8
	.type	_ZL8moe_q5_0IN3c108BFloat16ELb1EEvPKvS3_PT_PKiS7_S7_iiiiiii,@function
_ZL8moe_q5_0IN3c108BFloat16ELb1EEvPKvS3_PT_PKiS7_S7_iiiiiii: ; @_ZL8moe_q5_0IN3c108BFloat16ELb1EEvPKvS3_PT_PKiS7_S7_iiiiiii
; %bb.0:
	s_load_dwordx4 s[4:7], s[0:1], 0x18
	s_mov_b32 s8, s3
	s_mov_b32 s9, 0
	s_lshl_b64 s[10:11], s[8:9], 2
	s_waitcnt lgkmcnt(0)
	s_add_u32 s6, s6, s10
	s_addc_u32 s7, s7, s11
	s_load_dword s3, s[6:7], 0x0
	s_waitcnt lgkmcnt(0)
	s_cmpk_gt_u32 s3, 0xff
	s_cbranch_scc1 .LBB222_28
; %bb.1:
	s_load_dwordx2 s[6:7], s[0:1], 0x28
	s_waitcnt lgkmcnt(0)
	s_load_dword s7, s[6:7], 0x0
	s_lshl_b32 s6, s8, 3
	s_waitcnt lgkmcnt(0)
	s_cmp_gt_u32 s6, s7
	s_cbranch_scc1 .LBB222_28
; %bb.2:
	v_bfe_u32 v2, v0, 10, 10
	v_mov_b32_e32 v4, s4
	v_mov_b32_e32 v5, s5
	v_add_u32_e32 v122, s6, v2
	v_mov_b32_e32 v123, 0
	v_lshl_add_u64 v[4:5], v[122:123], 2, v[4:5]
	global_load_dword v1, v[4:5], off
	s_load_dwordx8 s[4:11], s[0:1], 0x30
	s_load_dwordx2 s[16:17], s[0:1], 0x10
	s_waitcnt lgkmcnt(0)
	s_lshl_b32 s11, s2, 7
	s_cmp_lt_i32 s5, 32
	s_cbranch_scc1 .LBB222_18
; %bb.3:
	s_load_dwordx4 s[12:15], s[0:1], 0x0
	s_ashr_i32 s0, s5, 31
	s_lshr_b32 s0, s0, 27
	s_add_i32 s0, s5, s0
	s_ashr_i32 s24, s0, 5
	s_ashr_i32 s0, s8, 31
	s_lshr_b32 s0, s0, 27
	s_add_i32 s0, s8, s0
	s_ashr_i32 s8, s0, 5
	s_not_b32 s0, s11
	s_mul_i32 s18, s3, s4
	s_add_i32 s3, s0, s6
	v_and_b32_e32 v22, 0x3ff, v0
	v_min_i32_e32 v5, s3, v2
	v_lshlrev_b32_e32 v4, 3, v22
	s_movk_i32 s6, 0x104
	v_mul_lo_u32 v9, v5, s24
	v_mad_u64_u32 v[26:27], s[0:1], v5, s6, v[4:5]
	v_add_u32_e32 v5, 8, v2
	v_min_i32_e32 v5, s3, v5
	v_mul_lo_u32 v10, v5, s24
	v_mad_u64_u32 v[28:29], s[0:1], v5, s6, v[4:5]
	v_add_u32_e32 v5, 16, v2
	v_min_i32_e32 v5, s3, v5
	;; [unrolled: 4-line block ×15, first 2 shown]
	v_lshlrev_b32_e32 v6, 2, v2
	v_lshrrev_b32_e32 v27, 3, v22
	v_mad_u64_u32 v[56:57], s[0:1], v5, s6, v[4:5]
	v_add_u32_e32 v4, v27, v6
	v_mul_lo_u32 v55, v5, s24
	v_min_i32_e32 v5, s3, v4
	v_ashrrev_i32_e32 v7, 31, v5
	v_lshrrev_b32_e32 v7, 30, v7
	v_and_b32_e32 v57, 7, v22
	v_mul_lo_u32 v122, v5, s24
	v_add_u32_e32 v7, v5, v7
	v_lshlrev_b32_e32 v136, 5, v5
	v_add_u32_e32 v5, 32, v4
	v_and_b32_e32 v7, -4, v7
	v_lshlrev_b32_e32 v23, 2, v57
	s_mov_b32 s0, 0x8200
	v_min_i32_e32 v5, s3, v5
	v_add3_u32 v123, v7, v23, s0
	v_ashrrev_i32_e32 v7, 31, v5
	v_lshrrev_b32_e32 v7, 30, v7
	v_mul_lo_u32 v130, v5, s24
	v_add_u32_e32 v7, v5, v7
	v_lshlrev_b32_e32 v138, 5, v5
	v_add_u32_e32 v5, 64, v4
	v_and_b32_e32 v7, -4, v7
	v_min_i32_e32 v5, s3, v5
	v_add3_u32 v137, v7, v23, s0
	v_ashrrev_i32_e32 v7, 31, v5
	v_add_u32_e32 v4, 0x60, v4
	v_lshrrev_b32_e32 v7, 30, v7
	v_min_i32_e32 v4, s3, v4
	v_mul_lo_u32 v132, v5, s24
	v_add_u32_e32 v7, v5, v7
	v_lshlrev_b32_e32 v140, 5, v5
	v_ashrrev_i32_e32 v5, 31, v4
	v_lshrrev_b32_e32 v5, 30, v5
	v_add_u32_e32 v5, v4, v5
	v_lshlrev_b32_e32 v3, 2, v22
	v_mov_b32_e32 v25, 0
	v_and_b32_e32 v5, -4, v5
	v_and_b32_e32 v7, -4, v7
	v_mul_lo_u32 v134, v4, s24
	v_add3_u32 v141, v5, v23, s0
	v_lshlrev_b32_e32 v142, 5, v4
	v_and_b32_e32 v4, 28, v3
	v_mov_b32_e32 v5, v25
	v_and_b32_e32 v24, 12, v3
	v_add3_u32 v139, v7, v23, s0
	v_and_b32_e32 v7, 31, v22
	s_waitcnt lgkmcnt(0)
	v_lshl_add_u64 v[58:59], s[14:15], 0, v[4:5]
	v_lshlrev_b32_e32 v3, 7, v2
	v_mov_b32_e32 v5, 0x9680
	v_lshl_or_b32 v4, v7, 2, v3
	v_add_u32_e32 v33, 0x9280, v3
	v_lshl_add_u32 v35, v2, 4, v5
	v_and_b32_e32 v2, 0xfc, v22
	v_lshlrev_b32_e32 v3, 5, v22
	v_add_u32_e32 v29, 0x9280, v4
	v_or_b32_e32 v4, v6, v22
	v_add3_u32 v39, v3, v2, s0
	v_add_u32_e32 v2, 32, v22
	v_lshl_add_u32 v31, v4, 2, v5
	v_and_b32_e32 v3, 0x1fc, v2
	v_lshlrev_b32_e32 v4, 5, v2
	v_add3_u32 v41, v4, v3, s0
	v_add_u32_e32 v3, 64, v22
	v_and_b32_e32 v4, 0x1fc, v3
	v_lshlrev_b32_e32 v3, 5, v3
	s_abs_i32 s3, s10
	v_add3_u32 v43, v3, v4, s0
	v_cvt_f32_u32_e32 v4, s3
	v_add_u32_e32 v3, 0x60, v22
	v_and_b32_e32 v5, 0x1fc, v3
	v_lshlrev_b32_e32 v3, 5, v3
	v_add3_u32 v45, v3, v5, s0
	v_rcp_iflag_f32_e32 v3, v4
	s_sub_i32 s0, 0, s3
	s_waitcnt vmcnt(0)
	v_sub_u32_e32 v4, 0, v1
	v_max_i32_e32 v4, v1, v4
	v_mul_f32_e32 v3, 0x4f7ffffe, v3
	v_cvt_u32_f32_e32 v3, v3
	v_lshrrev_b32_e32 v47, 3, v2
	v_xor_b32_e32 v2, s10, v1
	v_ashrrev_i32_e32 v2, 31, v2
	v_mul_lo_u32 v5, s0, v3
	v_mul_hi_u32 v5, v3, v5
	v_add_u32_e32 v3, v3, v5
	v_mul_hi_u32 v3, v4, v3
	v_mul_lo_u32 v5, v3, s3
	v_sub_u32_e32 v4, v4, v5
	v_add_u32_e32 v5, 1, v3
	v_cmp_le_u32_e64 s[0:1], s3, v4
	v_mov_b32_e32 v23, v25
	s_mul_i32 s2, s24, s11
	v_cndmask_b32_e64 v3, v3, v5, s[0:1]
	v_subrev_u32_e32 v5, s3, v4
	v_cndmask_b32_e64 v4, v4, v5, s[0:1]
	v_add_u32_e32 v5, 1, v3
	v_cmp_le_u32_e64 s[0:1], s3, v4
	s_mul_hi_i32 s3, s2, 22
	s_mul_i32 s6, s2, 22
	v_cndmask_b32_e64 v3, v3, v5, s[0:1]
	v_xor_b32_e32 v3, v3, v2
	v_sub_u32_e32 v2, v3, v2
	v_cmp_gt_i32_e64 s[0:1], s7, v2
	v_mul_lo_u32 v2, v2, s8
	v_ashrrev_i32_e32 v3, 31, v2
	v_lshl_add_u64 v[4:5], v[2:3], 0, v[22:23]
	v_mad_u64_u32 v[6:7], s[20:21], v4, 36, s[14:15]
	v_lshrrev_b32_e32 v8, 2, v22
	v_mad_i32_i24 v7, v5, 36, v7
	s_mov_b64 s[20:21], 0x90
	v_add_u32_e32 v23, v22, v2
	v_add_u32_e32 v49, v47, v2
	;; [unrolled: 1-line block ×3, first 2 shown]
	v_mov_b32_e32 v2, s6
	v_mov_b32_e32 v3, s3
	v_lshl_add_u64 v[60:61], v[6:7], 0, s[20:21]
	v_mad_u64_u32 v[2:3], s[20:21], v8, 22, v[2:3]
	v_mad_i64_i32 v[4:5], s[20:21], v9, 22, v[2:3]
	v_lshl_add_u64 v[6:7], v[4:5], 0, v[24:25]
	v_lshl_add_u64 v[64:65], s[12:13], 0, v[4:5]
	v_mad_i64_i32 v[4:5], s[20:21], v10, 22, v[2:3]
	v_lshl_add_u64 v[4:5], v[4:5], 0, s[12:13]
	v_lshl_add_u64 v[66:67], v[4:5], 0, v[24:25]
	v_lshl_add_u64 v[68:69], v[4:5], 0, 2
	v_mad_i64_i32 v[4:5], s[20:21], v11, 22, v[2:3]
	v_lshl_add_u64 v[4:5], v[4:5], 0, s[12:13]
	;; [unrolled: 4-line block ×13, first 2 shown]
	v_lshl_add_u64 v[114:115], v[4:5], 0, v[24:25]
	v_lshl_add_u64 v[116:117], v[4:5], 0, 2
	v_mad_i64_i32 v[4:5], s[20:21], v53, 22, v[2:3]
	v_mad_i64_i32 v[2:3], s[20:21], v55, 22, v[2:3]
	v_lshl_add_u64 v[2:3], v[2:3], 0, s[12:13]
	v_lshl_add_u64 v[124:125], v[2:3], 0, v[24:25]
	;; [unrolled: 1-line block ×3, first 2 shown]
	v_mad_i64_i32 v[2:3], s[20:21], v122, 22, 0
	v_mad_i64_i32 v[2:3], s[20:21], s2, 22, v[2:3]
	v_mad_u64_u32 v[2:3], s[20:21], v57, 22, v[2:3]
	v_lshl_add_u64 v[128:129], s[12:13], 0, v[2:3]
	v_mad_i64_i32 v[2:3], s[20:21], v130, 22, 0
	v_mad_i64_i32 v[2:3], s[20:21], s2, 22, v[2:3]
	v_mad_u64_u32 v[2:3], s[20:21], v57, 22, v[2:3]
	v_lshl_add_u64 v[130:131], s[12:13], 0, v[2:3]
	v_mad_i64_i32 v[2:3], s[20:21], v132, 22, 0
	v_mad_i64_i32 v[2:3], s[20:21], s2, 22, v[2:3]
	v_mad_u64_u32 v[2:3], s[20:21], v57, 22, v[2:3]
	v_lshl_add_u64 v[132:133], s[12:13], 0, v[2:3]
	v_mad_i64_i32 v[2:3], s[20:21], v134, 22, 0
	v_mad_i64_i32 v[2:3], s[2:3], s2, 22, v[2:3]
	v_lshl_add_u64 v[4:5], v[4:5], 0, s[12:13]
	v_mad_u64_u32 v[2:3], s[2:3], v57, 22, v[2:3]
	s_ashr_i32 s19, s18, 31
	s_mov_b32 s4, 0
	v_cmp_gt_u32_e32 vcc, 4, v22
	v_mul_u32_u24_e32 v37, 0x104, v22
	v_lshl_add_u64 v[62:63], s[12:13], 0, v[6:7]
	v_lshl_add_u64 v[118:119], v[4:5], 0, v[24:25]
	;; [unrolled: 1-line block ×4, first 2 shown]
	s_movk_i32 s6, 0x80
	s_movk_i32 s25, 0x1f00
	;; [unrolled: 1-line block ×4, first 2 shown]
	v_add_u32_e32 v53, v123, v136
	v_add_u32_e32 v55, v137, v138
	;; [unrolled: 1-line block ×4, first 2 shown]
	s_mov_b64 s[12:13], 0x120
	s_mov_b64 s[20:21], 0xb0
	v_mov_b32_e32 v141, 8
	v_mov_b32_e32 v136, v25
	;; [unrolled: 1-line block ×5, first 2 shown]
	s_branch .LBB222_6
.LBB222_4:                              ;   in Loop: Header=BB222_6 Depth=1
	s_or_b64 exec, exec, s[22:23]
	s_waitcnt lgkmcnt(0)
	s_barrier
	ds_read_b128 v[2:5], v35
	ds_read2_b32 v[138:139], v37 offset0:32 offset1:33
	ds_read_b128 v[14:17], v33
	ds_read_b128 v[18:21], v33 offset:16
	ds_read_b128 v[6:9], v33 offset:32
	;; [unrolled: 1-line block ×3, first 2 shown]
	ds_read2_b32 v[142:143], v37 offset0:34 offset1:35
	v_mov_b32_e32 v25, 0
	s_waitcnt lgkmcnt(4)
	v_dot4c_i32_i8_e32 v25, v138, v14
	s_waitcnt lgkmcnt(3)
	v_dot4c_i32_i8_e32 v25, v139, v18
	ds_read2_b32 v[138:139], v37 offset0:36 offset1:37
	ds_read2_b32 v[144:145], v37 offset0:38 offset1:39
	;; [unrolled: 1-line block ×3, first 2 shown]
	s_waitcnt lgkmcnt(3)
	v_dot4c_i32_i8_e32 v25, v142, v15
	v_dot4c_i32_i8_e32 v25, v143, v19
	s_waitcnt lgkmcnt(2)
	v_dot4c_i32_i8_e32 v25, v138, v16
	v_add_u32_e32 v138, 0x2100, v37
	ds_read2_b32 v[142:143], v138 offset1:1
	v_mov_b32_e32 v156, 0
	v_dot4c_i32_i8_e32 v25, v139, v20
	ds_read2_b32 v[138:139], v45 offset0:6 offset1:7
	s_waitcnt lgkmcnt(3)
	v_dot4c_i32_i8_e32 v25, v144, v17
	s_waitcnt lgkmcnt(1)
	v_dot4c_i32_i8_e32 v156, v142, v14
	v_add_u32_e32 v142, 0x2108, v37
	v_dot4c_i32_i8_e32 v156, v143, v18
	ds_read2_b32 v[142:143], v142 offset1:1
	v_add_u32_e32 v144, 0x2110, v37
	v_add_u32_e32 v148, 0x2118, v37
	;; [unrolled: 1-line block ×3, first 2 shown]
	v_dot4c_i32_i8_e32 v25, v145, v21
	ds_read2_b32 v[144:145], v144 offset1:1
	ds_read2_b32 v[148:149], v148 offset1:1
	ds_read2_b32 v[150:151], v150 offset1:1
	s_waitcnt lgkmcnt(3)
	v_dot4c_i32_i8_e32 v156, v142, v15
	v_dot4c_i32_i8_e32 v156, v143, v19
	s_waitcnt lgkmcnt(2)
	v_dot4c_i32_i8_e32 v156, v144, v16
	v_dot4c_i32_i8_e32 v156, v145, v20
	v_mov_b32_e32 v157, 0
	s_waitcnt lgkmcnt(1)
	v_dot4c_i32_i8_e32 v156, v148, v17
	s_waitcnt lgkmcnt(0)
	v_dot4c_i32_i8_e32 v157, v150, v14
	v_add_u32_e32 v142, 0x4188, v37
	v_add_u32_e32 v144, 0x4190, v37
	;; [unrolled: 1-line block ×4, first 2 shown]
	v_dot4c_i32_i8_e32 v156, v149, v21
	v_dot4c_i32_i8_e32 v157, v151, v18
	ds_read2_b32 v[142:143], v142 offset1:1
	ds_read2_b32 v[144:145], v144 offset1:1
	;; [unrolled: 1-line block ×4, first 2 shown]
	v_mov_b32_e32 v158, 0
	v_mov_b32_e32 v159, 0
	v_dot4c_i32_i8_e32 v159, v146, v6
	s_waitcnt lgkmcnt(3)
	v_dot4c_i32_i8_e32 v157, v142, v15
	s_waitcnt lgkmcnt(0)
	v_dot4c_i32_i8_e32 v158, v150, v14
	v_add_u32_e32 v14, 0x6208, v37
	v_dot4c_i32_i8_e32 v157, v143, v19
	ds_read2_b32 v[142:143], v14 offset1:1
	v_dot4c_i32_i8_e32 v157, v144, v16
	v_dot4c_i32_i8_e32 v157, v145, v20
	;; [unrolled: 1-line block ×4, first 2 shown]
	v_add_u32_e32 v18, 0x6210, v37
	v_add_u32_e32 v148, 0x6218, v37
	v_dot4c_i32_i8_e32 v157, v149, v21
	v_add_u32_e32 v14, 0x2120, v37
	ds_read2_b32 v[144:145], v18 offset1:1
	ds_read2_b32 v[148:149], v148 offset1:1
	;; [unrolled: 1-line block ×3, first 2 shown]
	s_waitcnt lgkmcnt(3)
	v_dot4c_i32_i8_e32 v158, v142, v15
	v_dot4c_i32_i8_e32 v158, v143, v19
	ds_read2_b32 v[14:15], v37 offset0:42 offset1:43
	s_waitcnt lgkmcnt(3)
	v_dot4c_i32_i8_e32 v158, v144, v16
	v_dot4c_i32_i8_e32 v158, v145, v20
	s_waitcnt lgkmcnt(2)
	v_dot4c_i32_i8_e32 v158, v148, v17
	v_dot4c_i32_i8_e32 v158, v149, v21
	;; [unrolled: 1-line block ×3, first 2 shown]
	ds_read2_b32 v[16:17], v37 offset0:44 offset1:45
	ds_read2_b32 v[18:19], v37 offset0:46 offset1:47
	;; [unrolled: 1-line block ×3, first 2 shown]
	s_waitcnt lgkmcnt(3)
	v_dot4c_i32_i8_e32 v159, v14, v7
	v_add_u32_e32 v14, 0x2128, v37
	v_dot4c_i32_i8_e32 v159, v15, v11
	ds_read2_b32 v[14:15], v14 offset1:1
	s_waitcnt lgkmcnt(3)
	v_dot4c_i32_i8_e32 v159, v16, v8
	v_dot4c_i32_i8_e32 v159, v17, v12
	v_mov_b32_e32 v160, 0
	s_waitcnt lgkmcnt(2)
	v_dot4c_i32_i8_e32 v159, v18, v9
	v_dot4c_i32_i8_e32 v160, v150, v6
	v_add_u32_e32 v16, 0x2130, v37
	v_add_u32_e32 v18, 0x2138, v37
	;; [unrolled: 1-line block ×3, first 2 shown]
	v_dot4c_i32_i8_e32 v159, v19, v13
	v_dot4c_i32_i8_e32 v160, v151, v10
	ds_read2_b32 v[16:17], v16 offset1:1
	ds_read2_b32 v[18:19], v18 offset1:1
	;; [unrolled: 1-line block ×3, first 2 shown]
	s_waitcnt lgkmcnt(3)
	v_dot4c_i32_i8_e32 v160, v14, v7
	v_dot4c_i32_i8_e32 v160, v15, v11
	s_waitcnt lgkmcnt(2)
	v_dot4c_i32_i8_e32 v160, v16, v8
	v_dot4c_i32_i8_e32 v160, v17, v12
	v_mov_b32_e32 v161, 0
	s_waitcnt lgkmcnt(1)
	v_dot4c_i32_i8_e32 v160, v18, v9
	s_waitcnt lgkmcnt(0)
	v_dot4c_i32_i8_e32 v161, v142, v6
	v_add_u32_e32 v14, 0x41a8, v37
	v_add_u32_e32 v16, 0x41b0, v37
	;; [unrolled: 1-line block ×4, first 2 shown]
	v_dot4c_i32_i8_e32 v160, v19, v13
	v_dot4c_i32_i8_e32 v161, v143, v10
	ds_read2_b32 v[14:15], v14 offset1:1
	ds_read2_b32 v[16:17], v16 offset1:1
	;; [unrolled: 1-line block ×4, first 2 shown]
	v_mov_b32_e32 v162, 0
	v_mov_b32_e32 v163, 0
	;; [unrolled: 1-line block ×3, first 2 shown]
	s_waitcnt lgkmcnt(3)
	v_dot4c_i32_i8_e32 v161, v14, v7
	s_waitcnt lgkmcnt(0)
	v_dot4c_i32_i8_e32 v162, v142, v6
	v_add_u32_e32 v6, 0x6228, v37
	v_dot4c_i32_i8_e32 v161, v15, v11
	ds_read2_b32 v[14:15], v6 offset1:1
	v_dot4c_i32_i8_e32 v161, v16, v8
	v_dot4c_i32_i8_e32 v161, v17, v12
	;; [unrolled: 1-line block ×4, first 2 shown]
	v_add_u32_e32 v10, 0x6230, v37
	v_add_u32_e32 v18, 0x6238, v37
	v_dot4c_i32_i8_e32 v161, v19, v13
	v_add_u32_e32 v6, 0x2140, v37
	ds_read2_b32 v[16:17], v10 offset1:1
	ds_read2_b32 v[18:19], v18 offset1:1
	;; [unrolled: 1-line block ×3, first 2 shown]
	s_waitcnt lgkmcnt(3)
	v_dot4c_i32_i8_e32 v162, v14, v7
	v_dot4c_i32_i8_e32 v162, v15, v11
	s_waitcnt lgkmcnt(2)
	v_dot4c_i32_i8_e32 v162, v16, v8
	v_dot4c_i32_i8_e32 v162, v17, v12
	;; [unrolled: 3-line block ×3, first 2 shown]
	ds_read_b128 v[8:11], v33 offset:64
	ds_read_b128 v[12:15], v33 offset:80
	ds_read2_b32 v[6:7], v43 offset0:4 offset1:5
	ds_read2_b32 v[144:145], v41 offset0:6 offset1:7
	;; [unrolled: 1-line block ×5, first 2 shown]
	s_waitcnt lgkmcnt(6)
	v_dot4c_i32_i8_e32 v163, v20, v8
	s_waitcnt lgkmcnt(5)
	v_dot4c_i32_i8_e32 v163, v21, v12
	ds_read2_b32 v[18:19], v37 offset0:52 offset1:53
	ds_read2_b32 v[20:21], v37 offset0:54 offset1:55
	;; [unrolled: 1-line block ×3, first 2 shown]
	v_dot4c_i32_i8_e32 v164, v142, v8
	s_waitcnt lgkmcnt(3)
	v_dot4c_i32_i8_e32 v163, v16, v9
	v_add_u32_e32 v16, 0x2148, v37
	v_dot4c_i32_i8_e32 v163, v17, v13
	ds_read2_b32 v[16:17], v16 offset1:1
	s_waitcnt lgkmcnt(3)
	v_dot4c_i32_i8_e32 v163, v18, v10
	v_dot4c_i32_i8_e32 v163, v19, v14
	s_waitcnt lgkmcnt(2)
	v_dot4c_i32_i8_e32 v163, v20, v11
	v_add_u32_e32 v18, 0x2150, v37
	v_add_u32_e32 v20, 0x2158, v37
	;; [unrolled: 1-line block ×3, first 2 shown]
	v_dot4c_i32_i8_e32 v163, v21, v15
	v_dot4c_i32_i8_e32 v164, v143, v12
	ds_read2_b32 v[18:19], v18 offset1:1
	ds_read2_b32 v[20:21], v20 offset1:1
	;; [unrolled: 1-line block ×3, first 2 shown]
	s_waitcnt lgkmcnt(3)
	v_dot4c_i32_i8_e32 v164, v16, v9
	v_dot4c_i32_i8_e32 v164, v17, v13
	s_waitcnt lgkmcnt(2)
	v_dot4c_i32_i8_e32 v164, v18, v10
	v_dot4c_i32_i8_e32 v164, v19, v14
	v_mov_b32_e32 v165, 0
	s_waitcnt lgkmcnt(1)
	v_dot4c_i32_i8_e32 v164, v20, v11
	s_waitcnt lgkmcnt(0)
	v_dot4c_i32_i8_e32 v165, v142, v8
	v_add_u32_e32 v16, 0x41c8, v37
	v_add_u32_e32 v18, 0x41d0, v37
	;; [unrolled: 1-line block ×4, first 2 shown]
	v_dot4c_i32_i8_e32 v164, v21, v15
	ds_read2_b32 v[20:21], v45 offset0:4 offset1:5
	ds_read2_b32 v[152:153], v43 offset0:6 offset1:7
	v_dot4c_i32_i8_e32 v165, v143, v12
	ds_read2_b32 v[16:17], v16 offset1:1
	ds_read2_b32 v[18:19], v18 offset1:1
	;; [unrolled: 1-line block ×4, first 2 shown]
	v_mov_b32_e32 v166, 0
	v_mov_b32_e32 v167, 0
	;; [unrolled: 1-line block ×3, first 2 shown]
	s_waitcnt lgkmcnt(3)
	v_dot4c_i32_i8_e32 v165, v16, v9
	s_waitcnt lgkmcnt(0)
	v_dot4c_i32_i8_e32 v166, v154, v8
	v_add_u32_e32 v8, 0x6248, v37
	v_dot4c_i32_i8_e32 v165, v17, v13
	ds_read2_b32 v[16:17], v8 offset1:1
	v_dot4c_i32_i8_e32 v165, v18, v10
	v_dot4c_i32_i8_e32 v165, v19, v14
	;; [unrolled: 1-line block ×4, first 2 shown]
	v_add_u32_e32 v12, 0x6250, v37
	v_add_u32_e32 v142, 0x6258, v37
	v_dot4c_i32_i8_e32 v165, v143, v15
	v_add_u32_e32 v8, 0x2160, v37
	ds_read2_b32 v[18:19], v12 offset1:1
	ds_read2_b32 v[142:143], v142 offset1:1
	;; [unrolled: 1-line block ×3, first 2 shown]
	s_waitcnt lgkmcnt(3)
	v_dot4c_i32_i8_e32 v166, v16, v9
	v_dot4c_i32_i8_e32 v166, v17, v13
	s_waitcnt lgkmcnt(2)
	v_dot4c_i32_i8_e32 v166, v18, v10
	v_dot4c_i32_i8_e32 v166, v19, v14
	ds_read_b128 v[16:19], v33 offset:96
	s_waitcnt lgkmcnt(2)
	v_dot4c_i32_i8_e32 v166, v142, v11
	ds_read_b128 v[8:11], v33 offset:112
	ds_read2_b32 v[12:13], v37 offset0:58 offset1:59
	v_dot4c_i32_i8_e32 v166, v143, v15
	s_waitcnt lgkmcnt(2)
	v_dot4c_i32_i8_e32 v167, v150, v16
	v_dot4c_i32_i8_e32 v168, v154, v16
	s_waitcnt lgkmcnt(1)
	v_dot4c_i32_i8_e32 v167, v151, v8
	ds_read2_b32 v[14:15], v37 offset0:60 offset1:61
	ds_read2_b32 v[142:143], v39 offset0:4 offset1:5
	;; [unrolled: 1-line block ×3, first 2 shown]
	s_waitcnt lgkmcnt(3)
	v_dot4c_i32_i8_e32 v167, v12, v17
	v_add_u32_e32 v12, 0x2168, v37
	v_dot4c_i32_i8_e32 v167, v13, v9
	ds_read2_b32 v[12:13], v12 offset1:1
	s_waitcnt lgkmcnt(3)
	v_dot4c_i32_i8_e32 v167, v14, v18
	v_dot4c_i32_i8_e32 v167, v15, v10
	s_waitcnt lgkmcnt(1)
	v_dot4c_i32_i8_e32 v167, v150, v19
	v_add_u32_e32 v14, 0x2170, v37
	v_add_u32_e32 v150, 0x2178, v37
	;; [unrolled: 1-line block ×3, first 2 shown]
	v_dot4c_i32_i8_e32 v167, v151, v11
	v_dot4c_i32_i8_e32 v168, v155, v8
	ds_read2_b32 v[14:15], v14 offset1:1
	ds_read2_b32 v[150:151], v150 offset1:1
	;; [unrolled: 1-line block ×3, first 2 shown]
	s_waitcnt lgkmcnt(3)
	v_dot4c_i32_i8_e32 v168, v12, v17
	v_dot4c_i32_i8_e32 v168, v13, v9
	s_waitcnt lgkmcnt(2)
	v_dot4c_i32_i8_e32 v168, v14, v18
	v_dot4c_i32_i8_e32 v168, v15, v10
	s_waitcnt lgkmcnt(1)
	v_dot4c_i32_i8_e32 v168, v150, v19
	v_cvt_f32_i32_e32 v15, v156
	v_cvt_f32_i32_e32 v14, v25
	v_dot4c_i32_i8_e32 v168, v151, v11
	v_cvt_f32_i32_e32 v151, v160
	v_cvt_f32_i32_e32 v150, v159
	v_mov_b32_e32 v12, v142
	v_mov_b32_e32 v13, v146
	v_pk_mul_f32 v[12:13], v[2:3], v[12:13] op_sel_hi:[0,1]
	v_mov_b32_e32 v146, v143
	v_pk_fma_f32 v[12:13], v[12:13], v[14:15], v[136:137]
	v_pk_mul_f32 v[14:15], v[2:3], v[146:147] op_sel:[1,0]
	v_mov_b32_e32 v136, v148
	v_pk_fma_f32 v[12:13], v[14:15], v[150:151], v[12:13]
	v_cvt_f32_i32_e32 v15, v164
	v_cvt_f32_i32_e32 v14, v163
	v_mov_b32_e32 v137, v144
	v_pk_mul_f32 v[136:137], v[4:5], v[136:137] op_sel_hi:[0,1]
	v_mov_b32_e32 v142, v5
	v_pk_fma_f32 v[12:13], v[136:137], v[14:15], v[12:13]
	v_cvt_f32_i32_e32 v15, v168
	v_cvt_f32_i32_e32 v14, v167
	v_mov_b32_e32 v144, v149
	v_pk_mul_f32 v[136:137], v[142:143], v[144:145] op_sel_hi:[0,1]
	v_add_u32_e32 v5, 0x41e8, v37
	v_pk_fma_f32 v[136:137], v[136:137], v[14:15], v[12:13]
	ds_read2_b32 v[12:13], v5 offset1:1
	v_mov_b32_e32 v25, 0
	s_waitcnt lgkmcnt(1)
	v_dot4c_i32_i8_e32 v25, v154, v16
	v_add_u32_e32 v14, 0x41f0, v37
	v_dot4c_i32_i8_e32 v25, v155, v8
	v_add_u32_e32 v143, 0x41f8, v37
	v_add_u32_e32 v5, 0x6260, v37
	ds_read2_b32 v[14:15], v14 offset1:1
	ds_read2_b32 v[144:145], v143 offset1:1
	;; [unrolled: 1-line block ×3, first 2 shown]
	s_waitcnt lgkmcnt(3)
	v_dot4c_i32_i8_e32 v25, v12, v17
	v_add_u32_e32 v5, 0x6268, v37
	v_dot4c_i32_i8_e32 v25, v13, v9
	ds_read2_b32 v[12:13], v5 offset1:1
	s_waitcnt lgkmcnt(3)
	v_dot4c_i32_i8_e32 v25, v14, v18
	v_add_u32_e32 v5, 0x6270, v37
	v_dot4c_i32_i8_e32 v25, v15, v10
	v_mov_b32_e32 v143, 0
	ds_read2_b32 v[14:15], v5 offset1:1
	s_waitcnt lgkmcnt(3)
	v_dot4c_i32_i8_e32 v25, v144, v19
	s_waitcnt lgkmcnt(2)
	v_dot4c_i32_i8_e32 v143, v146, v16
	v_add_u32_e32 v5, 0x6278, v37
	v_dot4c_i32_i8_e32 v25, v145, v11
	v_dot4c_i32_i8_e32 v143, v147, v8
	ds_read2_b32 v[144:145], v5 offset1:1
	s_waitcnt lgkmcnt(2)
	v_dot4c_i32_i8_e32 v143, v12, v17
	v_dot4c_i32_i8_e32 v143, v13, v9
	s_waitcnt lgkmcnt(1)
	v_dot4c_i32_i8_e32 v143, v14, v18
	v_dot4c_i32_i8_e32 v143, v15, v10
	;; [unrolled: 3-line block ×3, first 2 shown]
	v_cvt_f32_i32_e32 v11, v158
	v_cvt_f32_i32_e32 v10, v157
	v_cvt_f32_i32_e32 v13, v162
	v_cvt_f32_i32_e32 v12, v161
	v_mov_b32_e32 v8, v6
	v_mov_b32_e32 v9, v20
	v_pk_mul_f32 v[8:9], v[2:3], v[8:9] op_sel_hi:[0,1]
	v_mov_b32_e32 v20, v7
	v_pk_fma_f32 v[8:9], v[8:9], v[10:11], v[122:123]
	v_pk_mul_f32 v[2:3], v[2:3], v[20:21] op_sel:[1,0]
	v_mov_b32_e32 v6, v152
	v_pk_fma_f32 v[2:3], v[2:3], v[12:13], v[8:9]
	v_mov_b32_e32 v7, v138
	v_cvt_f32_i32_e32 v9, v166
	v_cvt_f32_i32_e32 v8, v165
	v_pk_mul_f32 v[4:5], v[4:5], v[6:7] op_sel_hi:[0,1]
	v_cvt_f32_i32_e32 v7, v143
	v_cvt_f32_i32_e32 v6, v25
	v_mov_b32_e32 v138, v153
	v_pk_fma_f32 v[2:3], v[4:5], v[8:9], v[2:3]
	v_pk_mul_f32 v[4:5], v[142:143], v[138:139] op_sel_hi:[0,1]
	v_pk_fma_f32 v[122:123], v[4:5], v[6:7], v[2:3]
	s_barrier
.LBB222_5:                              ;   in Loop: Header=BB222_6 Depth=1
	s_add_i32 s4, s4, 8
	s_addk_i32 s6, 0x100
	v_lshl_add_u64 v[60:61], v[60:61], 0, s[12:13]
	v_lshl_add_u64 v[62:63], v[62:63], 0, s[20:21]
	;; [unrolled: 1-line block ×36, first 2 shown]
	s_cmp_ge_i32 s4, s24
	v_lshl_add_u64 v[134:135], v[134:135], 0, s[20:21]
	s_cbranch_scc1 .LBB222_19
.LBB222_6:                              ; =>This Inner Loop Header: Depth=1
	v_lshl_add_u64 v[2:3], v[62:63], 0, s[18:19]
	global_load_dword v10, v[2:3], off offset:6
	v_lshl_add_u64 v[2:3], v[64:65], 0, s[18:19]
	global_load_dword v11, v[2:3], off offset:2
	v_lshl_add_u64 v[4:5], v[68:69], 0, s[18:19]
	v_lshl_add_u64 v[2:3], v[66:67], 0, s[18:19]
	global_load_dword v12, v[4:5], off
	global_load_dword v13, v[2:3], off offset:6
	v_lshl_add_u64 v[2:3], v[70:71], 0, s[18:19]
	v_lshl_add_u64 v[6:7], v[74:75], 0, s[18:19]
	v_lshl_add_u64 v[4:5], v[72:73], 0, s[18:19]
	v_lshl_add_u64 v[8:9], v[76:77], 0, s[18:19]
	global_load_dword v14, v[2:3], off offset:6
	s_nop 0
	global_load_dword v2, v[4:5], off
	s_nop 0
	global_load_dword v6, v[6:7], off offset:6
	s_nop 0
	global_load_dword v7, v[8:9], off
	s_add_i32 s2, s6, 0xffffff80
	s_cmp_lt_i32 s2, s5
	s_waitcnt vmcnt(7)
	v_and_b32_e32 v4, 0xf0f0f0f, v10
	v_lshrrev_b32_e32 v5, 4, v10
	s_waitcnt vmcnt(6)
	v_ashrrev_i32_e32 v3, v24, v11
	v_lshlrev_b32_e32 v11, 4, v3
	s_waitcnt vmcnt(5)
	v_ashrrev_i32_e32 v8, v24, v12
	s_waitcnt vmcnt(4)
	v_and_b32_e32 v9, 0xf0f0f0f, v13
	v_lshrrev_b32_e32 v10, 4, v13
	v_lshlrev_b32_e32 v12, 11, v3
	v_lshlrev_b32_e32 v13, 18, v3
	;; [unrolled: 1-line block ×3, first 2 shown]
	v_lshrrev_b32_e32 v16, 12, v3
	v_lshrrev_b32_e32 v17, 5, v3
	v_lshlrev_b32_e32 v18, 2, v3
	v_lshlrev_b32_e32 v3, 9, v3
	;; [unrolled: 1-line block ×6, first 2 shown]
	v_and_b32_e32 v11, 16, v11
	v_and_b32_e32 v12, 0x1000, v12
	;; [unrolled: 1-line block ×13, first 2 shown]
	v_or3_b32 v11, v11, v4, v12
	v_or3_b32 v4, v4, v13, v15
	;; [unrolled: 1-line block ×5, first 2 shown]
	v_and_b32_e32 v15, 0x1f00, v11
	v_lshlrev_b16_e32 v11, 8, v11
	v_and_b32_sdwa v16, v4, s25 dst_sel:DWORD dst_unused:UNUSED_PAD src0_sel:WORD_1 src1_sel:DWORD
	v_lshlrev_b16_sdwa v4, v141, v4 dst_sel:DWORD dst_unused:UNUSED_PAD src0_sel:DWORD src1_sel:WORD_1
	v_or3_b32 v3, v12, v3, v5
	v_and_b32_e32 v5, 0x1f00, v13
	v_lshlrev_b16_e32 v12, 8, v13
	v_and_b32_sdwa v13, v9, s25 dst_sel:DWORD dst_unused:UNUSED_PAD src0_sel:WORD_1 src1_sel:DWORD
	v_lshlrev_b16_sdwa v9, v141, v9 dst_sel:DWORD dst_unused:UNUSED_PAD src0_sel:DWORD src1_sel:WORD_1
	v_add_u16_e32 v11, 0xf000, v11
	v_add_u16_e32 v4, 0xf000, v4
	v_lshlrev_b16_e32 v18, 8, v3
	v_and_b32_sdwa v19, v3, s27 dst_sel:DWORD dst_unused:UNUSED_PAD src0_sel:WORD_1 src1_sel:DWORD
	v_and_b32_e32 v17, 0x1f00, v3
	v_lshlrev_b16_sdwa v3, v141, v3 dst_sel:DWORD dst_unused:UNUSED_PAD src0_sel:DWORD src1_sel:WORD_1
	v_add_u16_e32 v12, 0xf000, v12
	v_add_u16_e32 v9, 0xf000, v9
	v_or_b32_sdwa v11, v15, v11 dst_sel:DWORD dst_unused:UNUSED_PAD src0_sel:DWORD src1_sel:BYTE_1
	v_or_b32_sdwa v4, v16, v4 dst_sel:DWORD dst_unused:UNUSED_PAD src0_sel:DWORD src1_sel:BYTE_1
	v_add_i16 v15, v18, s26 clamp
	v_add_i16 v16, v19, s26 clamp
	;; [unrolled: 1-line block ×3, first 2 shown]
	v_or_b32_sdwa v5, v5, v12 dst_sel:DWORD dst_unused:UNUSED_PAD src0_sel:DWORD src1_sel:BYTE_1
	v_or_b32_sdwa v9, v13, v9 dst_sel:DWORD dst_unused:UNUSED_PAD src0_sel:DWORD src1_sel:BYTE_1
	v_add_u16_e32 v11, 0xf000, v11
	v_add_u16_sdwa v4, v4, s26 dst_sel:WORD_1 dst_unused:UNUSED_PAD src0_sel:DWORD src1_sel:DWORD
	v_or_b32_sdwa v12, v17, v15 dst_sel:DWORD dst_unused:UNUSED_PAD src0_sel:DWORD src1_sel:BYTE_1
	v_and_b32_e32 v13, 0xffffff00, v16
	v_or_b32_e32 v4, v11, v4
	v_add_u16_e32 v11, 0xf000, v12
	v_or_b32_sdwa v3, v3, v13 dst_sel:WORD_1 dst_unused:UNUSED_PAD src0_sel:BYTE_1 src1_sel:DWORD
	v_lshrrev_b32_e32 v138, 12, v8
	v_or_b32_e32 v3, v11, v3
	v_lshrrev_b32_e32 v139, 5, v8
	ds_write2_b32 v26, v4, v3 offset1:1
	v_lshlrev_b32_e32 v4, 2, v8
	v_and_b32_e32 v138, 16, v138
	v_and_b32_e32 v3, 0x1000, v139
	;; [unrolled: 1-line block ×3, first 2 shown]
	v_lshlrev_b32_e32 v8, 9, v8
	v_and_b32_e32 v10, 0xf0f0f0f, v10
	v_and_b32_e32 v8, 0x10000000, v8
	v_or3_b32 v3, v3, v138, v4
	v_or3_b32 v3, v3, v8, v10
	v_lshlrev_b16_e32 v8, 8, v3
	v_and_b32_e32 v4, 0x1f00, v3
	v_add_i16 v8, v8, s26 clamp
	v_or_b32_sdwa v4, v4, v8 dst_sel:DWORD dst_unused:UNUSED_PAD src0_sel:DWORD src1_sel:BYTE_1
	v_and_b32_sdwa v8, v3, s27 dst_sel:DWORD dst_unused:UNUSED_PAD src0_sel:WORD_1 src1_sel:DWORD
	v_add_i16 v8, v8, s26 clamp
	v_lshlrev_b16_sdwa v3, v141, v3 dst_sel:DWORD dst_unused:UNUSED_PAD src0_sel:DWORD src1_sel:WORD_1
	v_and_b32_e32 v8, 0xffffff00, v8
	v_add_i16 v3, v3, s26 clamp
	v_add_u16_e32 v5, 0xf000, v5
	v_add_u16_sdwa v9, v9, s26 dst_sel:WORD_1 dst_unused:UNUSED_PAD src0_sel:DWORD src1_sel:DWORD
	v_add_u16_e32 v4, 0xf000, v4
	v_or_b32_sdwa v3, v3, v8 dst_sel:WORD_1 dst_unused:UNUSED_PAD src0_sel:BYTE_1 src1_sel:DWORD
	v_or_b32_e32 v5, v5, v9
	v_or_b32_e32 v3, v4, v3
	s_waitcnt vmcnt(2)
	v_ashrrev_i32_e32 v8, v24, v2
	ds_write2_b32 v28, v5, v3 offset1:1
	v_lshlrev_b32_e32 v3, 4, v8
	v_lshlrev_b32_e32 v4, 11, v8
	v_and_b32_e32 v2, 0xf0f0f0f, v14
	v_and_b32_e32 v3, 16, v3
	;; [unrolled: 1-line block ×3, first 2 shown]
	v_or3_b32 v3, v3, v2, v4
	v_lshlrev_b32_e32 v4, 18, v8
	v_lshlrev_b32_e32 v5, 25, v8
	v_and_b32_e32 v4, 0x100000, v4
	v_and_b32_e32 v5, 0x10000000, v5
	v_or3_b32 v2, v2, v4, v5
	v_and_b32_e32 v4, 0x1f00, v3
	v_lshlrev_b16_e32 v3, 8, v3
	v_add_u16_e32 v3, 0xf000, v3
	v_or_b32_sdwa v3, v4, v3 dst_sel:DWORD dst_unused:UNUSED_PAD src0_sel:DWORD src1_sel:BYTE_1
	v_add_u16_e32 v9, 0xf000, v3
	v_and_b32_sdwa v3, v2, s25 dst_sel:DWORD dst_unused:UNUSED_PAD src0_sel:WORD_1 src1_sel:DWORD
	v_lshlrev_b16_sdwa v2, v141, v2 dst_sel:DWORD dst_unused:UNUSED_PAD src0_sel:DWORD src1_sel:WORD_1
	v_add_u16_e32 v2, 0xf000, v2
	v_or_b32_sdwa v2, v3, v2 dst_sel:DWORD dst_unused:UNUSED_PAD src0_sel:DWORD src1_sel:BYTE_1
	v_lshl_add_u64 v[4:5], v[80:81], 0, s[18:19]
	v_add_u16_sdwa v10, v2, s26 dst_sel:WORD_1 dst_unused:UNUSED_PAD src0_sel:DWORD src1_sel:DWORD
	v_lshl_add_u64 v[2:3], v[78:79], 0, s[18:19]
	global_load_dword v11, v[4:5], off
	global_load_dword v12, v[2:3], off offset:6
	v_or_b32_e32 v2, v9, v10
	v_lshrrev_b32_e32 v4, 12, v8
	v_lshrrev_b32_e32 v5, 5, v8
	v_lshlrev_b32_e32 v9, 2, v8
	v_lshrrev_b32_e32 v3, 4, v14
	v_and_b32_e32 v4, 16, v4
	v_and_b32_e32 v5, 0x1000, v5
	;; [unrolled: 1-line block ×3, first 2 shown]
	v_lshlrev_b32_e32 v8, 9, v8
	v_and_b32_e32 v3, 0xf0f0f0f, v3
	v_and_b32_e32 v8, 0x10000000, v8
	v_or3_b32 v4, v5, v4, v9
	v_or3_b32 v3, v4, v8, v3
	v_lshlrev_b16_e32 v5, 8, v3
	v_and_b32_e32 v4, 0x1f00, v3
	v_add_i16 v5, v5, s26 clamp
	v_or_b32_sdwa v4, v4, v5 dst_sel:DWORD dst_unused:UNUSED_PAD src0_sel:DWORD src1_sel:BYTE_1
	v_and_b32_sdwa v5, v3, s27 dst_sel:DWORD dst_unused:UNUSED_PAD src0_sel:WORD_1 src1_sel:DWORD
	v_add_i16 v5, v5, s26 clamp
	v_lshlrev_b16_sdwa v3, v141, v3 dst_sel:DWORD dst_unused:UNUSED_PAD src0_sel:DWORD src1_sel:WORD_1
	v_and_b32_e32 v5, 0xffffff00, v5
	v_add_i16 v3, v3, s26 clamp
	v_add_u16_e32 v4, 0xf000, v4
	v_or_b32_sdwa v3, v3, v5 dst_sel:WORD_1 dst_unused:UNUSED_PAD src0_sel:BYTE_1 src1_sel:DWORD
	s_waitcnt vmcnt(2)
	v_ashrrev_i32_e32 v7, v24, v7
	v_or_b32_e32 v3, v4, v3
	ds_write2_b32 v30, v2, v3 offset1:1
	v_lshlrev_b32_e32 v3, 4, v7
	v_lshlrev_b32_e32 v4, 11, v7
	v_and_b32_e32 v2, 0xf0f0f0f, v6
	v_and_b32_e32 v3, 16, v3
	v_and_b32_e32 v4, 0x1000, v4
	v_or3_b32 v3, v3, v2, v4
	v_lshlrev_b32_e32 v4, 18, v7
	v_lshlrev_b32_e32 v5, 25, v7
	v_and_b32_e32 v4, 0x100000, v4
	v_and_b32_e32 v5, 0x10000000, v5
	v_or3_b32 v2, v2, v4, v5
	v_and_b32_e32 v4, 0x1f00, v3
	v_lshlrev_b16_e32 v3, 8, v3
	v_add_u16_e32 v3, 0xf000, v3
	v_or_b32_sdwa v3, v4, v3 dst_sel:DWORD dst_unused:UNUSED_PAD src0_sel:DWORD src1_sel:BYTE_1
	v_add_u16_e32 v8, 0xf000, v3
	v_and_b32_sdwa v3, v2, s25 dst_sel:DWORD dst_unused:UNUSED_PAD src0_sel:WORD_1 src1_sel:DWORD
	v_lshlrev_b16_sdwa v2, v141, v2 dst_sel:DWORD dst_unused:UNUSED_PAD src0_sel:DWORD src1_sel:WORD_1
	v_add_u16_e32 v2, 0xf000, v2
	v_or_b32_sdwa v2, v3, v2 dst_sel:DWORD dst_unused:UNUSED_PAD src0_sel:DWORD src1_sel:BYTE_1
	v_lshl_add_u64 v[4:5], v[84:85], 0, s[18:19]
	v_add_u16_sdwa v9, v2, s26 dst_sel:WORD_1 dst_unused:UNUSED_PAD src0_sel:DWORD src1_sel:DWORD
	v_lshl_add_u64 v[2:3], v[82:83], 0, s[18:19]
	global_load_dword v10, v[4:5], off
	global_load_dword v13, v[2:3], off offset:6
	v_lshrrev_b32_e32 v3, 4, v6
	v_lshrrev_b32_e32 v4, 12, v7
	;; [unrolled: 1-line block ×3, first 2 shown]
	v_lshlrev_b32_e32 v6, 2, v7
	v_and_b32_e32 v4, 16, v4
	v_and_b32_e32 v5, 0x1000, v5
	;; [unrolled: 1-line block ×3, first 2 shown]
	v_lshlrev_b32_e32 v7, 9, v7
	v_and_b32_e32 v3, 0xf0f0f0f, v3
	v_and_b32_e32 v7, 0x10000000, v7
	v_or3_b32 v4, v5, v4, v6
	v_or3_b32 v3, v4, v7, v3
	v_lshlrev_b16_e32 v5, 8, v3
	v_and_b32_e32 v4, 0x1f00, v3
	v_add_i16 v5, v5, s26 clamp
	v_or_b32_sdwa v4, v4, v5 dst_sel:DWORD dst_unused:UNUSED_PAD src0_sel:DWORD src1_sel:BYTE_1
	v_and_b32_sdwa v5, v3, s27 dst_sel:DWORD dst_unused:UNUSED_PAD src0_sel:WORD_1 src1_sel:DWORD
	v_add_i16 v5, v5, s26 clamp
	v_lshlrev_b16_sdwa v3, v141, v3 dst_sel:DWORD dst_unused:UNUSED_PAD src0_sel:DWORD src1_sel:WORD_1
	v_and_b32_e32 v5, 0xffffff00, v5
	v_add_i16 v3, v3, s26 clamp
	v_add_u16_e32 v4, 0xf000, v4
	v_or_b32_sdwa v3, v3, v5 dst_sel:WORD_1 dst_unused:UNUSED_PAD src0_sel:BYTE_1 src1_sel:DWORD
	v_or_b32_e32 v2, v8, v9
	v_or_b32_e32 v3, v4, v3
	ds_write2_b32 v32, v2, v3 offset1:1
	s_waitcnt vmcnt(3)
	v_ashrrev_i32_e32 v6, v24, v11
	v_lshlrev_b32_e32 v3, 4, v6
	v_lshlrev_b32_e32 v4, 11, v6
	s_waitcnt vmcnt(2)
	v_and_b32_e32 v2, 0xf0f0f0f, v12
	v_and_b32_e32 v3, 16, v3
	v_and_b32_e32 v4, 0x1000, v4
	v_or3_b32 v3, v3, v2, v4
	v_lshlrev_b32_e32 v4, 18, v6
	v_lshlrev_b32_e32 v5, 25, v6
	v_and_b32_e32 v4, 0x100000, v4
	v_and_b32_e32 v5, 0x10000000, v5
	v_or3_b32 v2, v2, v4, v5
	v_and_b32_e32 v4, 0x1f00, v3
	v_lshlrev_b16_e32 v3, 8, v3
	v_add_u16_e32 v3, 0xf000, v3
	v_or_b32_sdwa v3, v4, v3 dst_sel:DWORD dst_unused:UNUSED_PAD src0_sel:DWORD src1_sel:BYTE_1
	v_add_u16_e32 v7, 0xf000, v3
	v_and_b32_sdwa v3, v2, s25 dst_sel:DWORD dst_unused:UNUSED_PAD src0_sel:WORD_1 src1_sel:DWORD
	v_lshlrev_b16_sdwa v2, v141, v2 dst_sel:DWORD dst_unused:UNUSED_PAD src0_sel:DWORD src1_sel:WORD_1
	v_add_u16_e32 v2, 0xf000, v2
	v_or_b32_sdwa v2, v3, v2 dst_sel:DWORD dst_unused:UNUSED_PAD src0_sel:DWORD src1_sel:BYTE_1
	v_lshl_add_u64 v[4:5], v[88:89], 0, s[18:19]
	v_add_u16_sdwa v8, v2, s26 dst_sel:WORD_1 dst_unused:UNUSED_PAD src0_sel:DWORD src1_sel:DWORD
	v_lshl_add_u64 v[2:3], v[86:87], 0, s[18:19]
	global_load_dword v9, v[4:5], off
	global_load_dword v11, v[2:3], off offset:6
	v_or_b32_e32 v2, v7, v8
	v_lshrrev_b32_e32 v4, 12, v6
	v_lshrrev_b32_e32 v5, 5, v6
	v_lshlrev_b32_e32 v7, 2, v6
	v_lshrrev_b32_e32 v3, 4, v12
	v_and_b32_e32 v4, 16, v4
	v_and_b32_e32 v5, 0x1000, v5
	v_and_b32_e32 v7, 0x100000, v7
	v_lshlrev_b32_e32 v6, 9, v6
	v_and_b32_e32 v3, 0xf0f0f0f, v3
	v_and_b32_e32 v6, 0x10000000, v6
	v_or3_b32 v4, v5, v4, v7
	v_or3_b32 v3, v4, v6, v3
	v_lshlrev_b16_e32 v5, 8, v3
	v_and_b32_e32 v4, 0x1f00, v3
	v_add_i16 v5, v5, s26 clamp
	v_or_b32_sdwa v4, v4, v5 dst_sel:DWORD dst_unused:UNUSED_PAD src0_sel:DWORD src1_sel:BYTE_1
	v_and_b32_sdwa v5, v3, s27 dst_sel:DWORD dst_unused:UNUSED_PAD src0_sel:WORD_1 src1_sel:DWORD
	v_add_i16 v5, v5, s26 clamp
	v_lshlrev_b16_sdwa v3, v141, v3 dst_sel:DWORD dst_unused:UNUSED_PAD src0_sel:DWORD src1_sel:WORD_1
	v_and_b32_e32 v5, 0xffffff00, v5
	v_add_i16 v3, v3, s26 clamp
	v_add_u16_e32 v4, 0xf000, v4
	v_or_b32_sdwa v3, v3, v5 dst_sel:WORD_1 dst_unused:UNUSED_PAD src0_sel:BYTE_1 src1_sel:DWORD
	s_waitcnt vmcnt(3)
	v_ashrrev_i32_e32 v6, v24, v10
	v_or_b32_e32 v3, v4, v3
	ds_write2_b32 v34, v2, v3 offset1:1
	v_lshlrev_b32_e32 v3, 4, v6
	v_lshlrev_b32_e32 v4, 11, v6
	s_waitcnt vmcnt(2)
	v_and_b32_e32 v2, 0xf0f0f0f, v13
	v_and_b32_e32 v3, 16, v3
	v_and_b32_e32 v4, 0x1000, v4
	v_or3_b32 v3, v3, v2, v4
	v_lshlrev_b32_e32 v4, 18, v6
	v_lshlrev_b32_e32 v5, 25, v6
	v_and_b32_e32 v4, 0x100000, v4
	v_and_b32_e32 v5, 0x10000000, v5
	v_or3_b32 v2, v2, v4, v5
	v_and_b32_e32 v4, 0x1f00, v3
	v_lshlrev_b16_e32 v3, 8, v3
	v_add_u16_e32 v3, 0xf000, v3
	v_or_b32_sdwa v3, v4, v3 dst_sel:DWORD dst_unused:UNUSED_PAD src0_sel:DWORD src1_sel:BYTE_1
	v_add_u16_e32 v7, 0xf000, v3
	v_and_b32_sdwa v3, v2, s25 dst_sel:DWORD dst_unused:UNUSED_PAD src0_sel:WORD_1 src1_sel:DWORD
	v_lshlrev_b16_sdwa v2, v141, v2 dst_sel:DWORD dst_unused:UNUSED_PAD src0_sel:DWORD src1_sel:WORD_1
	v_add_u16_e32 v2, 0xf000, v2
	v_or_b32_sdwa v2, v3, v2 dst_sel:DWORD dst_unused:UNUSED_PAD src0_sel:DWORD src1_sel:BYTE_1
	v_lshl_add_u64 v[4:5], v[92:93], 0, s[18:19]
	v_add_u16_sdwa v8, v2, s26 dst_sel:WORD_1 dst_unused:UNUSED_PAD src0_sel:DWORD src1_sel:DWORD
	v_lshl_add_u64 v[2:3], v[90:91], 0, s[18:19]
	global_load_dword v10, v[4:5], off
	global_load_dword v12, v[2:3], off offset:6
	v_or_b32_e32 v2, v7, v8
	v_lshrrev_b32_e32 v4, 12, v6
	v_lshrrev_b32_e32 v5, 5, v6
	v_lshlrev_b32_e32 v7, 2, v6
	v_lshrrev_b32_e32 v3, 4, v13
	v_and_b32_e32 v4, 16, v4
	v_and_b32_e32 v5, 0x1000, v5
	v_and_b32_e32 v7, 0x100000, v7
	v_lshlrev_b32_e32 v6, 9, v6
	v_and_b32_e32 v3, 0xf0f0f0f, v3
	v_and_b32_e32 v6, 0x10000000, v6
	v_or3_b32 v4, v5, v4, v7
	v_or3_b32 v3, v4, v6, v3
	v_lshlrev_b16_e32 v5, 8, v3
	v_and_b32_e32 v4, 0x1f00, v3
	v_add_i16 v5, v5, s26 clamp
	v_or_b32_sdwa v4, v4, v5 dst_sel:DWORD dst_unused:UNUSED_PAD src0_sel:DWORD src1_sel:BYTE_1
	v_and_b32_sdwa v5, v3, s27 dst_sel:DWORD dst_unused:UNUSED_PAD src0_sel:WORD_1 src1_sel:DWORD
	v_add_i16 v5, v5, s26 clamp
	v_lshlrev_b16_sdwa v3, v141, v3 dst_sel:DWORD dst_unused:UNUSED_PAD src0_sel:DWORD src1_sel:WORD_1
	v_and_b32_e32 v5, 0xffffff00, v5
	v_add_i16 v3, v3, s26 clamp
	v_add_u16_e32 v4, 0xf000, v4
	v_or_b32_sdwa v3, v3, v5 dst_sel:WORD_1 dst_unused:UNUSED_PAD src0_sel:BYTE_1 src1_sel:DWORD
	s_waitcnt vmcnt(3)
	v_ashrrev_i32_e32 v6, v24, v9
	v_or_b32_e32 v3, v4, v3
	ds_write2_b32 v36, v2, v3 offset1:1
	;; [unrolled: 54-line block ×9, first 2 shown]
	v_lshlrev_b32_e32 v3, 4, v6
	v_lshlrev_b32_e32 v4, 11, v6
	s_waitcnt vmcnt(2)
	v_and_b32_e32 v2, 0xf0f0f0f, v12
	v_and_b32_e32 v3, 16, v3
	;; [unrolled: 1-line block ×3, first 2 shown]
	v_or3_b32 v3, v3, v2, v4
	v_lshlrev_b32_e32 v4, 18, v6
	v_lshlrev_b32_e32 v5, 25, v6
	v_and_b32_e32 v4, 0x100000, v4
	v_and_b32_e32 v5, 0x10000000, v5
	v_or3_b32 v2, v2, v4, v5
	v_and_b32_e32 v4, 0x1f00, v3
	v_lshlrev_b16_e32 v3, 8, v3
	v_add_u16_e32 v3, 0xf000, v3
	v_or_b32_sdwa v3, v4, v3 dst_sel:DWORD dst_unused:UNUSED_PAD src0_sel:DWORD src1_sel:BYTE_1
	v_and_b32_sdwa v4, v2, s25 dst_sel:DWORD dst_unused:UNUSED_PAD src0_sel:WORD_1 src1_sel:DWORD
	v_lshlrev_b16_sdwa v2, v141, v2 dst_sel:DWORD dst_unused:UNUSED_PAD src0_sel:DWORD src1_sel:WORD_1
	v_add_u16_e32 v2, 0xf000, v2
	v_or_b32_sdwa v2, v4, v2 dst_sel:DWORD dst_unused:UNUSED_PAD src0_sel:DWORD src1_sel:BYTE_1
	v_add_u16_e32 v3, 0xf000, v3
	v_add_u16_sdwa v2, v2, s26 dst_sel:WORD_1 dst_unused:UNUSED_PAD src0_sel:DWORD src1_sel:DWORD
	v_lshrrev_b32_e32 v10, 12, v6
	v_or_b32_e32 v7, v3, v2
	v_lshrrev_b32_e32 v2, 4, v12
	v_and_b32_e32 v8, 0xf0f0f0f, v2
	v_lshl_add_u64 v[2:3], v[124:125], 0, s[18:19]
	v_lshl_add_u64 v[4:5], v[126:127], 0, s[18:19]
	global_load_dword v4, v[4:5], off
	s_nop 0
	global_load_dword v5, v[2:3], off offset:6
	v_and_b32_e32 v2, 16, v10
	v_lshrrev_b32_e32 v3, 5, v6
	v_lshlrev_b32_e32 v10, 2, v6
	v_and_b32_e32 v3, 0x1000, v3
	v_and_b32_e32 v10, 0x100000, v10
	v_lshlrev_b32_e32 v6, 9, v6
	v_and_b32_e32 v6, 0x10000000, v6
	v_or3_b32 v2, v3, v2, v10
	v_or3_b32 v2, v2, v6, v8
	v_lshlrev_b16_e32 v6, 8, v2
	v_and_b32_e32 v3, 0x1f00, v2
	v_add_i16 v6, v6, s26 clamp
	v_or_b32_sdwa v3, v3, v6 dst_sel:DWORD dst_unused:UNUSED_PAD src0_sel:DWORD src1_sel:BYTE_1
	v_and_b32_sdwa v6, v2, s27 dst_sel:DWORD dst_unused:UNUSED_PAD src0_sel:WORD_1 src1_sel:DWORD
	v_add_i16 v6, v6, s26 clamp
	v_lshlrev_b16_sdwa v2, v141, v2 dst_sel:DWORD dst_unused:UNUSED_PAD src0_sel:DWORD src1_sel:WORD_1
	v_and_b32_e32 v6, 0xffffff00, v6
	v_add_i16 v2, v2, s26 clamp
	v_add_u16_e32 v3, 0xf000, v3
	v_or_b32_sdwa v2, v2, v6 dst_sel:WORD_1 dst_unused:UNUSED_PAD src0_sel:BYTE_1 src1_sel:DWORD
	s_waitcnt vmcnt(3)
	v_ashrrev_i32_e32 v6, v24, v9
	v_or_b32_e32 v2, v3, v2
	ds_write2_b32 v52, v7, v2 offset1:1
	v_lshlrev_b32_e32 v3, 4, v6
	v_lshlrev_b32_e32 v7, 11, v6
	s_waitcnt vmcnt(2)
	v_and_b32_e32 v2, 0xf0f0f0f, v13
	v_and_b32_e32 v3, 16, v3
	;; [unrolled: 1-line block ×3, first 2 shown]
	v_or3_b32 v3, v3, v2, v7
	v_lshlrev_b32_e32 v7, 18, v6
	v_lshlrev_b32_e32 v8, 25, v6
	v_and_b32_e32 v7, 0x100000, v7
	v_and_b32_e32 v8, 0x10000000, v8
	v_or3_b32 v2, v2, v7, v8
	v_and_b32_e32 v7, 0x1f00, v3
	v_lshlrev_b16_e32 v3, 8, v3
	v_add_u16_e32 v3, 0xf000, v3
	v_or_b32_sdwa v3, v7, v3 dst_sel:DWORD dst_unused:UNUSED_PAD src0_sel:DWORD src1_sel:BYTE_1
	v_add_u16_e32 v7, 0xf000, v3
	v_and_b32_sdwa v3, v2, s25 dst_sel:DWORD dst_unused:UNUSED_PAD src0_sel:WORD_1 src1_sel:DWORD
	v_lshlrev_b16_sdwa v2, v141, v2 dst_sel:DWORD dst_unused:UNUSED_PAD src0_sel:DWORD src1_sel:WORD_1
	v_add_u16_e32 v2, 0xf000, v2
	v_or_b32_sdwa v8, v3, v2 dst_sel:DWORD dst_unused:UNUSED_PAD src0_sel:DWORD src1_sel:BYTE_1
	v_lshl_add_u64 v[2:3], v[128:129], 0, s[18:19]
	global_load_ushort v9, v[2:3], off
	v_lshl_add_u64 v[2:3], v[130:131], 0, s[18:19]
	global_load_ushort v10, v[2:3], off
	;; [unrolled: 2-line block ×4, first 2 shown]
	v_add_u16_sdwa v8, v8, s26 dst_sel:WORD_1 dst_unused:UNUSED_PAD src0_sel:DWORD src1_sel:DWORD
	v_lshrrev_b32_e32 v12, 5, v6
	v_or_b32_e32 v3, v7, v8
	v_lshrrev_b32_e32 v7, 4, v13
	v_lshrrev_b32_e32 v8, 12, v6
	v_lshlrev_b32_e32 v13, 2, v6
	v_and_b32_e32 v8, 16, v8
	v_and_b32_e32 v12, 0x1000, v12
	;; [unrolled: 1-line block ×3, first 2 shown]
	v_lshlrev_b32_e32 v6, 9, v6
	v_and_b32_e32 v7, 0xf0f0f0f, v7
	v_and_b32_e32 v6, 0x10000000, v6
	v_or3_b32 v8, v12, v8, v13
	v_or3_b32 v6, v8, v6, v7
	v_lshlrev_b16_e32 v8, 8, v6
	v_and_b32_e32 v7, 0x1f00, v6
	v_add_i16 v8, v8, s26 clamp
	v_or_b32_sdwa v7, v7, v8 dst_sel:DWORD dst_unused:UNUSED_PAD src0_sel:DWORD src1_sel:BYTE_1
	v_and_b32_sdwa v8, v6, s27 dst_sel:DWORD dst_unused:UNUSED_PAD src0_sel:WORD_1 src1_sel:DWORD
	v_add_i16 v8, v8, s26 clamp
	v_lshlrev_b16_sdwa v6, v141, v6 dst_sel:DWORD dst_unused:UNUSED_PAD src0_sel:DWORD src1_sel:WORD_1
	v_and_b32_e32 v8, 0xffffff00, v8
	v_add_i16 v6, v6, s26 clamp
	v_add_u16_e32 v7, 0xf000, v7
	v_or_b32_sdwa v6, v6, v8 dst_sel:WORD_1 dst_unused:UNUSED_PAD src0_sel:BYTE_1 src1_sel:DWORD
	s_waitcnt vmcnt(0)
	v_cvt_f32_f16_e32 v2, v2
	v_or_b32_e32 v6, v7, v6
	ds_write2_b32 v54, v3, v6 offset1:1
	v_ashrrev_i32_e32 v3, v24, v4
	v_lshlrev_b32_e32 v6, 4, v3
	v_lshlrev_b32_e32 v7, 11, v3
	v_and_b32_e32 v4, 0xf0f0f0f, v5
	v_and_b32_e32 v6, 16, v6
	;; [unrolled: 1-line block ×3, first 2 shown]
	v_or3_b32 v6, v6, v4, v7
	v_lshlrev_b32_e32 v7, 18, v3
	v_lshlrev_b32_e32 v8, 25, v3
	v_and_b32_e32 v7, 0x100000, v7
	v_and_b32_e32 v8, 0x10000000, v8
	v_or3_b32 v4, v4, v7, v8
	v_and_b32_e32 v7, 0x1f00, v6
	v_lshlrev_b16_e32 v6, 8, v6
	v_add_u16_e32 v6, 0xf000, v6
	v_or_b32_sdwa v6, v7, v6 dst_sel:DWORD dst_unused:UNUSED_PAD src0_sel:DWORD src1_sel:BYTE_1
	v_and_b32_sdwa v7, v4, s25 dst_sel:DWORD dst_unused:UNUSED_PAD src0_sel:WORD_1 src1_sel:DWORD
	v_lshlrev_b16_sdwa v4, v141, v4 dst_sel:DWORD dst_unused:UNUSED_PAD src0_sel:DWORD src1_sel:WORD_1
	v_add_u16_e32 v4, 0xf000, v4
	v_or_b32_sdwa v4, v7, v4 dst_sel:DWORD dst_unused:UNUSED_PAD src0_sel:DWORD src1_sel:BYTE_1
	v_add_u16_e32 v6, 0xf000, v6
	v_add_u16_sdwa v4, v4, s26 dst_sel:WORD_1 dst_unused:UNUSED_PAD src0_sel:DWORD src1_sel:DWORD
	v_lshrrev_b32_e32 v7, 5, v3
	v_or_b32_e32 v4, v6, v4
	v_lshrrev_b32_e32 v6, 12, v3
	v_lshlrev_b32_e32 v8, 2, v3
	v_lshrrev_b32_e32 v5, 4, v5
	v_and_b32_e32 v6, 16, v6
	v_and_b32_e32 v7, 0x1000, v7
	;; [unrolled: 1-line block ×3, first 2 shown]
	v_lshlrev_b32_e32 v3, 9, v3
	v_and_b32_e32 v5, 0xf0f0f0f, v5
	v_and_b32_e32 v3, 0x10000000, v3
	v_or3_b32 v6, v7, v6, v8
	v_or3_b32 v3, v6, v3, v5
	v_lshlrev_b16_e32 v6, 8, v3
	v_and_b32_e32 v5, 0x1f00, v3
	v_add_i16 v6, v6, s26 clamp
	v_or_b32_sdwa v5, v5, v6 dst_sel:DWORD dst_unused:UNUSED_PAD src0_sel:DWORD src1_sel:BYTE_1
	v_and_b32_sdwa v6, v3, s27 dst_sel:DWORD dst_unused:UNUSED_PAD src0_sel:WORD_1 src1_sel:DWORD
	v_add_i16 v6, v6, s26 clamp
	v_lshlrev_b16_sdwa v3, v141, v3 dst_sel:DWORD dst_unused:UNUSED_PAD src0_sel:DWORD src1_sel:WORD_1
	v_and_b32_e32 v6, 0xffffff00, v6
	v_add_i16 v3, v3, s26 clamp
	v_add_u16_e32 v5, 0xf000, v5
	v_or_b32_sdwa v3, v3, v6 dst_sel:WORD_1 dst_unused:UNUSED_PAD src0_sel:BYTE_1 src1_sel:DWORD
	v_cvt_f32_f16_e32 v6, v10
	v_or_b32_e32 v3, v5, v3
	v_cvt_f32_f16_e32 v5, v9
	ds_write2_b32 v56, v4, v3 offset1:1
	v_cvt_f32_f16_e32 v3, v11
	ds_write_b32 v53, v5
	ds_write_b32 v55, v6
	;; [unrolled: 1-line block ×4, first 2 shown]
	s_cbranch_scc0 .LBB222_5
; %bb.7:                                ;   in Loop: Header=BB222_6 Depth=1
	v_add_u32_e32 v2, s4, v27
	v_cmp_gt_i32_e64 s[2:3], s8, v2
	s_and_b64 s[22:23], s[0:1], s[2:3]
	s_and_saveexec_b64 s[2:3], s[22:23]
	s_cbranch_execz .LBB222_9
; %bb.8:                                ;   in Loop: Header=BB222_6 Depth=1
	v_add_u32_e32 v2, s4, v51
	v_mad_i64_i32 v[2:3], s[22:23], v2, 36, v[58:59]
	global_load_dword v2, v[2:3], off offset:4
	s_waitcnt vmcnt(0)
	ds_write_b32 v29, v2
.LBB222_9:                              ;   in Loop: Header=BB222_6 Depth=1
	s_or_b64 exec, exec, s[2:3]
	s_and_saveexec_b64 s[22:23], vcc
	s_cbranch_execz .LBB222_12
; %bb.10:                               ;   in Loop: Header=BB222_6 Depth=1
	v_add_u32_e32 v2, s4, v22
	v_cmp_gt_i32_e64 s[2:3], s8, v2
	s_and_b64 s[2:3], s[0:1], s[2:3]
	s_and_b64 exec, exec, s[2:3]
	s_cbranch_execz .LBB222_12
; %bb.11:                               ;   in Loop: Header=BB222_6 Depth=1
	v_add_u32_e32 v2, s4, v23
	v_mad_i64_i32 v[2:3], s[2:3], v2, 36, s[14:15]
	global_load_dword v2, v[2:3], off
	s_waitcnt vmcnt(0)
	v_cvt_f32_f16_e32 v2, v2
	ds_write_b32 v31, v2
.LBB222_12:                             ;   in Loop: Header=BB222_6 Depth=1
	s_or_b64 exec, exec, s[22:23]
	s_waitcnt lgkmcnt(0)
	s_barrier
	ds_read_b128 v[2:5], v35
	ds_read2_b32 v[138:139], v37 offset1:1
	ds_read_b128 v[14:17], v33
	ds_read_b128 v[18:21], v33 offset:16
	ds_read_b128 v[6:9], v33 offset:32
	;; [unrolled: 1-line block ×3, first 2 shown]
	ds_read2_b32 v[142:143], v37 offset0:2 offset1:3
	v_mov_b32_e32 v25, 0
	s_waitcnt lgkmcnt(4)
	v_dot4c_i32_i8_e32 v25, v138, v14
	s_waitcnt lgkmcnt(3)
	v_dot4c_i32_i8_e32 v25, v139, v18
	ds_read2_b32 v[138:139], v37 offset0:4 offset1:5
	ds_read2_b32 v[144:145], v37 offset0:6 offset1:7
	;; [unrolled: 1-line block ×3, first 2 shown]
	s_waitcnt lgkmcnt(3)
	v_dot4c_i32_i8_e32 v25, v142, v15
	v_dot4c_i32_i8_e32 v25, v143, v19
	s_waitcnt lgkmcnt(2)
	v_dot4c_i32_i8_e32 v25, v138, v16
	v_add_u32_e32 v138, 0x2080, v37
	ds_read2_b32 v[142:143], v138 offset1:1
	v_mov_b32_e32 v156, 0
	v_dot4c_i32_i8_e32 v25, v139, v20
	ds_read2_b32 v[138:139], v45 offset0:2 offset1:3
	s_waitcnt lgkmcnt(3)
	v_dot4c_i32_i8_e32 v25, v144, v17
	s_waitcnt lgkmcnt(1)
	v_dot4c_i32_i8_e32 v156, v142, v14
	v_add_u32_e32 v142, 0x2088, v37
	v_dot4c_i32_i8_e32 v156, v143, v18
	ds_read2_b32 v[142:143], v142 offset1:1
	v_add_u32_e32 v144, 0x2090, v37
	v_add_u32_e32 v148, 0x2098, v37
	;; [unrolled: 1-line block ×3, first 2 shown]
	v_dot4c_i32_i8_e32 v25, v145, v21
	ds_read2_b32 v[144:145], v144 offset1:1
	ds_read2_b32 v[148:149], v148 offset1:1
	;; [unrolled: 1-line block ×3, first 2 shown]
	s_waitcnt lgkmcnt(3)
	v_dot4c_i32_i8_e32 v156, v142, v15
	v_dot4c_i32_i8_e32 v156, v143, v19
	s_waitcnt lgkmcnt(2)
	v_dot4c_i32_i8_e32 v156, v144, v16
	v_dot4c_i32_i8_e32 v156, v145, v20
	v_mov_b32_e32 v157, 0
	s_waitcnt lgkmcnt(1)
	v_dot4c_i32_i8_e32 v156, v148, v17
	s_waitcnt lgkmcnt(0)
	v_dot4c_i32_i8_e32 v157, v150, v14
	v_add_u32_e32 v142, 0x4108, v37
	v_add_u32_e32 v144, 0x4110, v37
	;; [unrolled: 1-line block ×4, first 2 shown]
	v_dot4c_i32_i8_e32 v156, v149, v21
	v_dot4c_i32_i8_e32 v157, v151, v18
	ds_read2_b32 v[142:143], v142 offset1:1
	ds_read2_b32 v[144:145], v144 offset1:1
	;; [unrolled: 1-line block ×4, first 2 shown]
	v_mov_b32_e32 v158, 0
	v_mov_b32_e32 v159, 0
	v_dot4c_i32_i8_e32 v159, v146, v6
	s_waitcnt lgkmcnt(3)
	v_dot4c_i32_i8_e32 v157, v142, v15
	s_waitcnt lgkmcnt(0)
	v_dot4c_i32_i8_e32 v158, v150, v14
	v_add_u32_e32 v14, 0x6188, v37
	v_dot4c_i32_i8_e32 v157, v143, v19
	ds_read2_b32 v[142:143], v14 offset1:1
	v_dot4c_i32_i8_e32 v157, v144, v16
	v_dot4c_i32_i8_e32 v157, v145, v20
	;; [unrolled: 1-line block ×4, first 2 shown]
	v_add_u32_e32 v18, 0x6190, v37
	v_add_u32_e32 v148, 0x6198, v37
	v_dot4c_i32_i8_e32 v157, v149, v21
	v_add_u32_e32 v14, 0x20a0, v37
	ds_read2_b32 v[144:145], v18 offset1:1
	ds_read2_b32 v[148:149], v148 offset1:1
	;; [unrolled: 1-line block ×3, first 2 shown]
	s_waitcnt lgkmcnt(3)
	v_dot4c_i32_i8_e32 v158, v142, v15
	v_dot4c_i32_i8_e32 v158, v143, v19
	ds_read2_b32 v[14:15], v37 offset0:10 offset1:11
	s_waitcnt lgkmcnt(3)
	v_dot4c_i32_i8_e32 v158, v144, v16
	v_dot4c_i32_i8_e32 v158, v145, v20
	s_waitcnt lgkmcnt(2)
	v_dot4c_i32_i8_e32 v158, v148, v17
	v_dot4c_i32_i8_e32 v158, v149, v21
	;; [unrolled: 1-line block ×3, first 2 shown]
	ds_read2_b32 v[16:17], v37 offset0:12 offset1:13
	ds_read2_b32 v[18:19], v37 offset0:14 offset1:15
	;; [unrolled: 1-line block ×3, first 2 shown]
	s_waitcnt lgkmcnt(3)
	v_dot4c_i32_i8_e32 v159, v14, v7
	v_add_u32_e32 v14, 0x20a8, v37
	v_dot4c_i32_i8_e32 v159, v15, v11
	ds_read2_b32 v[14:15], v14 offset1:1
	s_waitcnt lgkmcnt(3)
	v_dot4c_i32_i8_e32 v159, v16, v8
	v_dot4c_i32_i8_e32 v159, v17, v12
	v_mov_b32_e32 v160, 0
	s_waitcnt lgkmcnt(2)
	v_dot4c_i32_i8_e32 v159, v18, v9
	v_dot4c_i32_i8_e32 v160, v150, v6
	v_add_u32_e32 v16, 0x20b0, v37
	v_add_u32_e32 v18, 0x20b8, v37
	v_add_u32_e32 v142, 0x4120, v37
	v_dot4c_i32_i8_e32 v159, v19, v13
	v_dot4c_i32_i8_e32 v160, v151, v10
	ds_read2_b32 v[16:17], v16 offset1:1
	ds_read2_b32 v[18:19], v18 offset1:1
	;; [unrolled: 1-line block ×3, first 2 shown]
	s_waitcnt lgkmcnt(3)
	v_dot4c_i32_i8_e32 v160, v14, v7
	v_dot4c_i32_i8_e32 v160, v15, v11
	s_waitcnt lgkmcnt(2)
	v_dot4c_i32_i8_e32 v160, v16, v8
	v_dot4c_i32_i8_e32 v160, v17, v12
	v_mov_b32_e32 v161, 0
	s_waitcnt lgkmcnt(1)
	v_dot4c_i32_i8_e32 v160, v18, v9
	s_waitcnt lgkmcnt(0)
	v_dot4c_i32_i8_e32 v161, v142, v6
	v_add_u32_e32 v14, 0x4128, v37
	v_add_u32_e32 v16, 0x4130, v37
	;; [unrolled: 1-line block ×4, first 2 shown]
	v_dot4c_i32_i8_e32 v160, v19, v13
	v_dot4c_i32_i8_e32 v161, v143, v10
	ds_read2_b32 v[14:15], v14 offset1:1
	ds_read2_b32 v[16:17], v16 offset1:1
	;; [unrolled: 1-line block ×4, first 2 shown]
	v_mov_b32_e32 v162, 0
	v_mov_b32_e32 v163, 0
	;; [unrolled: 1-line block ×3, first 2 shown]
	s_waitcnt lgkmcnt(3)
	v_dot4c_i32_i8_e32 v161, v14, v7
	s_waitcnt lgkmcnt(0)
	v_dot4c_i32_i8_e32 v162, v142, v6
	v_add_u32_e32 v6, 0x61a8, v37
	v_dot4c_i32_i8_e32 v161, v15, v11
	ds_read2_b32 v[14:15], v6 offset1:1
	v_dot4c_i32_i8_e32 v161, v16, v8
	v_dot4c_i32_i8_e32 v161, v17, v12
	;; [unrolled: 1-line block ×4, first 2 shown]
	v_add_u32_e32 v10, 0x61b0, v37
	v_add_u32_e32 v18, 0x61b8, v37
	v_dot4c_i32_i8_e32 v161, v19, v13
	v_add_u32_e32 v6, 0x20c0, v37
	ds_read2_b32 v[16:17], v10 offset1:1
	ds_read2_b32 v[18:19], v18 offset1:1
	;; [unrolled: 1-line block ×3, first 2 shown]
	s_waitcnt lgkmcnt(3)
	v_dot4c_i32_i8_e32 v162, v14, v7
	v_dot4c_i32_i8_e32 v162, v15, v11
	s_waitcnt lgkmcnt(2)
	v_dot4c_i32_i8_e32 v162, v16, v8
	v_dot4c_i32_i8_e32 v162, v17, v12
	;; [unrolled: 3-line block ×3, first 2 shown]
	ds_read_b128 v[8:11], v33 offset:64
	ds_read_b128 v[12:15], v33 offset:80
	ds_read2_b32 v[6:7], v43 offset1:1
	ds_read2_b32 v[144:145], v41 offset0:2 offset1:3
	ds_read2_b32 v[146:147], v41 offset1:1
	ds_read2_b32 v[148:149], v39 offset0:2 offset1:3
	ds_read2_b32 v[16:17], v37 offset0:18 offset1:19
	s_waitcnt lgkmcnt(6)
	v_dot4c_i32_i8_e32 v163, v20, v8
	s_waitcnt lgkmcnt(5)
	v_dot4c_i32_i8_e32 v163, v21, v12
	ds_read2_b32 v[18:19], v37 offset0:20 offset1:21
	ds_read2_b32 v[20:21], v37 offset0:22 offset1:23
	;; [unrolled: 1-line block ×3, first 2 shown]
	v_dot4c_i32_i8_e32 v164, v142, v8
	s_waitcnt lgkmcnt(3)
	v_dot4c_i32_i8_e32 v163, v16, v9
	v_add_u32_e32 v16, 0x20c8, v37
	v_dot4c_i32_i8_e32 v163, v17, v13
	ds_read2_b32 v[16:17], v16 offset1:1
	s_waitcnt lgkmcnt(3)
	v_dot4c_i32_i8_e32 v163, v18, v10
	v_dot4c_i32_i8_e32 v163, v19, v14
	s_waitcnt lgkmcnt(2)
	v_dot4c_i32_i8_e32 v163, v20, v11
	v_add_u32_e32 v18, 0x20d0, v37
	v_add_u32_e32 v20, 0x20d8, v37
	;; [unrolled: 1-line block ×3, first 2 shown]
	v_dot4c_i32_i8_e32 v163, v21, v15
	v_dot4c_i32_i8_e32 v164, v143, v12
	ds_read2_b32 v[18:19], v18 offset1:1
	ds_read2_b32 v[20:21], v20 offset1:1
	;; [unrolled: 1-line block ×3, first 2 shown]
	s_waitcnt lgkmcnt(3)
	v_dot4c_i32_i8_e32 v164, v16, v9
	v_dot4c_i32_i8_e32 v164, v17, v13
	s_waitcnt lgkmcnt(2)
	v_dot4c_i32_i8_e32 v164, v18, v10
	v_dot4c_i32_i8_e32 v164, v19, v14
	v_mov_b32_e32 v165, 0
	s_waitcnt lgkmcnt(1)
	v_dot4c_i32_i8_e32 v164, v20, v11
	s_waitcnt lgkmcnt(0)
	v_dot4c_i32_i8_e32 v165, v142, v8
	v_add_u32_e32 v16, 0x4148, v37
	v_add_u32_e32 v18, 0x4150, v37
	;; [unrolled: 1-line block ×4, first 2 shown]
	v_dot4c_i32_i8_e32 v164, v21, v15
	ds_read2_b32 v[20:21], v45 offset1:1
	ds_read2_b32 v[152:153], v43 offset0:2 offset1:3
	v_dot4c_i32_i8_e32 v165, v143, v12
	ds_read2_b32 v[16:17], v16 offset1:1
	ds_read2_b32 v[18:19], v18 offset1:1
	;; [unrolled: 1-line block ×4, first 2 shown]
	v_mov_b32_e32 v166, 0
	v_mov_b32_e32 v167, 0
	v_mov_b32_e32 v168, 0
	s_waitcnt lgkmcnt(3)
	v_dot4c_i32_i8_e32 v165, v16, v9
	s_waitcnt lgkmcnt(0)
	v_dot4c_i32_i8_e32 v166, v154, v8
	v_add_u32_e32 v8, 0x61c8, v37
	v_dot4c_i32_i8_e32 v165, v17, v13
	ds_read2_b32 v[16:17], v8 offset1:1
	v_dot4c_i32_i8_e32 v165, v18, v10
	v_dot4c_i32_i8_e32 v165, v19, v14
	;; [unrolled: 1-line block ×4, first 2 shown]
	v_add_u32_e32 v12, 0x61d0, v37
	v_add_u32_e32 v142, 0x61d8, v37
	v_dot4c_i32_i8_e32 v165, v143, v15
	v_add_u32_e32 v8, 0x20e0, v37
	ds_read2_b32 v[18:19], v12 offset1:1
	ds_read2_b32 v[142:143], v142 offset1:1
	ds_read2_b32 v[154:155], v8 offset1:1
	s_waitcnt lgkmcnt(3)
	v_dot4c_i32_i8_e32 v166, v16, v9
	v_dot4c_i32_i8_e32 v166, v17, v13
	s_waitcnt lgkmcnt(2)
	v_dot4c_i32_i8_e32 v166, v18, v10
	v_dot4c_i32_i8_e32 v166, v19, v14
	ds_read_b128 v[16:19], v33 offset:96
	s_waitcnt lgkmcnt(2)
	v_dot4c_i32_i8_e32 v166, v142, v11
	ds_read_b128 v[8:11], v33 offset:112
	ds_read2_b32 v[12:13], v37 offset0:26 offset1:27
	v_dot4c_i32_i8_e32 v166, v143, v15
	s_waitcnt lgkmcnt(2)
	v_dot4c_i32_i8_e32 v167, v150, v16
	v_dot4c_i32_i8_e32 v168, v154, v16
	s_waitcnt lgkmcnt(1)
	v_dot4c_i32_i8_e32 v167, v151, v8
	ds_read2_b32 v[14:15], v37 offset0:28 offset1:29
	ds_read2_b32 v[142:143], v39 offset1:1
	ds_read2_b32 v[150:151], v37 offset0:30 offset1:31
	s_waitcnt lgkmcnt(3)
	v_dot4c_i32_i8_e32 v167, v12, v17
	v_add_u32_e32 v12, 0x20e8, v37
	v_dot4c_i32_i8_e32 v167, v13, v9
	ds_read2_b32 v[12:13], v12 offset1:1
	s_waitcnt lgkmcnt(3)
	v_dot4c_i32_i8_e32 v167, v14, v18
	v_dot4c_i32_i8_e32 v167, v15, v10
	s_waitcnt lgkmcnt(1)
	v_dot4c_i32_i8_e32 v167, v150, v19
	v_add_u32_e32 v14, 0x20f0, v37
	v_add_u32_e32 v150, 0x20f8, v37
	;; [unrolled: 1-line block ×3, first 2 shown]
	v_dot4c_i32_i8_e32 v167, v151, v11
	v_dot4c_i32_i8_e32 v168, v155, v8
	ds_read2_b32 v[14:15], v14 offset1:1
	ds_read2_b32 v[150:151], v150 offset1:1
	;; [unrolled: 1-line block ×3, first 2 shown]
	s_waitcnt lgkmcnt(3)
	v_dot4c_i32_i8_e32 v168, v12, v17
	v_dot4c_i32_i8_e32 v168, v13, v9
	s_waitcnt lgkmcnt(2)
	v_dot4c_i32_i8_e32 v168, v14, v18
	v_dot4c_i32_i8_e32 v168, v15, v10
	s_waitcnt lgkmcnt(1)
	v_dot4c_i32_i8_e32 v168, v150, v19
	v_cvt_f32_i32_e32 v15, v156
	v_cvt_f32_i32_e32 v14, v25
	v_dot4c_i32_i8_e32 v168, v151, v11
	v_cvt_f32_i32_e32 v151, v160
	v_cvt_f32_i32_e32 v150, v159
	v_mov_b32_e32 v12, v142
	v_mov_b32_e32 v13, v146
	v_pk_mul_f32 v[12:13], v[2:3], v[12:13] op_sel_hi:[0,1]
	v_mov_b32_e32 v146, v143
	v_pk_fma_f32 v[12:13], v[12:13], v[14:15], v[136:137]
	v_pk_mul_f32 v[14:15], v[2:3], v[146:147] op_sel:[1,0]
	v_mov_b32_e32 v136, v148
	v_pk_fma_f32 v[12:13], v[14:15], v[150:151], v[12:13]
	v_cvt_f32_i32_e32 v15, v164
	v_cvt_f32_i32_e32 v14, v163
	v_mov_b32_e32 v137, v144
	v_pk_mul_f32 v[136:137], v[4:5], v[136:137] op_sel_hi:[0,1]
	v_mov_b32_e32 v142, v5
	v_pk_fma_f32 v[12:13], v[136:137], v[14:15], v[12:13]
	v_cvt_f32_i32_e32 v15, v168
	v_cvt_f32_i32_e32 v14, v167
	v_mov_b32_e32 v144, v149
	v_pk_mul_f32 v[136:137], v[142:143], v[144:145] op_sel_hi:[0,1]
	v_add_u32_e32 v5, 0x4168, v37
	v_pk_fma_f32 v[136:137], v[136:137], v[14:15], v[12:13]
	ds_read2_b32 v[12:13], v5 offset1:1
	v_mov_b32_e32 v25, 0
	s_waitcnt lgkmcnt(1)
	v_dot4c_i32_i8_e32 v25, v154, v16
	v_add_u32_e32 v14, 0x4170, v37
	v_dot4c_i32_i8_e32 v25, v155, v8
	v_add_u32_e32 v143, 0x4178, v37
	v_add_u32_e32 v5, 0x61e0, v37
	ds_read2_b32 v[14:15], v14 offset1:1
	ds_read2_b32 v[144:145], v143 offset1:1
	;; [unrolled: 1-line block ×3, first 2 shown]
	s_waitcnt lgkmcnt(3)
	v_dot4c_i32_i8_e32 v25, v12, v17
	v_add_u32_e32 v5, 0x61e8, v37
	v_dot4c_i32_i8_e32 v25, v13, v9
	ds_read2_b32 v[12:13], v5 offset1:1
	s_waitcnt lgkmcnt(3)
	v_dot4c_i32_i8_e32 v25, v14, v18
	v_add_u32_e32 v5, 0x61f0, v37
	v_dot4c_i32_i8_e32 v25, v15, v10
	v_mov_b32_e32 v143, 0
	ds_read2_b32 v[14:15], v5 offset1:1
	s_waitcnt lgkmcnt(3)
	v_dot4c_i32_i8_e32 v25, v144, v19
	s_waitcnt lgkmcnt(2)
	v_dot4c_i32_i8_e32 v143, v146, v16
	v_add_u32_e32 v5, 0x61f8, v37
	v_dot4c_i32_i8_e32 v25, v145, v11
	v_dot4c_i32_i8_e32 v143, v147, v8
	ds_read2_b32 v[144:145], v5 offset1:1
	s_waitcnt lgkmcnt(2)
	v_dot4c_i32_i8_e32 v143, v12, v17
	v_dot4c_i32_i8_e32 v143, v13, v9
	s_waitcnt lgkmcnt(1)
	v_dot4c_i32_i8_e32 v143, v14, v18
	v_dot4c_i32_i8_e32 v143, v15, v10
	;; [unrolled: 3-line block ×3, first 2 shown]
	v_cvt_f32_i32_e32 v11, v158
	v_cvt_f32_i32_e32 v10, v157
	;; [unrolled: 1-line block ×4, first 2 shown]
	v_mov_b32_e32 v8, v6
	v_mov_b32_e32 v9, v20
	v_pk_mul_f32 v[8:9], v[2:3], v[8:9] op_sel_hi:[0,1]
	v_mov_b32_e32 v20, v7
	v_pk_fma_f32 v[8:9], v[8:9], v[10:11], v[122:123]
	v_pk_mul_f32 v[2:3], v[2:3], v[20:21] op_sel:[1,0]
	v_mov_b32_e32 v6, v152
	v_pk_fma_f32 v[2:3], v[2:3], v[12:13], v[8:9]
	v_mov_b32_e32 v7, v138
	v_cvt_f32_i32_e32 v9, v166
	v_cvt_f32_i32_e32 v8, v165
	v_pk_mul_f32 v[4:5], v[4:5], v[6:7] op_sel_hi:[0,1]
	v_cvt_f32_i32_e32 v7, v143
	v_cvt_f32_i32_e32 v6, v25
	v_mov_b32_e32 v138, v153
	v_pk_fma_f32 v[2:3], v[4:5], v[8:9], v[2:3]
	v_pk_mul_f32 v[4:5], v[142:143], v[138:139] op_sel_hi:[0,1]
	v_pk_fma_f32 v[122:123], v[4:5], v[6:7], v[2:3]
	s_cmp_ge_i32 s6, s5
	s_barrier
	s_cbranch_scc1 .LBB222_5
; %bb.13:                               ;   in Loop: Header=BB222_6 Depth=1
	v_add_u32_e32 v2, s4, v47
	v_cmp_gt_i32_e64 s[2:3], s8, v2
	s_and_b64 s[22:23], s[0:1], s[2:3]
	s_and_saveexec_b64 s[2:3], s[22:23]
	s_cbranch_execz .LBB222_15
; %bb.14:                               ;   in Loop: Header=BB222_6 Depth=1
	v_add_u32_e32 v2, s4, v49
	v_mad_i64_i32 v[2:3], s[22:23], v2, 36, v[58:59]
	global_load_dword v2, v[2:3], off offset:4
	s_waitcnt vmcnt(0)
	ds_write_b32 v29, v2
.LBB222_15:                             ;   in Loop: Header=BB222_6 Depth=1
	s_or_b64 exec, exec, s[2:3]
	s_and_saveexec_b64 s[22:23], vcc
	s_cbranch_execz .LBB222_4
; %bb.16:                               ;   in Loop: Header=BB222_6 Depth=1
	v_add3_u32 v2, v22, s4, 4
	v_cmp_gt_i32_e64 s[2:3], s8, v2
	s_and_b64 s[2:3], s[0:1], s[2:3]
	s_and_b64 exec, exec, s[2:3]
	s_cbranch_execz .LBB222_4
; %bb.17:                               ;   in Loop: Header=BB222_6 Depth=1
	global_load_dword v2, v[60:61], off
	s_waitcnt vmcnt(0)
	v_cvt_f32_f16_e32 v2, v2
	ds_write_b32 v31, v2
	s_branch .LBB222_4
.LBB222_18:
	v_mov_b32_e32 v122, v123
	v_mov_b32_e32 v137, v123
	;; [unrolled: 1-line block ×3, first 2 shown]
.LBB222_19:
	s_mul_i32 s0, s10, s7
	s_waitcnt vmcnt(0)
	v_cmp_gt_i32_e32 vcc, s0, v1
	s_and_saveexec_b64 s[0:1], vcc
	s_cbranch_execz .LBB222_28
; %bb.20:
	v_and_b32_e32 v0, 0x3ff, v0
	v_add_u32_e32 v2, s11, v0
	v_mul_lo_u32 v0, v1, s9
	v_cmp_gt_u32_e32 vcc, s9, v2
	s_and_saveexec_b64 s[0:1], vcc
	s_cbranch_execz .LBB222_22
; %bb.21:
	v_bfe_u32 v1, v136, 16, 1
	s_movk_i32 s2, 0x7fff
	v_add3_u32 v1, v136, v1, s2
	v_lshrrev_b32_e32 v1, 16, v1
	v_mov_b32_e32 v3, 0x7fc0
	v_cmp_o_f32_e32 vcc, v136, v136
	v_add_u32_e32 v4, v0, v2
	v_mov_b32_e32 v5, 0
	v_cndmask_b32_e32 v1, v3, v1, vcc
	v_lshl_add_u64 v[4:5], v[4:5], 1, s[16:17]
	global_store_short v[4:5], v1, off
.LBB222_22:
	s_or_b64 exec, exec, s[0:1]
	v_add_u32_e32 v1, 32, v2
	v_cmp_gt_u32_e32 vcc, s9, v1
	s_and_saveexec_b64 s[0:1], vcc
	s_cbranch_execz .LBB222_24
; %bb.23:
	v_bfe_u32 v3, v137, 16, 1
	s_movk_i32 s2, 0x7fff
	v_add3_u32 v3, v137, v3, s2
	v_lshrrev_b32_e32 v3, 16, v3
	v_mov_b32_e32 v4, 0x7fc0
	v_cmp_o_f32_e32 vcc, v137, v137
	v_mov_b32_e32 v5, 0
	s_nop 0
	v_cndmask_b32_e32 v3, v4, v3, vcc
	v_add_u32_e32 v4, v0, v1
	v_lshl_add_u64 v[4:5], v[4:5], 1, s[16:17]
	global_store_short v[4:5], v3, off
.LBB222_24:
	s_or_b64 exec, exec, s[0:1]
	v_add_u32_e32 v1, 64, v2
	v_cmp_gt_u32_e32 vcc, s9, v1
	s_and_saveexec_b64 s[0:1], vcc
	s_cbranch_execz .LBB222_26
; %bb.25:
	v_bfe_u32 v3, v122, 16, 1
	s_movk_i32 s2, 0x7fff
	v_add3_u32 v3, v122, v3, s2
	v_lshrrev_b32_e32 v3, 16, v3
	v_mov_b32_e32 v4, 0x7fc0
	v_cmp_o_f32_e32 vcc, v122, v122
	v_mov_b32_e32 v5, 0
	s_nop 0
	v_cndmask_b32_e32 v3, v4, v3, vcc
	v_add_u32_e32 v4, v0, v1
	v_lshl_add_u64 v[4:5], v[4:5], 1, s[16:17]
	global_store_short v[4:5], v3, off
.LBB222_26:
	s_or_b64 exec, exec, s[0:1]
	v_add_u32_e32 v1, 0x60, v2
	v_cmp_gt_u32_e32 vcc, s9, v1
	s_and_b64 exec, exec, vcc
	s_cbranch_execz .LBB222_28
; %bb.27:
	v_bfe_u32 v2, v123, 16, 1
	s_movk_i32 s0, 0x7fff
	v_add3_u32 v2, v123, v2, s0
	v_lshrrev_b32_e32 v2, 16, v2
	v_mov_b32_e32 v3, 0x7fc0
	v_cmp_o_f32_e32 vcc, v123, v123
	v_add_u32_e32 v0, v0, v1
	v_mov_b32_e32 v1, 0
	v_cndmask_b32_e32 v2, v3, v2, vcc
	v_lshl_add_u64 v[0:1], v[0:1], 1, s[16:17]
	global_store_short v[0:1], v2, off
.LBB222_28:
	s_endpgm
	.section	.rodata,"a",@progbits
	.p2align	6, 0x0
	.amdhsa_kernel _ZL8moe_q5_0IN3c108BFloat16ELb1EEvPKvS3_PT_PKiS7_S7_iiiiiii
		.amdhsa_group_segment_fixed_size 38656
		.amdhsa_private_segment_fixed_size 0
		.amdhsa_kernarg_size 76
		.amdhsa_user_sgpr_count 2
		.amdhsa_user_sgpr_dispatch_ptr 0
		.amdhsa_user_sgpr_queue_ptr 0
		.amdhsa_user_sgpr_kernarg_segment_ptr 1
		.amdhsa_user_sgpr_dispatch_id 0
		.amdhsa_user_sgpr_kernarg_preload_length 0
		.amdhsa_user_sgpr_kernarg_preload_offset 0
		.amdhsa_user_sgpr_private_segment_size 0
		.amdhsa_uses_dynamic_stack 0
		.amdhsa_enable_private_segment 0
		.amdhsa_system_sgpr_workgroup_id_x 1
		.amdhsa_system_sgpr_workgroup_id_y 1
		.amdhsa_system_sgpr_workgroup_id_z 0
		.amdhsa_system_sgpr_workgroup_info 0
		.amdhsa_system_vgpr_workitem_id 1
		.amdhsa_next_free_vgpr 169
		.amdhsa_next_free_sgpr 28
		.amdhsa_accum_offset 172
		.amdhsa_reserve_vcc 1
		.amdhsa_float_round_mode_32 0
		.amdhsa_float_round_mode_16_64 0
		.amdhsa_float_denorm_mode_32 3
		.amdhsa_float_denorm_mode_16_64 3
		.amdhsa_dx10_clamp 1
		.amdhsa_ieee_mode 1
		.amdhsa_fp16_overflow 0
		.amdhsa_tg_split 0
		.amdhsa_exception_fp_ieee_invalid_op 0
		.amdhsa_exception_fp_denorm_src 0
		.amdhsa_exception_fp_ieee_div_zero 0
		.amdhsa_exception_fp_ieee_overflow 0
		.amdhsa_exception_fp_ieee_underflow 0
		.amdhsa_exception_fp_ieee_inexact 0
		.amdhsa_exception_int_div_zero 0
	.end_amdhsa_kernel
	.section	.text._ZL8moe_q5_0IN3c108BFloat16ELb1EEvPKvS3_PT_PKiS7_S7_iiiiiii,"axG",@progbits,_ZL8moe_q5_0IN3c108BFloat16ELb1EEvPKvS3_PT_PKiS7_S7_iiiiiii,comdat
.Lfunc_end222:
	.size	_ZL8moe_q5_0IN3c108BFloat16ELb1EEvPKvS3_PT_PKiS7_S7_iiiiiii, .Lfunc_end222-_ZL8moe_q5_0IN3c108BFloat16ELb1EEvPKvS3_PT_PKiS7_S7_iiiiiii
                                        ; -- End function
	.section	.AMDGPU.csdata,"",@progbits
; Kernel info:
; codeLenInByte = 13072
; NumSgprs: 34
; NumVgprs: 169
; NumAgprs: 0
; TotalNumVgprs: 169
; ScratchSize: 0
; MemoryBound: 0
; FloatMode: 240
; IeeeMode: 1
; LDSByteSize: 38656 bytes/workgroup (compile time only)
; SGPRBlocks: 4
; VGPRBlocks: 21
; NumSGPRsForWavesPerEU: 34
; NumVGPRsForWavesPerEU: 169
; AccumOffset: 172
; Occupancy: 1
; WaveLimiterHint : 1
; COMPUTE_PGM_RSRC2:SCRATCH_EN: 0
; COMPUTE_PGM_RSRC2:USER_SGPR: 2
; COMPUTE_PGM_RSRC2:TRAP_HANDLER: 0
; COMPUTE_PGM_RSRC2:TGID_X_EN: 1
; COMPUTE_PGM_RSRC2:TGID_Y_EN: 1
; COMPUTE_PGM_RSRC2:TGID_Z_EN: 0
; COMPUTE_PGM_RSRC2:TIDIG_COMP_CNT: 1
; COMPUTE_PGM_RSRC3_GFX90A:ACCUM_OFFSET: 42
; COMPUTE_PGM_RSRC3_GFX90A:TG_SPLIT: 0
	.section	.text._ZL8moe_q5_1IN3c108BFloat16ELb0EEvPKvS3_PT_PKiS7_S7_iiiiiii,"axG",@progbits,_ZL8moe_q5_1IN3c108BFloat16ELb0EEvPKvS3_PT_PKiS7_S7_iiiiiii,comdat
	.globl	_ZL8moe_q5_1IN3c108BFloat16ELb0EEvPKvS3_PT_PKiS7_S7_iiiiiii ; -- Begin function _ZL8moe_q5_1IN3c108BFloat16ELb0EEvPKvS3_PT_PKiS7_S7_iiiiiii
	.p2align	8
	.type	_ZL8moe_q5_1IN3c108BFloat16ELb0EEvPKvS3_PT_PKiS7_S7_iiiiiii,@function
_ZL8moe_q5_1IN3c108BFloat16ELb0EEvPKvS3_PT_PKiS7_S7_iiiiiii: ; @_ZL8moe_q5_1IN3c108BFloat16ELb0EEvPKvS3_PT_PKiS7_S7_iiiiiii
; %bb.0:
	s_load_dwordx4 s[4:7], s[0:1], 0x18
	s_mov_b32 s8, s3
	s_mov_b32 s9, 0
	s_lshl_b64 s[10:11], s[8:9], 2
	s_waitcnt lgkmcnt(0)
	s_add_u32 s6, s6, s10
	s_addc_u32 s7, s7, s11
	s_load_dword s3, s[6:7], 0x0
	s_waitcnt lgkmcnt(0)
	s_cmpk_gt_u32 s3, 0xff
	s_cbranch_scc1 .LBB223_28
; %bb.1:
	s_load_dwordx2 s[6:7], s[0:1], 0x28
	s_waitcnt lgkmcnt(0)
	s_load_dword s7, s[6:7], 0x0
	s_lshl_b32 s6, s8, 3
	s_waitcnt lgkmcnt(0)
	s_cmp_gt_u32 s6, s7
	s_cbranch_scc1 .LBB223_28
; %bb.2:
	v_bfe_u32 v2, v0, 10, 10
	v_mov_b32_e32 v4, s4
	v_mov_b32_e32 v5, s5
	v_add_u32_e32 v98, s6, v2
	v_mov_b32_e32 v99, 0
	v_lshl_add_u64 v[4:5], v[98:99], 2, v[4:5]
	global_load_dword v1, v[4:5], off
	s_load_dwordx2 s[14:15], s[0:1], 0x30
	s_load_dwordx2 s[12:13], s[0:1], 0x10
	s_load_dwordx4 s[4:7], s[0:1], 0x3c
	s_lshl_b32 s22, s2, 7
	s_waitcnt lgkmcnt(0)
	s_cmp_lt_i32 s15, 32
	s_cbranch_scc1 .LBB223_18
; %bb.3:
	s_load_dwordx4 s[8:11], s[0:1], 0x0
	s_ashr_i32 s0, s15, 31
	s_ashr_i32 s1, s5, 31
	s_lshr_b32 s0, s0, 27
	s_lshr_b32 s1, s1, 27
	s_add_i32 s0, s15, s0
	s_add_i32 s1, s5, s1
	v_and_b32_e32 v22, 0x3ff, v0
	s_ashr_i32 s23, s0, 5
	s_ashr_i32 s5, s1, 5
	v_lshlrev_b32_e32 v4, 3, v22
	s_movk_i32 s1, 0x104
	v_mul_lo_u32 v9, s23, v2
	v_mad_u32_u24 v120, v2, s1, v4
	s_lshl_b32 s1, s23, 3
	v_add_u32_e32 v10, s1, v9
	v_add_u32_e32 v11, s1, v10
	;; [unrolled: 1-line block ×13, first 2 shown]
	v_lshlrev_b32_e32 v6, 2, v2
	v_lshrrev_b32_e32 v136, 3, v22
	v_add_u32_e32 v86, s1, v82
	v_and_b32_e32 v98, 7, v22
	v_add_u32_e32 v4, v136, v6
	v_add_u32_e32 v90, s1, v86
	v_and_b32_e32 v5, 0x1ffc, v4
	v_lshlrev_b32_e32 v7, 2, v98
	s_mov_b32 s1, 0x8200
	v_add3_u32 v99, v5, v7, s1
	v_add_u32_e32 v5, 32, v4
	v_mul_lo_u32 v94, s23, v4
	v_lshlrev_b32_e32 v104, 5, v4
	v_and_b32_e32 v23, 0x3ffc, v5
	v_lshlrev_b32_e32 v106, 5, v5
	v_add_u32_e32 v5, 64, v4
	v_add_u32_e32 v4, 0x60, v4
	v_lshlrev_b32_e32 v3, 2, v22
	v_mov_b32_e32 v25, 0
	v_add3_u32 v105, v23, v7, s1
	v_and_b32_e32 v23, 0x3ffc, v5
	v_lshlrev_b32_e32 v108, 5, v5
	v_and_b32_e32 v5, 0x3ffc, v4
	v_add3_u32 v109, v5, v7, s1
	v_lshlrev_b32_e32 v110, 5, v4
	v_and_b32_e32 v4, 28, v3
	v_mov_b32_e32 v5, v25
	v_and_b32_e32 v24, 12, v3
	v_add3_u32 v107, v23, v7, s1
	v_and_b32_e32 v7, 31, v22
	s_waitcnt lgkmcnt(0)
	v_lshl_add_u64 v[26:27], s[10:11], 0, v[4:5]
	v_lshlrev_b32_e32 v3, 7, v2
	v_mov_b32_e32 v5, 0x9680
	v_lshl_or_b32 v4, v7, 2, v3
	v_add_u32_e32 v139, 0x9280, v3
	v_lshl_add_u32 v140, v2, 4, v5
	v_and_b32_e32 v2, 0xfc, v22
	v_lshlrev_b32_e32 v3, 5, v22
	v_add_u32_e32 v137, 0x9280, v4
	v_or_b32_e32 v4, v6, v22
	v_add3_u32 v142, v3, v2, s1
	v_add_u32_e32 v2, 32, v22
	v_lshl_add_u32 v138, v4, 2, v5
	v_and_b32_e32 v3, 0x1fc, v2
	v_lshlrev_b32_e32 v4, 5, v2
	v_add3_u32 v143, v4, v3, s1
	v_add_u32_e32 v3, 64, v22
	s_mul_i32 s16, s3, s14
	v_and_b32_e32 v4, 0x1fc, v3
	v_lshlrev_b32_e32 v3, 5, v3
	s_abs_i32 s3, s7
	v_add3_u32 v144, v3, v4, s1
	v_cvt_f32_u32_e32 v4, s3
	v_add_u32_e32 v3, 0x60, v22
	v_and_b32_e32 v5, 0x1fc, v3
	v_lshlrev_b32_e32 v3, 5, v3
	v_add3_u32 v145, v3, v5, s1
	v_rcp_iflag_f32_e32 v3, v4
	s_andn2_b32 s0, s0, 31
	v_add_u32_e32 v96, s0, v94
	v_add_u32_e32 v100, s0, v96
	v_mul_f32_e32 v3, 0x4f7ffffe, v3
	v_cvt_u32_f32_e32 v3, v3
	v_add_u32_e32 v102, s0, v100
	s_sub_i32 s0, 0, s3
	s_waitcnt vmcnt(0)
	v_sub_u32_e32 v4, 0, v1
	v_mul_lo_u32 v5, s0, v3
	v_mul_hi_u32 v5, v3, v5
	v_max_i32_e32 v4, v1, v4
	v_add_u32_e32 v3, v3, v5
	v_mul_hi_u32 v3, v4, v3
	v_mul_lo_u32 v5, v3, s3
	v_sub_u32_e32 v4, v4, v5
	v_add_u32_e32 v5, 1, v3
	v_cmp_le_u32_e64 s[0:1], s3, v4
	v_lshrrev_b32_e32 v146, 3, v2
	v_xor_b32_e32 v2, s7, v1
	v_cndmask_b32_e64 v3, v3, v5, s[0:1]
	v_subrev_u32_e32 v5, s3, v4
	v_cndmask_b32_e64 v4, v4, v5, s[0:1]
	v_add_u32_e32 v5, 1, v3
	v_cmp_le_u32_e64 s[0:1], s3, v4
	v_ashrrev_i32_e32 v2, 31, v2
	v_mov_b32_e32 v23, v25
	v_cndmask_b32_e64 v3, v3, v5, s[0:1]
	v_xor_b32_e32 v3, v3, v2
	v_sub_u32_e32 v2, v3, v2
	v_cmp_gt_i32_e64 s[0:1], s4, v2
	v_mul_lo_u32 v2, v2, s5
	v_ashrrev_i32_e32 v3, 31, v2
	v_lshl_add_u64 v[4:5], v[2:3], 0, v[22:23]
	v_mad_u64_u32 v[6:7], s[18:19], v4, 36, s[10:11]
	s_mul_i32 s2, s23, s22
	v_mad_i32_i24 v7, v5, 36, v7
	s_mov_b64 s[18:19], 0x90
	v_lshl_add_u64 v[28:29], v[6:7], 0, s[18:19]
	s_mul_hi_i32 s3, s2, 24
	s_mul_i32 s18, s2, 24
	v_lshrrev_b32_e32 v8, 2, v22
	v_add_u32_e32 v23, v22, v2
	v_add_u32_e32 v147, v146, v2
	;; [unrolled: 1-line block ×3, first 2 shown]
	v_mov_b32_e32 v2, s18
	v_mov_b32_e32 v3, s3
	v_mad_u64_u32 v[2:3], s[18:19], v8, 24, v[2:3]
	v_mad_u64_u32 v[4:5], s[18:19], v9, 24, v[2:3]
	v_lshl_add_u64 v[6:7], v[4:5], 0, v[24:25]
	v_lshl_add_u64 v[32:33], s[8:9], 0, v[4:5]
	v_mad_u64_u32 v[4:5], s[18:19], v10, 24, v[2:3]
	v_lshl_add_u64 v[6:7], v[6:7], 0, s[8:9]
	v_lshl_add_u64 v[4:5], v[4:5], 0, s[8:9]
	;; [unrolled: 1-line block ×5, first 2 shown]
	v_mad_u64_u32 v[4:5], s[18:19], v11, 24, v[2:3]
	v_lshl_add_u64 v[4:5], v[4:5], 0, s[8:9]
	v_lshl_add_u64 v[34:35], v[6:7], 0, 8
	v_lshl_add_u64 v[6:7], v[4:5], 0, v[24:25]
	v_lshl_add_u64 v[40:41], v[4:5], 0, 4
	v_mad_u64_u32 v[4:5], s[18:19], v12, 24, v[2:3]
	v_lshl_add_u64 v[4:5], v[4:5], 0, s[8:9]
	v_lshl_add_u64 v[38:39], v[6:7], 0, 8
	v_lshl_add_u64 v[6:7], v[4:5], 0, v[24:25]
	v_lshl_add_u64 v[44:45], v[4:5], 0, 4
	;; [unrolled: 5-line block ×12, first 2 shown]
	v_mad_u64_u32 v[4:5], s[18:19], v86, 24, v[2:3]
	v_mad_u64_u32 v[2:3], s[18:19], v90, 24, v[2:3]
	v_lshl_add_u64 v[4:5], v[4:5], 0, s[8:9]
	v_lshl_add_u64 v[2:3], v[2:3], 0, s[8:9]
	;; [unrolled: 1-line block ×7, first 2 shown]
	v_mad_u64_u32 v[2:3], s[18:19], v94, 24, 0
	v_mad_i64_i32 v[2:3], s[18:19], s2, 24, v[2:3]
	v_mad_u64_u32 v[2:3], s[18:19], v98, 24, v[2:3]
	v_lshl_add_u64 v[94:95], s[8:9], 0, v[2:3]
	v_mad_u64_u32 v[2:3], s[18:19], v96, 24, 0
	v_mad_i64_i32 v[2:3], s[18:19], s2, 24, v[2:3]
	v_mad_u64_u32 v[2:3], s[18:19], v98, 24, v[2:3]
	v_lshl_add_u64 v[96:97], s[8:9], 0, v[2:3]
	;; [unrolled: 4-line block ×3, first 2 shown]
	v_mad_u64_u32 v[2:3], s[18:19], v102, 24, 0
	v_mad_i64_i32 v[2:3], s[2:3], s2, 24, v[2:3]
	v_mad_u64_u32 v[2:3], s[2:3], v98, 24, v[2:3]
	s_ashr_i32 s17, s16, 31
	s_mov_b32 s14, 0
	v_add_u32_e32 v121, 0x820, v120
	v_add_u32_e32 v122, 0x1040, v120
	v_add_u32_e32 v123, 0x1860, v120
	v_add_u32_e32 v124, 0x2080, v120
	v_add_u32_e32 v125, 0x28a0, v120
	v_add_u32_e32 v126, 0x30c0, v120
	v_add_u32_e32 v127, 0x38e0, v120
	v_add_u32_e32 v128, 0x4100, v120
	v_add_u32_e32 v129, 0x4920, v120
	v_add_u32_e32 v130, 0x5140, v120
	v_add_u32_e32 v131, 0x5960, v120
	v_add_u32_e32 v132, 0x6180, v120
	v_add_u32_e32 v133, 0x69a0, v120
	v_add_u32_e32 v134, 0x71c0, v120
	v_add_u32_e32 v135, 0x79e0, v120
	v_cmp_gt_u32_e32 vcc, 4, v22
	v_mul_u32_u24_e32 v141, 0x104, v22
	v_lshl_add_u64 v[86:87], v[6:7], 0, 8
	v_lshl_add_u64 v[90:91], v[4:5], 0, 8
	;; [unrolled: 1-line block ×3, first 2 shown]
	s_movk_i32 s24, 0x80
	v_add_u32_e32 v149, v99, v104
	v_add_u32_e32 v150, v105, v106
	v_add_u32_e32 v151, v107, v108
	v_add_u32_e32 v152, v109, v110
	s_mov_b64 s[8:9], 0x120
	s_mov_b64 s[18:19], 0xc0
	v_mov_b32_e32 v104, v25
	v_mov_b32_e32 v105, v25
	;; [unrolled: 1-line block ×4, first 2 shown]
	s_branch .LBB223_6
.LBB223_4:                              ;   in Loop: Header=BB223_6 Depth=1
	s_or_b64 exec, exec, s[20:21]
	s_waitcnt lgkmcnt(0)
	s_barrier
	ds_read_b128 v[14:17], v139
	ds_read_b128 v[18:21], v139 offset:16
	ds_read_b128 v[2:5], v140
	ds_read2_b32 v[106:107], v141 offset0:32 offset1:33
	ds_read_b128 v[10:13], v139 offset:32
	ds_read_b128 v[6:9], v139 offset:48
	ds_read2_b32 v[108:109], v142 offset0:4 offset1:5
	ds_read2_b32 v[110:111], v141 offset0:34 offset1:35
	v_mov_b32_e32 v25, 0
	s_waitcnt lgkmcnt(4)
	v_dot4c_i32_i8_e32 v25, v106, v14
	v_dot4c_i32_i8_e32 v25, v107, v18
	ds_read2_b32 v[106:107], v141 offset0:36 offset1:37
	ds_read2_b32 v[114:115], v141 offset0:38 offset1:39
	;; [unrolled: 1-line block ×3, first 2 shown]
	s_waitcnt lgkmcnt(3)
	v_dot4c_i32_i8_e32 v25, v110, v15
	v_dot4c_i32_i8_e32 v25, v111, v19
	s_waitcnt lgkmcnt(2)
	v_dot4c_i32_i8_e32 v25, v106, v16
	v_dot4c_i32_i8_e32 v25, v107, v20
	;; [unrolled: 3-line block ×3, first 2 shown]
	v_add_u32_e32 v106, 0x2100, v141
	ds_read2_b32 v[114:115], v141 offset0:58 offset1:59
	ds_read2_b32 v[116:117], v141 offset0:60 offset1:61
	;; [unrolled: 1-line block ×3, first 2 shown]
	ds_read2_b32 v[110:111], v106 offset1:1
	v_mov_b32_e32 v168, 0
	v_pk_mul_f16 v153, v2, v108
	v_add_u32_e32 v108, 0x2108, v141
	ds_read2_b32 v[154:155], v143 offset0:4 offset1:5
	ds_read2_b32 v[106:107], v145 offset0:6 offset1:7
	s_waitcnt lgkmcnt(2)
	v_dot4c_i32_i8_e32 v168, v110, v14
	v_dot4c_i32_i8_e32 v168, v111, v18
	ds_read2_b32 v[110:111], v108 offset1:1
	v_add_u32_e32 v156, 0x2110, v141
	v_add_u32_e32 v158, 0x2118, v141
	;; [unrolled: 1-line block ×3, first 2 shown]
	ds_read2_b32 v[156:157], v156 offset1:1
	ds_read2_b32 v[158:159], v158 offset1:1
	;; [unrolled: 1-line block ×3, first 2 shown]
	s_waitcnt lgkmcnt(3)
	v_dot4c_i32_i8_e32 v168, v110, v15
	v_dot4c_i32_i8_e32 v168, v111, v19
	s_waitcnt lgkmcnt(2)
	v_dot4c_i32_i8_e32 v168, v156, v16
	v_dot4c_i32_i8_e32 v168, v157, v20
	v_mov_b32_e32 v169, 0
	s_waitcnt lgkmcnt(1)
	v_dot4c_i32_i8_e32 v168, v158, v17
	s_waitcnt lgkmcnt(0)
	v_dot4c_i32_i8_e32 v169, v160, v14
	v_add_u32_e32 v108, 0x4188, v141
	v_add_u32_e32 v162, 0x4190, v141
	;; [unrolled: 1-line block ×3, first 2 shown]
	v_dot4c_i32_i8_e32 v168, v159, v21
	ds_read2_b32 v[156:157], v144 offset0:4 offset1:5
	ds_read2_b32 v[110:111], v143 offset0:6 offset1:7
	;; [unrolled: 1-line block ×3, first 2 shown]
	v_dot4c_i32_i8_e32 v169, v161, v18
	ds_read2_b32 v[160:161], v108 offset1:1
	v_add_u32_e32 v108, 0x6200, v141
	ds_read2_b32 v[162:163], v162 offset1:1
	ds_read2_b32 v[164:165], v164 offset1:1
	;; [unrolled: 1-line block ×3, first 2 shown]
	v_mov_b32_e32 v170, 0
	v_add_u32_e32 v108, 0x6218, v141
	s_waitcnt lgkmcnt(3)
	v_dot4c_i32_i8_e32 v169, v160, v15
	v_dot4c_i32_i8_e32 v169, v161, v19
	s_waitcnt lgkmcnt(0)
	v_dot4c_i32_i8_e32 v170, v166, v14
	v_add_u32_e32 v14, 0x6208, v141
	ds_read2_b32 v[160:161], v14 offset1:1
	v_dot4c_i32_i8_e32 v169, v162, v16
	v_dot4c_i32_i8_e32 v169, v163, v20
	v_dot4c_i32_i8_e32 v169, v164, v17
	v_dot4c_i32_i8_e32 v170, v167, v18
	v_add_u32_e32 v18, 0x6210, v141
	v_dot4c_i32_i8_e32 v169, v165, v21
	v_add_u32_e32 v14, 0x2120, v141
	ds_read2_b32 v[162:163], v18 offset1:1
	ds_read2_b32 v[164:165], v108 offset1:1
	;; [unrolled: 1-line block ×3, first 2 shown]
	s_waitcnt lgkmcnt(3)
	v_dot4c_i32_i8_e32 v170, v160, v15
	v_dot4c_i32_i8_e32 v170, v161, v19
	s_waitcnt lgkmcnt(2)
	v_dot4c_i32_i8_e32 v170, v162, v16
	v_dot4c_i32_i8_e32 v170, v163, v20
	ds_read2_b32 v[18:19], v145 offset0:4 offset1:5
	ds_read2_b32 v[14:15], v144 offset0:6 offset1:7
	s_waitcnt lgkmcnt(3)
	v_dot4c_i32_i8_e32 v170, v164, v17
	ds_read2_b32 v[16:17], v141 offset0:42 offset1:43
	v_mov_b32_e32 v163, 0
	v_dot4c_i32_i8_e32 v163, v112, v10
	v_dot4c_i32_i8_e32 v170, v165, v21
	;; [unrolled: 1-line block ×3, first 2 shown]
	ds_read2_b32 v[20:21], v141 offset0:44 offset1:45
	ds_read2_b32 v[112:113], v141 offset0:46 offset1:47
	;; [unrolled: 1-line block ×3, first 2 shown]
	v_pk_mul_f16 v154, v2, v154
	v_pk_mul_f16 v156, v2, v156
	s_waitcnt lgkmcnt(5)
	v_pk_mul_f16 v162, v2, v18
	s_waitcnt lgkmcnt(3)
	v_dot4c_i32_i8_e32 v163, v16, v11
	v_add_u32_e32 v2, 0x2128, v141
	v_dot4c_i32_i8_e32 v163, v17, v7
	ds_read2_b32 v[16:17], v2 offset1:1
	s_waitcnt lgkmcnt(3)
	v_dot4c_i32_i8_e32 v163, v20, v12
	v_dot4c_i32_i8_e32 v163, v21, v8
	v_mov_b32_e32 v165, 0
	s_waitcnt lgkmcnt(2)
	v_dot4c_i32_i8_e32 v163, v112, v13
	v_dot4c_i32_i8_e32 v165, v166, v10
	v_add_u32_e32 v18, 0x2130, v141
	v_add_u32_e32 v108, 0x2138, v141
	v_dot4c_i32_i8_e32 v163, v113, v9
	v_pk_mul_f16 v164, v3, v109
	v_dot4c_i32_i8_e32 v165, v167, v6
	v_add_u32_e32 v2, 0x41a0, v141
	ds_read2_b32 v[20:21], v18 offset1:1
	ds_read2_b32 v[108:109], v108 offset1:1
	;; [unrolled: 1-line block ×3, first 2 shown]
	s_waitcnt lgkmcnt(3)
	v_dot4c_i32_i8_e32 v165, v16, v11
	v_dot4c_i32_i8_e32 v165, v17, v7
	v_add_u32_e32 v2, 0x41a8, v141
	s_waitcnt lgkmcnt(2)
	v_dot4c_i32_i8_e32 v165, v20, v12
	ds_read2_b32 v[16:17], v2 offset1:1
	v_dot4c_i32_i8_e32 v165, v21, v8
	v_mov_b32_e32 v166, 0
	s_waitcnt lgkmcnt(2)
	v_dot4c_i32_i8_e32 v165, v108, v13
	s_waitcnt lgkmcnt(1)
	v_dot4c_i32_i8_e32 v166, v112, v10
	v_add_u32_e32 v18, 0x41b0, v141
	v_add_u32_e32 v108, 0x41b8, v141
	v_dot4c_i32_i8_e32 v165, v109, v9
	v_dot4c_i32_i8_e32 v166, v113, v6
	v_add_u32_e32 v2, 0x6220, v141
	ds_read2_b32 v[20:21], v18 offset1:1
	ds_read2_b32 v[108:109], v108 offset1:1
	;; [unrolled: 1-line block ×3, first 2 shown]
	s_waitcnt lgkmcnt(3)
	v_dot4c_i32_i8_e32 v166, v16, v11
	v_add_u32_e32 v2, 0x6228, v141
	v_dot4c_i32_i8_e32 v166, v17, v7
	ds_read2_b32 v[16:17], v2 offset1:1
	s_waitcnt lgkmcnt(3)
	v_dot4c_i32_i8_e32 v166, v20, v12
	v_mov_b32_e32 v167, 0
	v_dot4c_i32_i8_e32 v166, v21, v8
	s_waitcnt lgkmcnt(1)
	v_dot4c_i32_i8_e32 v167, v112, v10
	v_dot4c_i32_i8_e32 v166, v108, v13
	;; [unrolled: 1-line block ×3, first 2 shown]
	v_add_u32_e32 v6, 0x6230, v141
	v_dot4c_i32_i8_e32 v166, v109, v9
	v_add_u32_e32 v10, 0x6238, v141
	v_add_u32_e32 v2, 0x2140, v141
	ds_read2_b32 v[20:21], v6 offset1:1
	ds_read2_b32 v[108:109], v10 offset1:1
	;; [unrolled: 1-line block ×3, first 2 shown]
	s_waitcnt lgkmcnt(3)
	v_dot4c_i32_i8_e32 v167, v16, v11
	v_dot4c_i32_i8_e32 v167, v17, v7
	s_waitcnt lgkmcnt(2)
	v_dot4c_i32_i8_e32 v167, v20, v12
	v_dot4c_i32_i8_e32 v167, v21, v8
	s_waitcnt lgkmcnt(1)
	v_dot4c_i32_i8_e32 v167, v108, v13
	ds_read_b128 v[10:13], v139 offset:64
	v_dot4c_i32_i8_e32 v167, v109, v9
	ds_read_b128 v[6:9], v139 offset:80
	v_pk_mul_f16 v155, v3, v155
	v_pk_mul_f16 v157, v3, v157
	;; [unrolled: 1-line block ×3, first 2 shown]
	ds_read2_b32 v[2:3], v141 offset0:50 offset1:51
	v_mov_b32_e32 v172, 0
	s_waitcnt lgkmcnt(2)
	v_dot4c_i32_i8_e32 v172, v160, v10
	s_waitcnt lgkmcnt(1)
	v_dot4c_i32_i8_e32 v172, v161, v6
	ds_read2_b32 v[16:17], v141 offset0:52 offset1:53
	ds_read2_b32 v[18:19], v141 offset0:54 offset1:55
	;; [unrolled: 1-line block ×3, first 2 shown]
	s_waitcnt lgkmcnt(3)
	v_dot4c_i32_i8_e32 v172, v2, v11
	v_add_u32_e32 v2, 0x2148, v141
	v_dot4c_i32_i8_e32 v172, v3, v7
	ds_read2_b32 v[2:3], v2 offset1:1
	s_waitcnt lgkmcnt(3)
	v_dot4c_i32_i8_e32 v172, v16, v12
	v_dot4c_i32_i8_e32 v172, v17, v8
	v_mov_b32_e32 v160, 0
	s_waitcnt lgkmcnt(2)
	v_dot4c_i32_i8_e32 v172, v18, v13
	v_dot4c_i32_i8_e32 v160, v112, v10
	v_add_u32_e32 v16, 0x2150, v141
	v_add_u32_e32 v18, 0x2158, v141
	;; [unrolled: 1-line block ×3, first 2 shown]
	v_dot4c_i32_i8_e32 v172, v19, v9
	v_dot4c_i32_i8_e32 v160, v113, v6
	ds_read2_b32 v[16:17], v16 offset1:1
	ds_read2_b32 v[18:19], v18 offset1:1
	;; [unrolled: 1-line block ×3, first 2 shown]
	s_waitcnt lgkmcnt(3)
	v_dot4c_i32_i8_e32 v160, v2, v11
	v_dot4c_i32_i8_e32 v160, v3, v7
	v_add_u32_e32 v2, 0x41c8, v141
	s_waitcnt lgkmcnt(2)
	v_dot4c_i32_i8_e32 v160, v16, v12
	ds_read2_b32 v[2:3], v2 offset1:1
	v_dot4c_i32_i8_e32 v160, v17, v8
	v_mov_b32_e32 v161, 0
	s_waitcnt lgkmcnt(2)
	v_dot4c_i32_i8_e32 v160, v18, v13
	s_waitcnt lgkmcnt(1)
	v_dot4c_i32_i8_e32 v161, v108, v10
	v_add_u32_e32 v16, 0x41d0, v141
	v_add_u32_e32 v18, 0x41d8, v141
	;; [unrolled: 1-line block ×3, first 2 shown]
	v_dot4c_i32_i8_e32 v160, v19, v9
	v_dot4c_i32_i8_e32 v161, v109, v6
	ds_read2_b32 v[16:17], v16 offset1:1
	ds_read2_b32 v[18:19], v18 offset1:1
	;; [unrolled: 1-line block ×3, first 2 shown]
	s_waitcnt lgkmcnt(3)
	v_dot4c_i32_i8_e32 v161, v2, v11
	v_add_u32_e32 v2, 0x6248, v141
	v_dot4c_i32_i8_e32 v161, v3, v7
	ds_read2_b32 v[2:3], v2 offset1:1
	v_mov_b32_e32 v174, 0
	s_waitcnt lgkmcnt(1)
	v_dot4c_i32_i8_e32 v174, v108, v10
	v_dot4c_i32_i8_e32 v161, v16, v12
	;; [unrolled: 1-line block ×3, first 2 shown]
	v_add_u32_e32 v6, 0x6250, v141
	v_dot4c_i32_i8_e32 v161, v17, v8
	v_pk_mul_f16 v173, v4, v14
	v_add_u32_e32 v10, 0x6258, v141
	v_add_u32_e32 v14, 0x2160, v141
	ds_read2_b32 v[16:17], v6 offset1:1
	ds_read2_b32 v[108:109], v10 offset1:1
	;; [unrolled: 1-line block ×3, first 2 shown]
	s_waitcnt lgkmcnt(3)
	v_dot4c_i32_i8_e32 v174, v2, v11
	v_dot4c_i32_i8_e32 v174, v3, v7
	s_waitcnt lgkmcnt(2)
	v_dot4c_i32_i8_e32 v174, v16, v12
	v_dot4c_i32_i8_e32 v161, v18, v13
	;; [unrolled: 1-line block ×4, first 2 shown]
	s_waitcnt lgkmcnt(1)
	v_dot4c_i32_i8_e32 v174, v108, v13
	ds_read_b128 v[10:13], v139 offset:96
	ds_read_b128 v[16:19], v139 offset:112
	v_pk_mul_f16 v158, v4, v158
	v_pk_mul_f16 v110, v4, v110
	;; [unrolled: 1-line block ×3, first 2 shown]
	v_mov_b32_e32 v4, 0
	s_waitcnt lgkmcnt(1)
	v_dot4c_i32_i8_e32 v4, v20, v10
	s_waitcnt lgkmcnt(0)
	v_dot4c_i32_i8_e32 v4, v21, v16
	v_add_u32_e32 v2, 0x2168, v141
	v_dot4c_i32_i8_e32 v4, v114, v11
	ds_read2_b32 v[2:3], v2 offset1:1
	v_dot4c_i32_i8_e32 v4, v115, v17
	v_dot4c_i32_i8_e32 v4, v116, v12
	v_mov_b32_e32 v116, 0
	v_dot4c_i32_i8_e32 v116, v112, v10
	v_add_u32_e32 v6, 0x2170, v141
	v_add_u32_e32 v8, 0x2178, v141
	;; [unrolled: 1-line block ×3, first 2 shown]
	v_dot4c_i32_i8_e32 v174, v109, v9
	v_dot4c_i32_i8_e32 v116, v113, v16
	ds_read2_b32 v[6:7], v6 offset1:1
	ds_read2_b32 v[8:9], v8 offset1:1
	;; [unrolled: 1-line block ×3, first 2 shown]
	s_waitcnt lgkmcnt(3)
	v_dot4c_i32_i8_e32 v116, v2, v11
	v_dot4c_i32_i8_e32 v116, v3, v17
	s_waitcnt lgkmcnt(2)
	v_dot4c_i32_i8_e32 v116, v6, v12
	v_dot4c_i32_i8_e32 v116, v7, v18
	;; [unrolled: 3-line block ×3, first 2 shown]
	v_cvt_f32_f16_e32 v3, v154
	v_cvt_f32_f16_e32 v2, v153
	v_cvt_f32_f16_sdwa v7, v154 dst_sel:DWORD dst_unused:UNUSED_PAD src0_sel:WORD_1
	v_cvt_f32_f16_sdwa v6, v153 dst_sel:DWORD dst_unused:UNUSED_PAD src0_sel:WORD_1
	v_cvt_f32_i32_e32 v9, v168
	v_cvt_f32_i32_e32 v8, v25
	v_cvt_f32_f16_e32 v109, v155
	v_cvt_f32_f16_e32 v108, v164
	v_cvt_f32_f16_sdwa v113, v155 dst_sel:DWORD dst_unused:UNUSED_PAD src0_sel:WORD_1
	v_cvt_f32_f16_sdwa v112, v164 dst_sel:DWORD dst_unused:UNUSED_PAD src0_sel:WORD_1
	v_cvt_f32_i32_e32 v115, v165
	v_cvt_f32_i32_e32 v114, v163
	v_dot4c_i32_i8_e32 v4, v117, v18
	v_dot4c_i32_i8_e32 v4, v118, v13
	v_pk_fma_f32 v[2:3], v[2:3], v[8:9], v[6:7]
	v_dot4c_i32_i8_e32 v4, v119, v19
	v_pk_mul_f16 v14, v5, v159
	v_pk_mul_f16 v25, v5, v111
	v_pk_add_f32 v[2:3], v[104:105], v[2:3]
	v_pk_fma_f32 v[6:7], v[108:109], v[114:115], v[112:113]
	v_cvt_f32_f16_e32 v9, v110
	v_cvt_f32_f16_e32 v8, v158
	v_cvt_f32_f16_sdwa v105, v110 dst_sel:DWORD dst_unused:UNUSED_PAD src0_sel:WORD_1
	v_cvt_f32_f16_sdwa v104, v158 dst_sel:DWORD dst_unused:UNUSED_PAD src0_sel:WORD_1
	v_cvt_f32_i32_e32 v109, v160
	v_cvt_f32_i32_e32 v108, v172
	v_cvt_f32_f16_e32 v111, v25
	v_cvt_f32_f16_e32 v110, v14
	v_cvt_f32_f16_sdwa v113, v25 dst_sel:DWORD dst_unused:UNUSED_PAD src0_sel:WORD_1
	v_cvt_f32_f16_sdwa v112, v14 dst_sel:DWORD dst_unused:UNUSED_PAD src0_sel:WORD_1
	v_cvt_f32_i32_e32 v115, v116
	v_cvt_f32_i32_e32 v114, v4
	v_pk_add_f32 v[2:3], v[2:3], v[6:7]
	v_pk_fma_f32 v[6:7], v[8:9], v[108:109], v[104:105]
	v_mov_b32_e32 v25, 0
	v_pk_add_f32 v[2:3], v[2:3], v[6:7]
	v_pk_fma_f32 v[6:7], v[110:111], v[114:115], v[112:113]
	s_waitcnt lgkmcnt(0)
	v_dot4c_i32_i8_e32 v25, v20, v10
	v_pk_add_f32 v[104:105], v[2:3], v[6:7]
	v_add_u32_e32 v2, 0x41e8, v141
	ds_read2_b32 v[2:3], v2 offset1:1
	v_add_u32_e32 v4, 0x41f0, v141
	v_add_u32_e32 v8, 0x41f8, v141
	v_dot4c_i32_i8_e32 v25, v21, v16
	v_add_u32_e32 v14, 0x6260, v141
	ds_read2_b32 v[6:7], v4 offset1:1
	ds_read2_b32 v[8:9], v8 offset1:1
	;; [unrolled: 1-line block ×3, first 2 shown]
	s_waitcnt lgkmcnt(3)
	v_dot4c_i32_i8_e32 v25, v2, v11
	v_add_u32_e32 v2, 0x6268, v141
	v_dot4c_i32_i8_e32 v25, v3, v17
	ds_read2_b32 v[2:3], v2 offset1:1
	s_waitcnt lgkmcnt(3)
	v_dot4c_i32_i8_e32 v25, v6, v12
	v_add_u32_e32 v4, 0x6270, v141
	v_dot4c_i32_i8_e32 v25, v7, v18
	ds_read2_b32 v[6:7], v4 offset1:1
	v_mov_b32_e32 v109, 0
	s_waitcnt lgkmcnt(3)
	v_dot4c_i32_i8_e32 v25, v8, v13
	s_waitcnt lgkmcnt(2)
	v_dot4c_i32_i8_e32 v109, v20, v10
	v_add_u32_e32 v4, 0x6278, v141
	v_dot4c_i32_i8_e32 v25, v9, v19
	v_dot4c_i32_i8_e32 v109, v21, v16
	ds_read2_b32 v[8:9], v4 offset1:1
	s_waitcnt lgkmcnt(2)
	v_dot4c_i32_i8_e32 v109, v2, v11
	v_dot4c_i32_i8_e32 v109, v3, v17
	s_waitcnt lgkmcnt(1)
	v_dot4c_i32_i8_e32 v109, v6, v12
	v_dot4c_i32_i8_e32 v109, v7, v18
	s_waitcnt lgkmcnt(0)
	v_dot4c_i32_i8_e32 v109, v8, v13
	v_pk_mul_f16 v108, v5, v15
	v_dot4c_i32_i8_e32 v109, v9, v19
	v_cvt_f32_f16_e32 v3, v162
	v_cvt_f32_f16_e32 v2, v156
	v_cvt_f32_f16_sdwa v7, v162 dst_sel:DWORD dst_unused:UNUSED_PAD src0_sel:WORD_1
	v_cvt_f32_f16_sdwa v6, v156 dst_sel:DWORD dst_unused:UNUSED_PAD src0_sel:WORD_1
	v_cvt_f32_i32_e32 v9, v170
	v_cvt_f32_i32_e32 v8, v169
	v_cvt_f32_f16_e32 v11, v171
	v_cvt_f32_f16_e32 v10, v157
	v_cvt_f32_f16_sdwa v13, v171 dst_sel:DWORD dst_unused:UNUSED_PAD src0_sel:WORD_1
	v_cvt_f32_f16_sdwa v12, v157 dst_sel:DWORD dst_unused:UNUSED_PAD src0_sel:WORD_1
	v_cvt_f32_i32_e32 v15, v167
	v_cvt_f32_i32_e32 v14, v166
	v_pk_mul_f16 v16, v5, v107
	v_pk_fma_f32 v[2:3], v[2:3], v[8:9], v[6:7]
	v_cvt_f32_f16_e32 v7, v106
	v_pk_fma_f32 v[4:5], v[10:11], v[14:15], v[12:13]
	v_cvt_f32_f16_e32 v6, v173
	v_cvt_f32_f16_sdwa v9, v106 dst_sel:DWORD dst_unused:UNUSED_PAD src0_sel:WORD_1
	v_cvt_f32_f16_sdwa v8, v173 dst_sel:DWORD dst_unused:UNUSED_PAD src0_sel:WORD_1
	v_cvt_f32_i32_e32 v11, v174
	v_cvt_f32_i32_e32 v10, v161
	v_cvt_f32_f16_e32 v13, v16
	v_cvt_f32_f16_e32 v12, v108
	v_cvt_f32_f16_sdwa v15, v16 dst_sel:DWORD dst_unused:UNUSED_PAD src0_sel:WORD_1
	v_cvt_f32_f16_sdwa v14, v108 dst_sel:DWORD dst_unused:UNUSED_PAD src0_sel:WORD_1
	v_cvt_f32_i32_e32 v17, v109
	v_cvt_f32_i32_e32 v16, v25
	v_pk_add_f32 v[2:3], v[98:99], v[2:3]
	s_nop 0
	v_pk_add_f32 v[2:3], v[2:3], v[4:5]
	v_pk_fma_f32 v[4:5], v[6:7], v[10:11], v[8:9]
	s_barrier
	v_pk_add_f32 v[2:3], v[2:3], v[4:5]
	v_pk_fma_f32 v[4:5], v[12:13], v[16:17], v[14:15]
	s_nop 0
	v_pk_add_f32 v[98:99], v[2:3], v[4:5]
.LBB223_5:                              ;   in Loop: Header=BB223_6 Depth=1
	s_add_i32 s14, s14, 8
	s_addk_i32 s24, 0x100
	v_lshl_add_u64 v[28:29], v[28:29], 0, s[8:9]
	v_lshl_add_u64 v[30:31], v[30:31], 0, s[18:19]
	;; [unrolled: 1-line block ×36, first 2 shown]
	s_cmp_ge_i32 s14, s23
	v_lshl_add_u64 v[102:103], v[102:103], 0, s[18:19]
	s_cbranch_scc1 .LBB223_19
.LBB223_6:                              ; =>This Inner Loop Header: Depth=1
	v_lshl_add_u64 v[2:3], v[30:31], 0, s[16:17]
	global_load_dword v14, v[2:3], off
	v_lshl_add_u64 v[2:3], v[32:33], 0, s[16:17]
	global_load_dword v15, v[2:3], off offset:4
	v_lshl_add_u64 v[2:3], v[34:35], 0, s[16:17]
	global_load_dword v16, v[2:3], off
	v_lshl_add_u64 v[2:3], v[36:37], 0, s[16:17]
	global_load_dword v17, v[2:3], off
	v_lshl_add_u64 v[4:5], v[40:41], 0, s[16:17]
	v_lshl_add_u64 v[2:3], v[38:39], 0, s[16:17]
	global_load_dword v18, v[4:5], off
	global_load_dword v19, v[2:3], off
	v_lshl_add_u64 v[2:3], v[42:43], 0, s[16:17]
	v_lshl_add_u64 v[4:5], v[44:45], 0, s[16:17]
	;; [unrolled: 1-line block ×6, first 2 shown]
	global_load_dword v20, v[2:3], off
	s_nop 0
	global_load_dword v2, v[4:5], off
	s_nop 0
	global_load_dword v4, v[6:7], off
	global_load_dword v5, v[8:9], off
	s_nop 0
	global_load_dword v6, v[10:11], off
	global_load_dword v7, v[12:13], off
	s_add_i32 s2, s24, 0xffffff80
	s_cmp_lt_i32 s2, s15
	s_waitcnt vmcnt(11)
	v_lshrrev_b32_e32 v8, 4, v14
	v_and_b32_e32 v9, 0xf0f0f0f, v14
	s_waitcnt vmcnt(10)
	v_ashrrev_i32_e32 v3, v24, v15
	v_and_b32_e32 v8, 0xf0f0f0f, v8
	s_waitcnt vmcnt(9)
	v_lshrrev_b32_e32 v11, 4, v16
	v_and_b32_e32 v12, 0xf0f0f0f, v16
	s_waitcnt vmcnt(8)
	v_ashrrev_i32_e32 v10, v24, v17
	v_lshlrev_b32_e32 v16, 4, v3
	s_waitcnt vmcnt(7)
	v_ashrrev_i32_e32 v13, v24, v18
	s_waitcnt vmcnt(6)
	v_lshrrev_b32_e32 v14, 4, v19
	v_and_b32_e32 v15, 0xf0f0f0f, v19
	v_lshlrev_b32_e32 v17, 11, v3
	v_lshrrev_b32_e32 v18, 12, v3
	v_lshrrev_b32_e32 v19, 5, v3
	v_lshlrev_b32_e32 v107, 4, v10
	v_lshlrev_b32_e32 v108, 11, v10
	v_lshrrev_b32_e32 v109, 12, v10
	v_lshrrev_b32_e32 v110, 5, v10
	v_lshlrev_b32_e32 v21, 2, v3
	v_lshlrev_b32_e32 v25, 18, v3
	;; [unrolled: 1-line block ×4, first 2 shown]
	v_and_b32_e32 v11, 0xf0f0f0f, v11
	v_lshlrev_b32_e32 v111, 2, v10
	v_lshlrev_b32_e32 v112, 18, v10
	;; [unrolled: 1-line block ×4, first 2 shown]
	v_and_b32_e32 v18, 16, v18
	v_and_b32_e32 v16, 16, v16
	v_and_b32_e32 v19, 0x1000, v19
	v_and_b32_e32 v17, 0x1000, v17
	v_and_b32_e32 v109, 16, v109
	v_and_b32_e32 v107, 16, v107
	v_and_b32_e32 v110, 0x1000, v110
	v_and_b32_e32 v108, 0x1000, v108
	v_and_b32_e32 v25, 0x100000, v25
	v_and_b32_e32 v21, 0x100000, v21
	v_and_b32_e32 v3, 0x10000000, v3
	v_and_b32_e32 v106, 0x10000000, v106
	v_and_b32_e32 v112, 0x100000, v112
	v_and_b32_e32 v111, 0x100000, v111
	v_and_b32_e32 v10, 0x10000000, v10
	v_and_b32_e32 v113, 0x10000000, v113
	v_or3_b32 v9, v16, v9, v17
	v_or3_b32 v8, v18, v8, v19
	;; [unrolled: 1-line block ×4, first 2 shown]
	v_lshlrev_b32_e32 v114, 4, v13
	v_lshlrev_b32_e32 v115, 11, v13
	v_lshrrev_b32_e32 v116, 12, v13
	v_lshrrev_b32_e32 v117, 5, v13
	v_or3_b32 v8, v8, v21, v106
	v_or3_b32 v3, v9, v25, v3
	;; [unrolled: 1-line block ×4, first 2 shown]
	v_and_b32_e32 v14, 0xf0f0f0f, v14
	v_and_b32_e32 v116, 16, v116
	v_and_b32_e32 v114, 16, v114
	v_and_b32_e32 v117, 0x1000, v117
	v_and_b32_e32 v115, 0x1000, v115
	ds_write2_b32 v120, v3, v8 offset1:1
	ds_write2_b32 v121, v10, v9 offset1:1
	v_lshlrev_b32_e32 v8, 2, v13
	v_lshlrev_b32_e32 v9, 18, v13
	v_lshlrev_b32_e32 v10, 9, v13
	v_lshlrev_b32_e32 v11, 25, v13
	v_or3_b32 v15, v114, v15, v115
	v_or3_b32 v3, v116, v14, v117
	v_and_b32_e32 v9, 0x100000, v9
	v_and_b32_e32 v8, 0x100000, v8
	;; [unrolled: 1-line block ×4, first 2 shown]
	v_or3_b32 v3, v3, v8, v10
	v_or3_b32 v8, v15, v9, v11
	ds_write2_b32 v122, v8, v3 offset1:1
	s_waitcnt vmcnt(4)
	v_ashrrev_i32_e32 v8, v24, v2
	v_lshl_add_u64 v[2:3], v[56:57], 0, s[16:17]
	v_lshlrev_b32_e32 v9, 4, v8
	v_lshlrev_b32_e32 v10, 11, v8
	v_lshrrev_b32_e32 v11, 4, v20
	v_lshrrev_b32_e32 v12, 12, v8
	;; [unrolled: 1-line block ×3, first 2 shown]
	global_load_dword v14, v[2:3], off
	v_lshl_add_u64 v[2:3], v[54:55], 0, s[16:17]
	v_and_b32_e32 v11, 0xf0f0f0f, v11
	global_load_dword v15, v[2:3], off
	v_and_b32_e32 v2, 0xf0f0f0f, v20
	v_and_b32_e32 v3, 16, v12
	v_and_b32_e32 v9, 16, v9
	v_and_b32_e32 v12, 0x1000, v13
	v_and_b32_e32 v10, 0x1000, v10
	v_or3_b32 v2, v9, v2, v10
	v_or3_b32 v3, v3, v11, v12
	v_lshlrev_b32_e32 v9, 2, v8
	v_lshlrev_b32_e32 v10, 18, v8
	;; [unrolled: 1-line block ×4, first 2 shown]
	v_and_b32_e32 v10, 0x100000, v10
	v_and_b32_e32 v9, 0x100000, v9
	;; [unrolled: 1-line block ×4, first 2 shown]
	v_or3_b32 v3, v3, v9, v11
	v_or3_b32 v2, v2, v10, v8
	ds_write2_b32 v123, v2, v3 offset1:1
	v_lshl_add_u64 v[2:3], v[60:61], 0, s[16:17]
	s_waitcnt vmcnt(4)
	v_ashrrev_i32_e32 v5, v24, v5
	global_load_dword v13, v[2:3], off
	v_lshl_add_u64 v[2:3], v[58:59], 0, s[16:17]
	v_lshlrev_b32_e32 v8, 4, v5
	v_lshlrev_b32_e32 v9, 11, v5
	v_lshrrev_b32_e32 v10, 4, v4
	v_lshrrev_b32_e32 v11, 12, v5
	;; [unrolled: 1-line block ×3, first 2 shown]
	global_load_dword v16, v[2:3], off
	v_and_b32_e32 v10, 0xf0f0f0f, v10
	v_and_b32_e32 v2, 0xf0f0f0f, v4
	v_and_b32_e32 v3, 16, v11
	v_and_b32_e32 v4, 16, v8
	v_and_b32_e32 v8, 0x1000, v12
	v_and_b32_e32 v9, 0x1000, v9
	v_or3_b32 v2, v4, v2, v9
	v_or3_b32 v3, v3, v10, v8
	v_lshlrev_b32_e32 v4, 2, v5
	v_lshlrev_b32_e32 v8, 18, v5
	v_lshlrev_b32_e32 v9, 9, v5
	v_lshlrev_b32_e32 v5, 25, v5
	v_and_b32_e32 v8, 0x100000, v8
	v_and_b32_e32 v4, 0x100000, v4
	;; [unrolled: 1-line block ×4, first 2 shown]
	v_or3_b32 v3, v3, v4, v9
	v_or3_b32 v2, v2, v8, v5
	ds_write2_b32 v124, v2, v3 offset1:1
	v_lshl_add_u64 v[2:3], v[64:65], 0, s[16:17]
	s_waitcnt vmcnt(4)
	v_ashrrev_i32_e32 v4, v24, v7
	global_load_dword v11, v[2:3], off
	v_lshl_add_u64 v[2:3], v[62:63], 0, s[16:17]
	v_lshlrev_b32_e32 v5, 4, v4
	v_lshlrev_b32_e32 v7, 11, v4
	v_lshrrev_b32_e32 v8, 4, v6
	v_lshrrev_b32_e32 v9, 12, v4
	;; [unrolled: 1-line block ×3, first 2 shown]
	global_load_dword v12, v[2:3], off
	v_and_b32_e32 v8, 0xf0f0f0f, v8
	v_and_b32_e32 v2, 0xf0f0f0f, v6
	;; [unrolled: 1-line block ×6, first 2 shown]
	v_or3_b32 v2, v5, v2, v7
	v_or3_b32 v3, v3, v8, v6
	v_lshlrev_b32_e32 v5, 2, v4
	v_lshlrev_b32_e32 v6, 18, v4
	;; [unrolled: 1-line block ×4, first 2 shown]
	v_and_b32_e32 v6, 0x100000, v6
	v_and_b32_e32 v5, 0x100000, v5
	;; [unrolled: 1-line block ×4, first 2 shown]
	v_or3_b32 v3, v3, v5, v7
	v_or3_b32 v2, v2, v6, v4
	ds_write2_b32 v125, v2, v3 offset1:1
	v_lshl_add_u64 v[2:3], v[68:69], 0, s[16:17]
	global_load_dword v10, v[2:3], off
	s_waitcnt vmcnt(6)
	v_ashrrev_i32_e32 v4, v24, v14
	v_lshlrev_b32_e32 v5, 4, v4
	v_lshlrev_b32_e32 v6, 11, v4
	s_waitcnt vmcnt(5)
	v_lshrrev_b32_e32 v7, 4, v15
	v_lshrrev_b32_e32 v8, 12, v4
	v_lshrrev_b32_e32 v9, 5, v4
	v_lshl_add_u64 v[2:3], v[66:67], 0, s[16:17]
	v_and_b32_e32 v7, 0xf0f0f0f, v7
	global_load_dword v14, v[2:3], off
	v_and_b32_e32 v2, 0xf0f0f0f, v15
	v_and_b32_e32 v3, 16, v8
	;; [unrolled: 1-line block ×5, first 2 shown]
	v_or3_b32 v2, v5, v2, v6
	v_or3_b32 v3, v3, v7, v8
	v_lshlrev_b32_e32 v5, 2, v4
	v_lshlrev_b32_e32 v6, 18, v4
	;; [unrolled: 1-line block ×4, first 2 shown]
	v_and_b32_e32 v6, 0x100000, v6
	v_and_b32_e32 v5, 0x100000, v5
	;; [unrolled: 1-line block ×4, first 2 shown]
	v_or3_b32 v3, v3, v5, v7
	v_or3_b32 v2, v2, v6, v4
	ds_write2_b32 v126, v2, v3 offset1:1
	s_waitcnt vmcnt(5)
	v_ashrrev_i32_e32 v4, v24, v13
	v_lshl_add_u64 v[2:3], v[72:73], 0, s[16:17]
	v_lshlrev_b32_e32 v5, 4, v4
	v_lshlrev_b32_e32 v6, 11, v4
	s_waitcnt vmcnt(4)
	v_lshrrev_b32_e32 v7, 4, v16
	v_lshrrev_b32_e32 v8, 12, v4
	;; [unrolled: 1-line block ×3, first 2 shown]
	global_load_dword v13, v[2:3], off
	v_lshl_add_u64 v[2:3], v[70:71], 0, s[16:17]
	v_and_b32_e32 v7, 0xf0f0f0f, v7
	global_load_dword v15, v[2:3], off
	v_and_b32_e32 v2, 0xf0f0f0f, v16
	v_and_b32_e32 v3, 16, v8
	;; [unrolled: 1-line block ×5, first 2 shown]
	v_or3_b32 v2, v5, v2, v6
	v_or3_b32 v3, v3, v7, v8
	v_lshlrev_b32_e32 v5, 2, v4
	v_lshlrev_b32_e32 v6, 18, v4
	;; [unrolled: 1-line block ×4, first 2 shown]
	v_and_b32_e32 v6, 0x100000, v6
	v_and_b32_e32 v5, 0x100000, v5
	;; [unrolled: 1-line block ×4, first 2 shown]
	v_or3_b32 v3, v3, v5, v7
	v_or3_b32 v2, v2, v6, v4
	ds_write2_b32 v127, v2, v3 offset1:1
	v_lshl_add_u64 v[2:3], v[76:77], 0, s[16:17]
	s_waitcnt vmcnt(5)
	v_ashrrev_i32_e32 v4, v24, v11
	global_load_dword v11, v[2:3], off
	v_lshl_add_u64 v[2:3], v[74:75], 0, s[16:17]
	v_lshlrev_b32_e32 v5, 4, v4
	v_lshlrev_b32_e32 v6, 11, v4
	s_waitcnt vmcnt(5)
	v_lshrrev_b32_e32 v7, 4, v12
	v_lshrrev_b32_e32 v8, 12, v4
	;; [unrolled: 1-line block ×3, first 2 shown]
	global_load_dword v16, v[2:3], off
	v_and_b32_e32 v7, 0xf0f0f0f, v7
	v_and_b32_e32 v2, 0xf0f0f0f, v12
	;; [unrolled: 1-line block ×6, first 2 shown]
	v_or3_b32 v2, v5, v2, v6
	v_or3_b32 v3, v3, v7, v8
	v_lshlrev_b32_e32 v5, 2, v4
	v_lshlrev_b32_e32 v6, 18, v4
	;; [unrolled: 1-line block ×4, first 2 shown]
	v_and_b32_e32 v6, 0x100000, v6
	v_and_b32_e32 v5, 0x100000, v5
	;; [unrolled: 1-line block ×4, first 2 shown]
	v_or3_b32 v3, v3, v5, v7
	v_or3_b32 v2, v2, v6, v4
	ds_write2_b32 v128, v2, v3 offset1:1
	v_lshl_add_u64 v[2:3], v[80:81], 0, s[16:17]
	s_waitcnt vmcnt(5)
	v_ashrrev_i32_e32 v4, v24, v10
	global_load_dword v10, v[2:3], off
	v_lshl_add_u64 v[2:3], v[78:79], 0, s[16:17]
	global_load_dword v12, v[2:3], off
	v_lshlrev_b32_e32 v5, 4, v4
	v_lshlrev_b32_e32 v6, 11, v4
	s_waitcnt vmcnt(6)
	v_lshrrev_b32_e32 v7, 4, v14
	v_lshrrev_b32_e32 v8, 12, v4
	;; [unrolled: 1-line block ×3, first 2 shown]
	v_and_b32_e32 v7, 0xf0f0f0f, v7
	v_and_b32_e32 v2, 0xf0f0f0f, v14
	;; [unrolled: 1-line block ×6, first 2 shown]
	v_or3_b32 v2, v5, v2, v6
	v_or3_b32 v3, v3, v7, v8
	v_lshlrev_b32_e32 v5, 2, v4
	v_lshlrev_b32_e32 v6, 18, v4
	;; [unrolled: 1-line block ×4, first 2 shown]
	v_and_b32_e32 v6, 0x100000, v6
	v_and_b32_e32 v5, 0x100000, v5
	;; [unrolled: 1-line block ×4, first 2 shown]
	v_or3_b32 v3, v3, v5, v7
	v_or3_b32 v2, v2, v6, v4
	ds_write2_b32 v129, v2, v3 offset1:1
	s_waitcnt vmcnt(5)
	v_ashrrev_i32_e32 v4, v24, v13
	v_lshlrev_b32_e32 v2, 4, v4
	v_lshlrev_b32_e32 v3, 11, v4
	s_waitcnt vmcnt(4)
	v_lshrrev_b32_e32 v5, 4, v15
	v_lshrrev_b32_e32 v6, 12, v4
	;; [unrolled: 1-line block ×3, first 2 shown]
	v_and_b32_e32 v5, 0xf0f0f0f, v5
	v_and_b32_e32 v6, 16, v6
	;; [unrolled: 1-line block ×5, first 2 shown]
	v_lshl_add_u64 v[2:3], v[84:85], 0, s[16:17]
	global_load_dword v14, v[2:3], off
	v_or3_b32 v5, v6, v5, v7
	v_lshlrev_b32_e32 v6, 2, v4
	v_lshl_add_u64 v[2:3], v[82:83], 0, s[16:17]
	v_and_b32_e32 v8, 0xf0f0f0f, v15
	global_load_dword v7, v[2:3], off
	v_lshlrev_b32_e32 v2, 18, v4
	v_and_b32_e32 v3, 0x100000, v6
	v_lshlrev_b32_e32 v6, 9, v4
	v_lshlrev_b32_e32 v4, 25, v4
	v_or3_b32 v8, v9, v8, v13
	v_and_b32_e32 v2, 0x100000, v2
	v_and_b32_e32 v4, 0x10000000, v4
	;; [unrolled: 1-line block ×3, first 2 shown]
	v_or3_b32 v3, v5, v3, v6
	v_or3_b32 v2, v8, v2, v4
	s_waitcnt vmcnt(5)
	v_ashrrev_i32_e32 v4, v24, v11
	ds_write2_b32 v130, v2, v3 offset1:1
	v_lshlrev_b32_e32 v2, 4, v4
	s_waitcnt vmcnt(4)
	v_lshrrev_b32_e32 v3, 4, v16
	v_lshrrev_b32_e32 v6, 12, v4
	v_lshrrev_b32_e32 v8, 5, v4
	v_and_b32_e32 v9, 0xf0f0f0f, v3
	v_and_b32_e32 v13, 16, v2
	v_lshl_add_u64 v[2:3], v[88:89], 0, s[16:17]
	v_lshlrev_b32_e32 v5, 11, v4
	v_and_b32_e32 v6, 16, v6
	global_load_dword v15, v[2:3], off
	v_and_b32_e32 v8, 0x1000, v8
	v_lshl_add_u64 v[2:3], v[86:87], 0, s[16:17]
	v_and_b32_e32 v11, 0xf0f0f0f, v16
	global_load_dword v16, v[2:3], off
	v_and_b32_e32 v2, 0x1000, v5
	v_or3_b32 v3, v6, v9, v8
	v_lshlrev_b32_e32 v5, 2, v4
	v_lshlrev_b32_e32 v6, 18, v4
	;; [unrolled: 1-line block ×4, first 2 shown]
	v_or3_b32 v2, v13, v11, v2
	v_and_b32_e32 v6, 0x100000, v6
	v_and_b32_e32 v5, 0x100000, v5
	;; [unrolled: 1-line block ×4, first 2 shown]
	v_or3_b32 v3, v3, v5, v8
	v_or3_b32 v2, v2, v6, v4
	ds_write2_b32 v131, v2, v3 offset1:1
	s_waitcnt vmcnt(5)
	v_ashrrev_i32_e32 v4, v24, v10
	v_lshl_add_u64 v[2:3], v[92:93], 0, s[16:17]
	v_lshlrev_b32_e32 v5, 4, v4
	v_lshlrev_b32_e32 v6, 11, v4
	s_waitcnt vmcnt(4)
	v_lshrrev_b32_e32 v8, 4, v12
	v_lshrrev_b32_e32 v9, 12, v4
	;; [unrolled: 1-line block ×3, first 2 shown]
	global_load_dword v11, v[2:3], off
	v_lshl_add_u64 v[2:3], v[90:91], 0, s[16:17]
	v_and_b32_e32 v8, 0xf0f0f0f, v8
	global_load_dword v13, v[2:3], off
	v_and_b32_e32 v2, 0xf0f0f0f, v12
	v_and_b32_e32 v3, 16, v9
	;; [unrolled: 1-line block ×5, first 2 shown]
	v_or3_b32 v2, v5, v2, v6
	v_or3_b32 v3, v3, v8, v9
	v_lshlrev_b32_e32 v5, 2, v4
	v_lshlrev_b32_e32 v6, 18, v4
	v_lshlrev_b32_e32 v8, 9, v4
	v_lshlrev_b32_e32 v4, 25, v4
	v_and_b32_e32 v6, 0x100000, v6
	v_and_b32_e32 v5, 0x100000, v5
	v_and_b32_e32 v4, 0x10000000, v4
	v_and_b32_e32 v8, 0x10000000, v8
	v_or3_b32 v3, v3, v5, v8
	v_or3_b32 v2, v2, v6, v4
	ds_write2_b32 v132, v2, v3 offset1:1
	v_lshl_add_u64 v[2:3], v[94:95], 0, s[16:17]
	global_load_dword v4, v[2:3], off
	v_lshl_add_u64 v[2:3], v[96:97], 0, s[16:17]
	global_load_dword v5, v[2:3], off
	v_lshl_add_u64 v[2:3], v[100:101], 0, s[16:17]
	global_load_dword v6, v[2:3], off
	v_lshl_add_u64 v[2:3], v[102:103], 0, s[16:17]
	global_load_dword v2, v[2:3], off
	s_waitcnt vmcnt(9)
	v_ashrrev_i32_e32 v8, v24, v14
	v_lshlrev_b32_e32 v3, 4, v8
	v_lshlrev_b32_e32 v9, 11, v8
	s_waitcnt vmcnt(8)
	v_lshrrev_b32_e32 v10, 4, v7
	v_lshrrev_b32_e32 v12, 12, v8
	v_lshrrev_b32_e32 v14, 5, v8
	v_and_b32_e32 v10, 0xf0f0f0f, v10
	v_and_b32_e32 v7, 0xf0f0f0f, v7
	v_and_b32_e32 v12, 16, v12
	v_and_b32_e32 v3, 16, v3
	v_and_b32_e32 v14, 0x1000, v14
	v_and_b32_e32 v9, 0x1000, v9
	v_or3_b32 v3, v3, v7, v9
	v_or3_b32 v7, v12, v10, v14
	v_lshlrev_b32_e32 v9, 2, v8
	v_lshlrev_b32_e32 v10, 18, v8
	v_lshlrev_b32_e32 v12, 9, v8
	v_lshlrev_b32_e32 v8, 25, v8
	v_and_b32_e32 v10, 0x100000, v10
	v_and_b32_e32 v9, 0x100000, v9
	v_and_b32_e32 v8, 0x10000000, v8
	v_and_b32_e32 v12, 0x10000000, v12
	v_or3_b32 v7, v7, v9, v12
	v_or3_b32 v3, v3, v10, v8
	ds_write2_b32 v133, v3, v7 offset1:1
	s_waitcnt vmcnt(7)
	v_ashrrev_i32_e32 v3, v24, v15
	v_lshlrev_b32_e32 v7, 4, v3
	v_lshlrev_b32_e32 v8, 11, v3
	s_waitcnt vmcnt(6)
	v_lshrrev_b32_e32 v9, 4, v16
	v_lshrrev_b32_e32 v10, 12, v3
	v_lshrrev_b32_e32 v12, 5, v3
	v_and_b32_e32 v9, 0xf0f0f0f, v9
	v_and_b32_e32 v14, 0xf0f0f0f, v16
	v_and_b32_e32 v10, 16, v10
	v_and_b32_e32 v7, 16, v7
	v_and_b32_e32 v12, 0x1000, v12
	v_and_b32_e32 v8, 0x1000, v8
	v_or3_b32 v7, v7, v14, v8
	v_or3_b32 v8, v10, v9, v12
	v_lshlrev_b32_e32 v9, 2, v3
	v_lshlrev_b32_e32 v10, 18, v3
	v_lshlrev_b32_e32 v12, 9, v3
	v_lshlrev_b32_e32 v3, 25, v3
	v_and_b32_e32 v10, 0x100000, v10
	v_and_b32_e32 v9, 0x100000, v9
	v_and_b32_e32 v3, 0x10000000, v3
	v_and_b32_e32 v12, 0x10000000, v12
	v_or3_b32 v8, v8, v9, v12
	v_or3_b32 v3, v7, v10, v3
	ds_write2_b32 v134, v3, v8 offset1:1
	;; [unrolled: 27-line block ×3, first 2 shown]
	s_waitcnt vmcnt(3)
	ds_write_b32 v149, v4
	s_waitcnt vmcnt(2)
	ds_write_b32 v150, v5
	;; [unrolled: 2-line block ×4, first 2 shown]
	s_cbranch_scc0 .LBB223_5
; %bb.7:                                ;   in Loop: Header=BB223_6 Depth=1
	v_add_u32_e32 v2, s14, v136
	v_cmp_gt_i32_e64 s[2:3], s5, v2
	s_and_b64 s[20:21], s[0:1], s[2:3]
	s_and_saveexec_b64 s[2:3], s[20:21]
	s_cbranch_execz .LBB223_9
; %bb.8:                                ;   in Loop: Header=BB223_6 Depth=1
	v_add_u32_e32 v2, s14, v148
	v_mad_i64_i32 v[2:3], s[20:21], v2, 36, v[26:27]
	global_load_dword v2, v[2:3], off offset:4
	s_waitcnt vmcnt(0)
	ds_write_b32 v137, v2
.LBB223_9:                              ;   in Loop: Header=BB223_6 Depth=1
	s_or_b64 exec, exec, s[2:3]
	s_and_saveexec_b64 s[20:21], vcc
	s_cbranch_execz .LBB223_12
; %bb.10:                               ;   in Loop: Header=BB223_6 Depth=1
	v_add_u32_e32 v2, s14, v22
	v_cmp_gt_i32_e64 s[2:3], s5, v2
	s_and_b64 s[2:3], s[0:1], s[2:3]
	s_and_b64 exec, exec, s[2:3]
	s_cbranch_execz .LBB223_12
; %bb.11:                               ;   in Loop: Header=BB223_6 Depth=1
	v_add_u32_e32 v2, s14, v23
	v_mad_i64_i32 v[2:3], s[2:3], v2, 36, s[10:11]
	global_load_dword v2, v[2:3], off
	s_waitcnt vmcnt(0)
	ds_write_b32 v138, v2
.LBB223_12:                             ;   in Loop: Header=BB223_6 Depth=1
	s_or_b64 exec, exec, s[20:21]
	s_waitcnt lgkmcnt(0)
	s_barrier
	ds_read_b128 v[14:17], v139
	ds_read_b128 v[18:21], v139 offset:16
	ds_read_b128 v[2:5], v140
	ds_read2_b32 v[108:109], v141 offset1:1
	ds_read_b128 v[10:13], v139 offset:32
	ds_read_b128 v[6:9], v139 offset:48
	ds_read2_b32 v[106:107], v142 offset1:1
	ds_read2_b32 v[110:111], v141 offset0:2 offset1:3
	v_mov_b32_e32 v25, 0
	s_waitcnt lgkmcnt(4)
	v_dot4c_i32_i8_e32 v25, v108, v14
	v_dot4c_i32_i8_e32 v25, v109, v18
	s_waitcnt lgkmcnt(1)
	v_pk_mul_f16 v153, v2, v106
	s_waitcnt lgkmcnt(0)
	v_dot4c_i32_i8_e32 v25, v110, v15
	v_add_u32_e32 v106, 0x2080, v141
	ds_read2_b32 v[108:109], v141 offset0:4 offset1:5
	ds_read2_b32 v[112:113], v141 offset0:6 offset1:7
	;; [unrolled: 1-line block ×3, first 2 shown]
	v_dot4c_i32_i8_e32 v25, v111, v19
	ds_read2_b32 v[154:155], v141 offset0:26 offset1:27
	ds_read2_b32 v[156:157], v141 offset0:28 offset1:29
	;; [unrolled: 1-line block ×3, first 2 shown]
	ds_read2_b32 v[110:111], v106 offset1:1
	ds_read2_b32 v[160:161], v143 offset1:1
	v_mov_b32_e32 v106, 0
	s_waitcnt lgkmcnt(7)
	v_dot4c_i32_i8_e32 v25, v108, v16
	v_dot4c_i32_i8_e32 v25, v109, v20
	s_waitcnt lgkmcnt(1)
	v_dot4c_i32_i8_e32 v106, v110, v14
	v_add_u32_e32 v110, 0x2088, v141
	ds_read2_b32 v[108:109], v145 offset0:2 offset1:3
	v_dot4c_i32_i8_e32 v106, v111, v18
	ds_read2_b32 v[110:111], v110 offset1:1
	v_dot4c_i32_i8_e32 v25, v112, v17
	v_dot4c_i32_i8_e32 v25, v113, v21
	v_add_u32_e32 v113, 0x2090, v141
	v_add_u32_e32 v118, 0x2098, v141
	;; [unrolled: 1-line block ×3, first 2 shown]
	ds_read2_b32 v[116:117], v113 offset1:1
	ds_read2_b32 v[118:119], v118 offset1:1
	ds_read2_b32 v[162:163], v162 offset1:1
	s_waitcnt lgkmcnt(3)
	v_dot4c_i32_i8_e32 v106, v110, v15
	v_dot4c_i32_i8_e32 v106, v111, v19
	s_waitcnt lgkmcnt(2)
	v_dot4c_i32_i8_e32 v106, v116, v16
	v_dot4c_i32_i8_e32 v106, v117, v20
	;; [unrolled: 3-line block ×3, first 2 shown]
	ds_read2_b32 v[164:165], v144 offset1:1
	ds_read2_b32 v[116:117], v143 offset0:2 offset1:3
	ds_read2_b32 v[166:167], v142 offset0:2 offset1:3
	v_cvt_f32_i32_e32 v119, v106
	v_add_u32_e32 v106, 0x4108, v141
	v_cvt_f32_i32_e32 v118, v25
	v_mov_b32_e32 v25, 0
	ds_read2_b32 v[110:111], v106 offset1:1
	v_pk_mul_f16 v174, v2, v160
	s_waitcnt lgkmcnt(4)
	v_dot4c_i32_i8_e32 v25, v162, v14
	v_add_u32_e32 v160, 0x4110, v141
	v_add_u32_e32 v168, 0x4118, v141
	v_dot4c_i32_i8_e32 v25, v163, v18
	v_add_u32_e32 v106, 0x6180, v141
	ds_read2_b32 v[162:163], v160 offset1:1
	ds_read2_b32 v[168:169], v168 offset1:1
	;; [unrolled: 1-line block ×3, first 2 shown]
	s_waitcnt lgkmcnt(3)
	v_dot4c_i32_i8_e32 v25, v110, v15
	v_dot4c_i32_i8_e32 v25, v111, v19
	v_mov_b32_e32 v106, 0
	s_waitcnt lgkmcnt(2)
	v_dot4c_i32_i8_e32 v25, v162, v16
	s_waitcnt lgkmcnt(0)
	v_dot4c_i32_i8_e32 v106, v170, v14
	v_add_u32_e32 v14, 0x6188, v141
	v_dot4c_i32_i8_e32 v25, v163, v20
	ds_read2_b32 v[162:163], v14 offset1:1
	v_dot4c_i32_i8_e32 v25, v168, v17
	v_dot4c_i32_i8_e32 v106, v171, v18
	v_add_u32_e32 v18, 0x6190, v141
	v_dot4c_i32_i8_e32 v25, v169, v21
	v_add_u32_e32 v111, 0x6198, v141
	v_add_u32_e32 v14, 0x20a0, v141
	ds_read2_b32 v[168:169], v18 offset1:1
	ds_read2_b32 v[170:171], v111 offset1:1
	;; [unrolled: 1-line block ×3, first 2 shown]
	s_waitcnt lgkmcnt(3)
	v_dot4c_i32_i8_e32 v106, v162, v15
	v_dot4c_i32_i8_e32 v106, v163, v19
	s_waitcnt lgkmcnt(2)
	v_dot4c_i32_i8_e32 v106, v168, v16
	v_dot4c_i32_i8_e32 v106, v169, v20
	s_waitcnt lgkmcnt(1)
	v_dot4c_i32_i8_e32 v106, v170, v17
	ds_read2_b32 v[18:19], v145 offset1:1
	ds_read2_b32 v[16:17], v144 offset0:2 offset1:3
	v_dot4c_i32_i8_e32 v106, v171, v21
	ds_read2_b32 v[20:21], v141 offset0:10 offset1:11
	v_cvt_f32_i32_e32 v14, v25
	v_mov_b32_e32 v25, 0
	v_dot4c_i32_i8_e32 v25, v114, v10
	v_dot4c_i32_i8_e32 v25, v115, v6
	ds_read2_b32 v[114:115], v141 offset0:12 offset1:13
	ds_read2_b32 v[162:163], v141 offset0:14 offset1:15
	;; [unrolled: 1-line block ×3, first 2 shown]
	v_pk_mul_f16 v164, v2, v164
	s_waitcnt lgkmcnt(5)
	v_pk_mul_f16 v170, v2, v18
	s_waitcnt lgkmcnt(3)
	v_dot4c_i32_i8_e32 v25, v20, v11
	v_add_u32_e32 v2, 0x20a8, v141
	v_dot4c_i32_i8_e32 v25, v21, v7
	ds_read2_b32 v[20:21], v2 offset1:1
	s_waitcnt lgkmcnt(3)
	v_dot4c_i32_i8_e32 v25, v114, v12
	v_dot4c_i32_i8_e32 v25, v115, v8
	v_mov_b32_e32 v175, 0
	s_waitcnt lgkmcnt(2)
	v_dot4c_i32_i8_e32 v25, v162, v13
	v_dot4c_i32_i8_e32 v175, v172, v10
	v_add_u32_e32 v18, 0x20b0, v141
	v_add_u32_e32 v114, 0x20b8, v141
	v_cvt_f32_i32_e32 v15, v106
	v_dot4c_i32_i8_e32 v25, v163, v9
	v_pk_mul_f16 v171, v3, v107
	v_dot4c_i32_i8_e32 v175, v173, v6
	v_add_u32_e32 v2, 0x4120, v141
	ds_read2_b32 v[106:107], v18 offset1:1
	ds_read2_b32 v[114:115], v114 offset1:1
	;; [unrolled: 1-line block ×3, first 2 shown]
	s_waitcnt lgkmcnt(3)
	v_dot4c_i32_i8_e32 v175, v20, v11
	v_dot4c_i32_i8_e32 v175, v21, v7
	v_add_u32_e32 v2, 0x4128, v141
	s_waitcnt lgkmcnt(2)
	v_dot4c_i32_i8_e32 v175, v106, v12
	ds_read2_b32 v[20:21], v2 offset1:1
	v_dot4c_i32_i8_e32 v175, v107, v8
	s_waitcnt lgkmcnt(2)
	v_dot4c_i32_i8_e32 v175, v114, v13
	v_mov_b32_e32 v173, 0
	v_add_u32_e32 v18, 0x4130, v141
	v_add_u32_e32 v114, 0x4138, v141
	v_dot4c_i32_i8_e32 v175, v115, v9
	v_pk_mul_f16 v172, v3, v161
	s_waitcnt lgkmcnt(1)
	v_dot4c_i32_i8_e32 v173, v162, v10
	v_add_u32_e32 v2, 0x61a0, v141
	ds_read2_b32 v[106:107], v18 offset1:1
	ds_read2_b32 v[114:115], v114 offset1:1
	;; [unrolled: 1-line block ×3, first 2 shown]
	v_dot4c_i32_i8_e32 v173, v163, v6
	s_waitcnt lgkmcnt(3)
	v_dot4c_i32_i8_e32 v173, v20, v11
	v_add_u32_e32 v2, 0x61a8, v141
	v_dot4c_i32_i8_e32 v173, v21, v7
	ds_read2_b32 v[20:21], v2 offset1:1
	s_waitcnt lgkmcnt(3)
	v_dot4c_i32_i8_e32 v173, v106, v12
	v_mov_b32_e32 v163, 0
	v_dot4c_i32_i8_e32 v173, v107, v8
	s_waitcnt lgkmcnt(1)
	v_dot4c_i32_i8_e32 v163, v160, v10
	v_dot4c_i32_i8_e32 v173, v114, v13
	;; [unrolled: 1-line block ×3, first 2 shown]
	v_add_u32_e32 v6, 0x61b0, v141
	v_dot4c_i32_i8_e32 v173, v115, v9
	v_add_u32_e32 v10, 0x61b8, v141
	v_add_u32_e32 v2, 0x20c0, v141
	ds_read2_b32 v[106:107], v6 offset1:1
	ds_read2_b32 v[114:115], v10 offset1:1
	;; [unrolled: 1-line block ×3, first 2 shown]
	s_waitcnt lgkmcnt(3)
	v_dot4c_i32_i8_e32 v163, v20, v11
	v_dot4c_i32_i8_e32 v163, v21, v7
	s_waitcnt lgkmcnt(2)
	v_dot4c_i32_i8_e32 v163, v106, v12
	v_dot4c_i32_i8_e32 v163, v107, v8
	s_waitcnt lgkmcnt(1)
	v_dot4c_i32_i8_e32 v163, v114, v13
	ds_read_b128 v[10:13], v139 offset:64
	v_dot4c_i32_i8_e32 v163, v115, v9
	ds_read_b128 v[6:9], v139 offset:80
	v_pk_mul_f16 v162, v3, v165
	v_pk_mul_f16 v165, v3, v19
	ds_read2_b32 v[2:3], v141 offset0:18 offset1:19
	v_mov_b32_e32 v176, 0
	s_waitcnt lgkmcnt(2)
	v_dot4c_i32_i8_e32 v176, v168, v10
	s_waitcnt lgkmcnt(1)
	v_dot4c_i32_i8_e32 v176, v169, v6
	ds_read2_b32 v[18:19], v141 offset0:20 offset1:21
	ds_read2_b32 v[20:21], v141 offset0:22 offset1:23
	;; [unrolled: 1-line block ×3, first 2 shown]
	s_waitcnt lgkmcnt(3)
	v_dot4c_i32_i8_e32 v176, v2, v11
	v_add_u32_e32 v2, 0x20c8, v141
	v_dot4c_i32_i8_e32 v176, v3, v7
	ds_read2_b32 v[2:3], v2 offset1:1
	s_waitcnt lgkmcnt(3)
	v_dot4c_i32_i8_e32 v176, v18, v12
	v_dot4c_i32_i8_e32 v176, v19, v8
	v_mov_b32_e32 v168, 0
	s_waitcnt lgkmcnt(2)
	v_dot4c_i32_i8_e32 v176, v20, v13
	v_dot4c_i32_i8_e32 v168, v160, v10
	v_add_u32_e32 v18, 0x20d0, v141
	v_add_u32_e32 v20, 0x20d8, v141
	;; [unrolled: 1-line block ×3, first 2 shown]
	v_dot4c_i32_i8_e32 v176, v21, v9
	v_dot4c_i32_i8_e32 v168, v161, v6
	ds_read2_b32 v[18:19], v18 offset1:1
	ds_read2_b32 v[20:21], v20 offset1:1
	;; [unrolled: 1-line block ×3, first 2 shown]
	s_waitcnt lgkmcnt(3)
	v_dot4c_i32_i8_e32 v168, v2, v11
	v_dot4c_i32_i8_e32 v168, v3, v7
	v_add_u32_e32 v2, 0x4148, v141
	s_waitcnt lgkmcnt(2)
	v_dot4c_i32_i8_e32 v168, v18, v12
	ds_read2_b32 v[2:3], v2 offset1:1
	v_dot4c_i32_i8_e32 v168, v19, v8
	v_mov_b32_e32 v169, 0
	s_waitcnt lgkmcnt(2)
	v_dot4c_i32_i8_e32 v168, v20, v13
	s_waitcnt lgkmcnt(1)
	v_dot4c_i32_i8_e32 v169, v114, v10
	v_add_u32_e32 v18, 0x4150, v141
	v_add_u32_e32 v20, 0x4158, v141
	;; [unrolled: 1-line block ×3, first 2 shown]
	v_dot4c_i32_i8_e32 v168, v21, v9
	v_dot4c_i32_i8_e32 v169, v115, v6
	ds_read2_b32 v[18:19], v18 offset1:1
	ds_read2_b32 v[20:21], v20 offset1:1
	;; [unrolled: 1-line block ×3, first 2 shown]
	s_waitcnt lgkmcnt(3)
	v_dot4c_i32_i8_e32 v169, v2, v11
	v_add_u32_e32 v2, 0x61c8, v141
	v_dot4c_i32_i8_e32 v169, v3, v7
	ds_read2_b32 v[2:3], v2 offset1:1
	v_mov_b32_e32 v177, 0
	s_waitcnt lgkmcnt(3)
	v_dot4c_i32_i8_e32 v169, v18, v12
	s_waitcnt lgkmcnt(1)
	v_dot4c_i32_i8_e32 v177, v114, v10
	v_dot4c_i32_i8_e32 v169, v19, v8
	;; [unrolled: 1-line block ×3, first 2 shown]
	v_add_u32_e32 v6, 0x61d0, v141
	v_dot4c_i32_i8_e32 v169, v20, v13
	v_add_u32_e32 v10, 0x61d8, v141
	v_add_u32_e32 v20, 0x20e0, v141
	ds_read2_b32 v[18:19], v6 offset1:1
	ds_read2_b32 v[114:115], v10 offset1:1
	;; [unrolled: 1-line block ×3, first 2 shown]
	s_waitcnt lgkmcnt(3)
	v_dot4c_i32_i8_e32 v177, v2, v11
	v_dot4c_i32_i8_e32 v177, v3, v7
	s_waitcnt lgkmcnt(2)
	v_dot4c_i32_i8_e32 v177, v18, v12
	v_dot4c_i32_i8_e32 v177, v19, v8
	;; [unrolled: 1-line block ×3, first 2 shown]
	s_waitcnt lgkmcnt(1)
	v_dot4c_i32_i8_e32 v177, v114, v13
	ds_read_b128 v[10:13], v139 offset:96
	ds_read_b128 v[18:21], v139 offset:112
	v_pk_mul_f16 v166, v4, v166
	v_pk_mul_f16 v116, v4, v116
	;; [unrolled: 1-line block ×4, first 2 shown]
	v_mov_b32_e32 v4, 0
	s_waitcnt lgkmcnt(1)
	v_dot4c_i32_i8_e32 v4, v106, v10
	v_add_u32_e32 v2, 0x20e8, v141
	s_waitcnt lgkmcnt(0)
	v_dot4c_i32_i8_e32 v4, v107, v18
	ds_read2_b32 v[2:3], v2 offset1:1
	v_dot4c_i32_i8_e32 v4, v154, v11
	v_dot4c_i32_i8_e32 v4, v155, v19
	v_mov_b32_e32 v155, 0
	v_dot4c_i32_i8_e32 v155, v160, v10
	v_add_u32_e32 v6, 0x20f0, v141
	v_add_u32_e32 v8, 0x20f8, v141
	;; [unrolled: 1-line block ×3, first 2 shown]
	v_dot4c_i32_i8_e32 v177, v115, v9
	v_dot4c_i32_i8_e32 v155, v161, v18
	ds_read2_b32 v[6:7], v6 offset1:1
	ds_read2_b32 v[8:9], v8 offset1:1
	;; [unrolled: 1-line block ×3, first 2 shown]
	s_waitcnt lgkmcnt(3)
	v_dot4c_i32_i8_e32 v155, v2, v11
	v_dot4c_i32_i8_e32 v155, v3, v19
	s_waitcnt lgkmcnt(2)
	v_dot4c_i32_i8_e32 v155, v6, v12
	v_dot4c_i32_i8_e32 v155, v7, v20
	v_cvt_f32_f16_e32 v112, v153
	v_cvt_f32_f16_e32 v113, v174
	s_waitcnt lgkmcnt(1)
	v_dot4c_i32_i8_e32 v155, v8, v13
	v_cvt_f32_f16_sdwa v3, v174 dst_sel:DWORD dst_unused:UNUSED_PAD src0_sel:WORD_1
	v_cvt_f32_f16_sdwa v2, v153 dst_sel:DWORD dst_unused:UNUSED_PAD src0_sel:WORD_1
	v_dot4c_i32_i8_e32 v155, v9, v21
	v_cvt_f32_f16_e32 v7, v172
	v_cvt_f32_f16_e32 v6, v171
	v_cvt_f32_f16_sdwa v9, v172 dst_sel:DWORD dst_unused:UNUSED_PAD src0_sel:WORD_1
	v_cvt_f32_f16_sdwa v8, v171 dst_sel:DWORD dst_unused:UNUSED_PAD src0_sel:WORD_1
	v_cvt_f32_i32_e32 v115, v175
	v_cvt_f32_i32_e32 v114, v25
	v_dot4c_i32_i8_e32 v4, v156, v12
	v_dot4c_i32_i8_e32 v4, v157, v20
	;; [unrolled: 1-line block ×3, first 2 shown]
	v_pk_fma_f32 v[2:3], v[112:113], v[118:119], v[2:3]
	v_dot4c_i32_i8_e32 v4, v159, v21
	v_pk_mul_f16 v154, v5, v167
	v_pk_mul_f16 v25, v5, v117
	v_pk_add_f32 v[2:3], v[104:105], v[2:3]
	v_pk_fma_f32 v[6:7], v[6:7], v[114:115], v[8:9]
	v_cvt_f32_f16_e32 v9, v116
	v_cvt_f32_f16_e32 v8, v166
	v_cvt_f32_f16_sdwa v105, v116 dst_sel:DWORD dst_unused:UNUSED_PAD src0_sel:WORD_1
	v_cvt_f32_f16_sdwa v104, v166 dst_sel:DWORD dst_unused:UNUSED_PAD src0_sel:WORD_1
	v_cvt_f32_i32_e32 v113, v168
	v_cvt_f32_i32_e32 v112, v176
	v_cvt_f32_f16_e32 v115, v25
	v_cvt_f32_f16_e32 v114, v154
	v_cvt_f32_f16_sdwa v117, v25 dst_sel:DWORD dst_unused:UNUSED_PAD src0_sel:WORD_1
	v_cvt_f32_f16_sdwa v116, v154 dst_sel:DWORD dst_unused:UNUSED_PAD src0_sel:WORD_1
	v_cvt_f32_i32_e32 v119, v155
	v_cvt_f32_i32_e32 v118, v4
	v_pk_add_f32 v[2:3], v[2:3], v[6:7]
	v_pk_fma_f32 v[6:7], v[8:9], v[112:113], v[104:105]
	v_mov_b32_e32 v25, 0
	v_pk_add_f32 v[2:3], v[2:3], v[6:7]
	v_pk_fma_f32 v[6:7], v[114:115], v[118:119], v[116:117]
	s_waitcnt lgkmcnt(0)
	v_dot4c_i32_i8_e32 v25, v106, v10
	v_pk_add_f32 v[104:105], v[2:3], v[6:7]
	v_add_u32_e32 v2, 0x4168, v141
	ds_read2_b32 v[2:3], v2 offset1:1
	v_add_u32_e32 v4, 0x4170, v141
	v_add_u32_e32 v8, 0x4178, v141
	;; [unrolled: 1-line block ×3, first 2 shown]
	v_dot4c_i32_i8_e32 v25, v107, v18
	ds_read2_b32 v[6:7], v4 offset1:1
	ds_read2_b32 v[8:9], v8 offset1:1
	;; [unrolled: 1-line block ×3, first 2 shown]
	s_waitcnt lgkmcnt(3)
	v_dot4c_i32_i8_e32 v25, v2, v11
	v_add_u32_e32 v2, 0x61e8, v141
	v_dot4c_i32_i8_e32 v25, v3, v19
	ds_read2_b32 v[2:3], v2 offset1:1
	s_waitcnt lgkmcnt(3)
	v_dot4c_i32_i8_e32 v25, v6, v12
	v_add_u32_e32 v4, 0x61f0, v141
	v_dot4c_i32_i8_e32 v25, v7, v20
	ds_read2_b32 v[6:7], v4 offset1:1
	v_mov_b32_e32 v112, 0
	s_waitcnt lgkmcnt(3)
	v_dot4c_i32_i8_e32 v25, v8, v13
	s_waitcnt lgkmcnt(2)
	v_dot4c_i32_i8_e32 v112, v106, v10
	v_add_u32_e32 v4, 0x61f8, v141
	v_dot4c_i32_i8_e32 v25, v9, v21
	v_dot4c_i32_i8_e32 v112, v107, v18
	ds_read2_b32 v[8:9], v4 offset1:1
	s_waitcnt lgkmcnt(2)
	v_dot4c_i32_i8_e32 v112, v2, v11
	v_dot4c_i32_i8_e32 v112, v3, v19
	s_waitcnt lgkmcnt(1)
	v_dot4c_i32_i8_e32 v112, v6, v12
	v_dot4c_i32_i8_e32 v112, v7, v20
	;; [unrolled: 3-line block ×3, first 2 shown]
	v_cvt_f32_f16_e32 v7, v165
	v_cvt_f32_f16_e32 v6, v162
	v_cvt_f32_f16_sdwa v9, v165 dst_sel:DWORD dst_unused:UNUSED_PAD src0_sel:WORD_1
	v_cvt_f32_f16_sdwa v8, v162 dst_sel:DWORD dst_unused:UNUSED_PAD src0_sel:WORD_1
	v_cvt_f32_i32_e32 v11, v163
	v_cvt_f32_i32_e32 v10, v173
	v_cvt_f32_f16_e32 v110, v164
	v_cvt_f32_f16_e32 v111, v170
	v_cvt_f32_f16_sdwa v3, v170 dst_sel:DWORD dst_unused:UNUSED_PAD src0_sel:WORD_1
	v_cvt_f32_f16_sdwa v2, v164 dst_sel:DWORD dst_unused:UNUSED_PAD src0_sel:WORD_1
	v_pk_mul_f16 v17, v5, v17
	v_pk_mul_f16 v18, v5, v109
	v_pk_fma_f32 v[4:5], v[6:7], v[10:11], v[8:9]
	v_cvt_f32_f16_e32 v7, v108
	v_cvt_f32_f16_e32 v6, v16
	v_cvt_f32_f16_sdwa v9, v108 dst_sel:DWORD dst_unused:UNUSED_PAD src0_sel:WORD_1
	v_cvt_f32_f16_sdwa v8, v16 dst_sel:DWORD dst_unused:UNUSED_PAD src0_sel:WORD_1
	v_cvt_f32_i32_e32 v11, v177
	v_cvt_f32_i32_e32 v10, v169
	v_pk_fma_f32 v[2:3], v[110:111], v[14:15], v[2:3]
	v_cvt_f32_f16_e32 v13, v18
	v_cvt_f32_f16_e32 v12, v17
	v_cvt_f32_f16_sdwa v15, v18 dst_sel:DWORD dst_unused:UNUSED_PAD src0_sel:WORD_1
	v_cvt_f32_f16_sdwa v14, v17 dst_sel:DWORD dst_unused:UNUSED_PAD src0_sel:WORD_1
	v_cvt_f32_i32_e32 v17, v112
	v_cvt_f32_i32_e32 v16, v25
	v_pk_add_f32 v[2:3], v[98:99], v[2:3]
	s_cmp_ge_i32 s24, s15
	v_pk_add_f32 v[2:3], v[2:3], v[4:5]
	v_pk_fma_f32 v[4:5], v[6:7], v[10:11], v[8:9]
	s_nop 0
	v_pk_add_f32 v[2:3], v[2:3], v[4:5]
	v_pk_fma_f32 v[4:5], v[12:13], v[16:17], v[14:15]
	s_barrier
	v_pk_add_f32 v[98:99], v[2:3], v[4:5]
	s_cbranch_scc1 .LBB223_5
; %bb.13:                               ;   in Loop: Header=BB223_6 Depth=1
	v_add_u32_e32 v2, s14, v146
	v_cmp_gt_i32_e64 s[2:3], s5, v2
	s_and_b64 s[20:21], s[0:1], s[2:3]
	s_and_saveexec_b64 s[2:3], s[20:21]
	s_cbranch_execz .LBB223_15
; %bb.14:                               ;   in Loop: Header=BB223_6 Depth=1
	v_add_u32_e32 v2, s14, v147
	v_mad_i64_i32 v[2:3], s[20:21], v2, 36, v[26:27]
	global_load_dword v2, v[2:3], off offset:4
	s_waitcnt vmcnt(0)
	ds_write_b32 v137, v2
.LBB223_15:                             ;   in Loop: Header=BB223_6 Depth=1
	s_or_b64 exec, exec, s[2:3]
	s_and_saveexec_b64 s[20:21], vcc
	s_cbranch_execz .LBB223_4
; %bb.16:                               ;   in Loop: Header=BB223_6 Depth=1
	v_add3_u32 v2, v22, s14, 4
	v_cmp_gt_i32_e64 s[2:3], s5, v2
	s_and_b64 s[2:3], s[0:1], s[2:3]
	s_and_b64 exec, exec, s[2:3]
	s_cbranch_execz .LBB223_4
; %bb.17:                               ;   in Loop: Header=BB223_6 Depth=1
	global_load_dword v2, v[28:29], off
	s_waitcnt vmcnt(0)
	ds_write_b32 v138, v2
	s_branch .LBB223_4
.LBB223_18:
	v_mov_b32_e32 v98, v99
	v_mov_b32_e32 v105, v99
	;; [unrolled: 1-line block ×3, first 2 shown]
.LBB223_19:
	s_mul_i32 s0, s7, s4
	s_waitcnt vmcnt(0)
	v_cmp_gt_i32_e32 vcc, s0, v1
	s_and_saveexec_b64 s[0:1], vcc
	s_cbranch_execz .LBB223_28
; %bb.20:
	v_and_b32_e32 v0, 0x3ff, v0
	v_add_u32_e32 v2, s22, v0
	v_mul_lo_u32 v0, v1, s6
	v_cmp_gt_u32_e32 vcc, s6, v2
	s_and_saveexec_b64 s[0:1], vcc
	s_cbranch_execz .LBB223_22
; %bb.21:
	v_bfe_u32 v1, v104, 16, 1
	s_movk_i32 s2, 0x7fff
	v_add3_u32 v1, v104, v1, s2
	v_lshrrev_b32_e32 v1, 16, v1
	v_mov_b32_e32 v3, 0x7fc0
	v_cmp_o_f32_e32 vcc, v104, v104
	v_add_u32_e32 v4, v0, v2
	v_mov_b32_e32 v5, 0
	v_cndmask_b32_e32 v1, v3, v1, vcc
	v_lshl_add_u64 v[4:5], v[4:5], 1, s[12:13]
	global_store_short v[4:5], v1, off
.LBB223_22:
	s_or_b64 exec, exec, s[0:1]
	v_add_u32_e32 v1, 32, v2
	v_cmp_gt_u32_e32 vcc, s6, v1
	s_and_saveexec_b64 s[0:1], vcc
	s_cbranch_execz .LBB223_24
; %bb.23:
	v_bfe_u32 v3, v105, 16, 1
	s_movk_i32 s2, 0x7fff
	v_add3_u32 v3, v105, v3, s2
	v_lshrrev_b32_e32 v3, 16, v3
	v_mov_b32_e32 v4, 0x7fc0
	v_cmp_o_f32_e32 vcc, v105, v105
	v_mov_b32_e32 v5, 0
	s_nop 0
	v_cndmask_b32_e32 v3, v4, v3, vcc
	v_add_u32_e32 v4, v0, v1
	v_lshl_add_u64 v[4:5], v[4:5], 1, s[12:13]
	global_store_short v[4:5], v3, off
.LBB223_24:
	s_or_b64 exec, exec, s[0:1]
	v_add_u32_e32 v1, 64, v2
	v_cmp_gt_u32_e32 vcc, s6, v1
	s_and_saveexec_b64 s[0:1], vcc
	s_cbranch_execz .LBB223_26
; %bb.25:
	v_bfe_u32 v3, v98, 16, 1
	s_movk_i32 s2, 0x7fff
	v_add3_u32 v3, v98, v3, s2
	v_lshrrev_b32_e32 v3, 16, v3
	v_mov_b32_e32 v4, 0x7fc0
	v_cmp_o_f32_e32 vcc, v98, v98
	v_mov_b32_e32 v5, 0
	s_nop 0
	v_cndmask_b32_e32 v3, v4, v3, vcc
	v_add_u32_e32 v4, v0, v1
	v_lshl_add_u64 v[4:5], v[4:5], 1, s[12:13]
	global_store_short v[4:5], v3, off
.LBB223_26:
	s_or_b64 exec, exec, s[0:1]
	v_add_u32_e32 v1, 0x60, v2
	v_cmp_gt_u32_e32 vcc, s6, v1
	s_and_b64 exec, exec, vcc
	s_cbranch_execz .LBB223_28
; %bb.27:
	v_bfe_u32 v2, v99, 16, 1
	s_movk_i32 s0, 0x7fff
	v_add3_u32 v2, v99, v2, s0
	v_lshrrev_b32_e32 v2, 16, v2
	v_mov_b32_e32 v3, 0x7fc0
	v_cmp_o_f32_e32 vcc, v99, v99
	v_add_u32_e32 v0, v0, v1
	v_mov_b32_e32 v1, 0
	v_cndmask_b32_e32 v2, v3, v2, vcc
	v_lshl_add_u64 v[0:1], v[0:1], 1, s[12:13]
	global_store_short v[0:1], v2, off
.LBB223_28:
	s_endpgm
	.section	.rodata,"a",@progbits
	.p2align	6, 0x0
	.amdhsa_kernel _ZL8moe_q5_1IN3c108BFloat16ELb0EEvPKvS3_PT_PKiS7_S7_iiiiiii
		.amdhsa_group_segment_fixed_size 38656
		.amdhsa_private_segment_fixed_size 0
		.amdhsa_kernarg_size 76
		.amdhsa_user_sgpr_count 2
		.amdhsa_user_sgpr_dispatch_ptr 0
		.amdhsa_user_sgpr_queue_ptr 0
		.amdhsa_user_sgpr_kernarg_segment_ptr 1
		.amdhsa_user_sgpr_dispatch_id 0
		.amdhsa_user_sgpr_kernarg_preload_length 0
		.amdhsa_user_sgpr_kernarg_preload_offset 0
		.amdhsa_user_sgpr_private_segment_size 0
		.amdhsa_uses_dynamic_stack 0
		.amdhsa_enable_private_segment 0
		.amdhsa_system_sgpr_workgroup_id_x 1
		.amdhsa_system_sgpr_workgroup_id_y 1
		.amdhsa_system_sgpr_workgroup_id_z 0
		.amdhsa_system_sgpr_workgroup_info 0
		.amdhsa_system_vgpr_workitem_id 1
		.amdhsa_next_free_vgpr 178
		.amdhsa_next_free_sgpr 25
		.amdhsa_accum_offset 180
		.amdhsa_reserve_vcc 1
		.amdhsa_float_round_mode_32 0
		.amdhsa_float_round_mode_16_64 0
		.amdhsa_float_denorm_mode_32 3
		.amdhsa_float_denorm_mode_16_64 3
		.amdhsa_dx10_clamp 1
		.amdhsa_ieee_mode 1
		.amdhsa_fp16_overflow 0
		.amdhsa_tg_split 0
		.amdhsa_exception_fp_ieee_invalid_op 0
		.amdhsa_exception_fp_denorm_src 0
		.amdhsa_exception_fp_ieee_div_zero 0
		.amdhsa_exception_fp_ieee_overflow 0
		.amdhsa_exception_fp_ieee_underflow 0
		.amdhsa_exception_fp_ieee_inexact 0
		.amdhsa_exception_int_div_zero 0
	.end_amdhsa_kernel
	.section	.text._ZL8moe_q5_1IN3c108BFloat16ELb0EEvPKvS3_PT_PKiS7_S7_iiiiiii,"axG",@progbits,_ZL8moe_q5_1IN3c108BFloat16ELb0EEvPKvS3_PT_PKiS7_S7_iiiiiii,comdat
.Lfunc_end223:
	.size	_ZL8moe_q5_1IN3c108BFloat16ELb0EEvPKvS3_PT_PKiS7_S7_iiiiiii, .Lfunc_end223-_ZL8moe_q5_1IN3c108BFloat16ELb0EEvPKvS3_PT_PKiS7_S7_iiiiiii
                                        ; -- End function
	.section	.AMDGPU.csdata,"",@progbits
; Kernel info:
; codeLenInByte = 10760
; NumSgprs: 31
; NumVgprs: 178
; NumAgprs: 0
; TotalNumVgprs: 178
; ScratchSize: 0
; MemoryBound: 0
; FloatMode: 240
; IeeeMode: 1
; LDSByteSize: 38656 bytes/workgroup (compile time only)
; SGPRBlocks: 3
; VGPRBlocks: 22
; NumSGPRsForWavesPerEU: 31
; NumVGPRsForWavesPerEU: 178
; AccumOffset: 180
; Occupancy: 1
; WaveLimiterHint : 1
; COMPUTE_PGM_RSRC2:SCRATCH_EN: 0
; COMPUTE_PGM_RSRC2:USER_SGPR: 2
; COMPUTE_PGM_RSRC2:TRAP_HANDLER: 0
; COMPUTE_PGM_RSRC2:TGID_X_EN: 1
; COMPUTE_PGM_RSRC2:TGID_Y_EN: 1
; COMPUTE_PGM_RSRC2:TGID_Z_EN: 0
; COMPUTE_PGM_RSRC2:TIDIG_COMP_CNT: 1
; COMPUTE_PGM_RSRC3_GFX90A:ACCUM_OFFSET: 44
; COMPUTE_PGM_RSRC3_GFX90A:TG_SPLIT: 0
	.section	.text._ZL8moe_q5_1IN3c108BFloat16ELb1EEvPKvS3_PT_PKiS7_S7_iiiiiii,"axG",@progbits,_ZL8moe_q5_1IN3c108BFloat16ELb1EEvPKvS3_PT_PKiS7_S7_iiiiiii,comdat
	.globl	_ZL8moe_q5_1IN3c108BFloat16ELb1EEvPKvS3_PT_PKiS7_S7_iiiiiii ; -- Begin function _ZL8moe_q5_1IN3c108BFloat16ELb1EEvPKvS3_PT_PKiS7_S7_iiiiiii
	.p2align	8
	.type	_ZL8moe_q5_1IN3c108BFloat16ELb1EEvPKvS3_PT_PKiS7_S7_iiiiiii,@function
_ZL8moe_q5_1IN3c108BFloat16ELb1EEvPKvS3_PT_PKiS7_S7_iiiiiii: ; @_ZL8moe_q5_1IN3c108BFloat16ELb1EEvPKvS3_PT_PKiS7_S7_iiiiiii
; %bb.0:
	s_load_dwordx4 s[4:7], s[0:1], 0x18
	s_mov_b32 s8, s3
	s_mov_b32 s9, 0
	s_lshl_b64 s[10:11], s[8:9], 2
	s_waitcnt lgkmcnt(0)
	s_add_u32 s6, s6, s10
	s_addc_u32 s7, s7, s11
	s_load_dword s3, s[6:7], 0x0
	s_waitcnt lgkmcnt(0)
	s_cmpk_gt_u32 s3, 0xff
	s_cbranch_scc1 .LBB224_28
; %bb.1:
	s_load_dwordx2 s[6:7], s[0:1], 0x28
	s_waitcnt lgkmcnt(0)
	s_load_dword s7, s[6:7], 0x0
	s_lshl_b32 s6, s8, 3
	s_waitcnt lgkmcnt(0)
	s_cmp_gt_u32 s6, s7
	s_cbranch_scc1 .LBB224_28
; %bb.2:
	v_bfe_u32 v2, v0, 10, 10
	v_mov_b32_e32 v4, s4
	v_mov_b32_e32 v5, s5
	v_add_u32_e32 v130, s6, v2
	v_mov_b32_e32 v131, 0
	v_lshl_add_u64 v[4:5], v[130:131], 2, v[4:5]
	global_load_dword v1, v[4:5], off
	s_load_dwordx8 s[4:11], s[0:1], 0x30
	s_load_dwordx2 s[16:17], s[0:1], 0x10
	s_waitcnt lgkmcnt(0)
	s_lshl_b32 s11, s2, 7
	s_cmp_lt_i32 s5, 32
	s_cbranch_scc1 .LBB224_18
; %bb.3:
	s_load_dwordx4 s[12:15], s[0:1], 0x0
	s_ashr_i32 s0, s5, 31
	s_lshr_b32 s0, s0, 27
	s_add_i32 s0, s5, s0
	s_ashr_i32 s24, s0, 5
	s_ashr_i32 s0, s8, 31
	s_lshr_b32 s0, s0, 27
	s_add_i32 s0, s8, s0
	s_ashr_i32 s8, s0, 5
	s_not_b32 s0, s11
	s_mul_i32 s18, s3, s4
	s_add_i32 s3, s0, s6
	v_and_b32_e32 v22, 0x3ff, v0
	v_min_i32_e32 v5, s3, v2
	v_lshlrev_b32_e32 v4, 3, v22
	s_movk_i32 s6, 0x104
	v_mul_lo_u32 v9, v5, s24
	v_mad_u64_u32 v[26:27], s[0:1], v5, s6, v[4:5]
	v_add_u32_e32 v5, 8, v2
	v_min_i32_e32 v5, s3, v5
	v_mul_lo_u32 v10, v5, s24
	v_mad_u64_u32 v[28:29], s[0:1], v5, s6, v[4:5]
	v_add_u32_e32 v5, 16, v2
	v_min_i32_e32 v5, s3, v5
	;; [unrolled: 4-line block ×15, first 2 shown]
	v_lshlrev_b32_e32 v6, 2, v2
	v_lshrrev_b32_e32 v27, 3, v22
	v_mad_u64_u32 v[56:57], s[0:1], v5, s6, v[4:5]
	v_add_u32_e32 v4, v27, v6
	v_mul_lo_u32 v55, v5, s24
	v_min_i32_e32 v5, s3, v4
	v_ashrrev_i32_e32 v7, 31, v5
	v_lshrrev_b32_e32 v7, 30, v7
	v_and_b32_e32 v57, 7, v22
	v_mul_lo_u32 v126, v5, s24
	v_add_u32_e32 v7, v5, v7
	v_lshlrev_b32_e32 v131, 5, v5
	v_add_u32_e32 v5, 32, v4
	v_and_b32_e32 v7, -4, v7
	v_lshlrev_b32_e32 v23, 2, v57
	s_mov_b32 s0, 0x8200
	v_min_i32_e32 v5, s3, v5
	v_add3_u32 v130, v7, v23, s0
	v_ashrrev_i32_e32 v7, 31, v5
	v_lshrrev_b32_e32 v7, 30, v7
	v_mul_lo_u32 v128, v5, s24
	v_add_u32_e32 v7, v5, v7
	v_lshlrev_b32_e32 v137, 5, v5
	v_add_u32_e32 v5, 64, v4
	v_and_b32_e32 v7, -4, v7
	v_min_i32_e32 v5, s3, v5
	v_add3_u32 v136, v7, v23, s0
	v_ashrrev_i32_e32 v7, 31, v5
	v_add_u32_e32 v4, 0x60, v4
	v_lshrrev_b32_e32 v7, 30, v7
	v_min_i32_e32 v4, s3, v4
	v_mul_lo_u32 v132, v5, s24
	v_add_u32_e32 v7, v5, v7
	v_lshlrev_b32_e32 v139, 5, v5
	v_ashrrev_i32_e32 v5, 31, v4
	v_lshrrev_b32_e32 v5, 30, v5
	v_add_u32_e32 v5, v4, v5
	v_lshlrev_b32_e32 v3, 2, v22
	v_mov_b32_e32 v25, 0
	v_and_b32_e32 v5, -4, v5
	v_and_b32_e32 v7, -4, v7
	v_mul_lo_u32 v134, v4, s24
	v_add3_u32 v140, v5, v23, s0
	v_lshlrev_b32_e32 v141, 5, v4
	v_and_b32_e32 v4, 28, v3
	v_mov_b32_e32 v5, v25
	v_and_b32_e32 v24, 12, v3
	v_add3_u32 v138, v7, v23, s0
	v_and_b32_e32 v7, 31, v22
	s_waitcnt lgkmcnt(0)
	v_lshl_add_u64 v[58:59], s[14:15], 0, v[4:5]
	v_lshlrev_b32_e32 v3, 7, v2
	v_mov_b32_e32 v5, 0x9680
	v_lshl_or_b32 v4, v7, 2, v3
	v_add_u32_e32 v33, 0x9280, v3
	v_lshl_add_u32 v35, v2, 4, v5
	v_and_b32_e32 v2, 0xfc, v22
	v_lshlrev_b32_e32 v3, 5, v22
	v_add_u32_e32 v29, 0x9280, v4
	v_or_b32_e32 v4, v6, v22
	v_add3_u32 v39, v3, v2, s0
	v_add_u32_e32 v2, 32, v22
	v_lshl_add_u32 v31, v4, 2, v5
	v_and_b32_e32 v3, 0x1fc, v2
	v_lshlrev_b32_e32 v4, 5, v2
	v_add3_u32 v41, v4, v3, s0
	v_add_u32_e32 v3, 64, v22
	v_and_b32_e32 v4, 0x1fc, v3
	v_lshlrev_b32_e32 v3, 5, v3
	s_abs_i32 s3, s10
	v_add3_u32 v43, v3, v4, s0
	v_cvt_f32_u32_e32 v4, s3
	v_add_u32_e32 v3, 0x60, v22
	v_and_b32_e32 v5, 0x1fc, v3
	v_lshlrev_b32_e32 v3, 5, v3
	v_add3_u32 v45, v3, v5, s0
	v_rcp_iflag_f32_e32 v3, v4
	s_sub_i32 s0, 0, s3
	s_waitcnt vmcnt(0)
	v_sub_u32_e32 v4, 0, v1
	v_max_i32_e32 v4, v1, v4
	v_mul_f32_e32 v3, 0x4f7ffffe, v3
	v_cvt_u32_f32_e32 v3, v3
	v_lshrrev_b32_e32 v47, 3, v2
	v_xor_b32_e32 v2, s10, v1
	v_ashrrev_i32_e32 v2, 31, v2
	v_mul_lo_u32 v5, s0, v3
	v_mul_hi_u32 v5, v3, v5
	v_add_u32_e32 v3, v3, v5
	v_mul_hi_u32 v3, v4, v3
	v_mul_lo_u32 v5, v3, s3
	v_sub_u32_e32 v4, v4, v5
	v_add_u32_e32 v5, 1, v3
	v_cmp_le_u32_e64 s[0:1], s3, v4
	v_mov_b32_e32 v23, v25
	s_mul_i32 s2, s24, s11
	v_cndmask_b32_e64 v3, v3, v5, s[0:1]
	v_subrev_u32_e32 v5, s3, v4
	v_cndmask_b32_e64 v4, v4, v5, s[0:1]
	v_add_u32_e32 v5, 1, v3
	v_cmp_le_u32_e64 s[0:1], s3, v4
	s_mul_hi_i32 s3, s2, 24
	s_mul_i32 s6, s2, 24
	v_cndmask_b32_e64 v3, v3, v5, s[0:1]
	v_xor_b32_e32 v3, v3, v2
	v_sub_u32_e32 v2, v3, v2
	v_cmp_gt_i32_e64 s[0:1], s7, v2
	v_mul_lo_u32 v2, v2, s8
	v_ashrrev_i32_e32 v3, 31, v2
	v_lshl_add_u64 v[4:5], v[2:3], 0, v[22:23]
	v_mad_u64_u32 v[6:7], s[20:21], v4, 36, s[14:15]
	v_lshrrev_b32_e32 v8, 2, v22
	v_mad_i32_i24 v7, v5, 36, v7
	s_mov_b64 s[20:21], 0x90
	v_add_u32_e32 v23, v22, v2
	v_add_u32_e32 v49, v47, v2
	;; [unrolled: 1-line block ×3, first 2 shown]
	v_mov_b32_e32 v2, s6
	v_mov_b32_e32 v3, s3
	v_lshl_add_u64 v[60:61], v[6:7], 0, s[20:21]
	v_mad_u64_u32 v[2:3], s[20:21], v8, 24, v[2:3]
	v_mad_i64_i32 v[4:5], s[20:21], v9, 24, v[2:3]
	v_lshl_add_u64 v[6:7], v[4:5], 0, v[24:25]
	v_lshl_add_u64 v[64:65], s[12:13], 0, v[4:5]
	v_mad_i64_i32 v[4:5], s[20:21], v10, 24, v[2:3]
	v_lshl_add_u64 v[6:7], v[6:7], 0, s[12:13]
	v_lshl_add_u64 v[4:5], v[4:5], 0, s[12:13]
	;; [unrolled: 1-line block ×5, first 2 shown]
	v_mad_i64_i32 v[4:5], s[20:21], v11, 24, v[2:3]
	v_lshl_add_u64 v[4:5], v[4:5], 0, s[12:13]
	v_lshl_add_u64 v[66:67], v[6:7], 0, 8
	v_lshl_add_u64 v[6:7], v[4:5], 0, v[24:25]
	v_lshl_add_u64 v[72:73], v[4:5], 0, 4
	v_mad_i64_i32 v[4:5], s[20:21], v12, 24, v[2:3]
	v_lshl_add_u64 v[4:5], v[4:5], 0, s[12:13]
	v_lshl_add_u64 v[70:71], v[6:7], 0, 8
	v_lshl_add_u64 v[6:7], v[4:5], 0, v[24:25]
	v_lshl_add_u64 v[76:77], v[4:5], 0, 4
	;; [unrolled: 5-line block ×12, first 2 shown]
	v_mad_i64_i32 v[4:5], s[20:21], v53, 24, v[2:3]
	v_mad_i64_i32 v[2:3], s[20:21], v55, 24, v[2:3]
	v_lshl_add_u64 v[4:5], v[4:5], 0, s[12:13]
	v_lshl_add_u64 v[2:3], v[2:3], 0, s[12:13]
	;; [unrolled: 1-line block ×7, first 2 shown]
	v_mad_i64_i32 v[2:3], s[20:21], v126, 24, 0
	v_mad_i64_i32 v[2:3], s[20:21], s2, 24, v[2:3]
	v_mad_u64_u32 v[2:3], s[20:21], v57, 24, v[2:3]
	v_lshl_add_u64 v[126:127], s[12:13], 0, v[2:3]
	v_mad_i64_i32 v[2:3], s[20:21], v128, 24, 0
	v_mad_i64_i32 v[2:3], s[20:21], s2, 24, v[2:3]
	v_mad_u64_u32 v[2:3], s[20:21], v57, 24, v[2:3]
	v_lshl_add_u64 v[128:129], s[12:13], 0, v[2:3]
	;; [unrolled: 4-line block ×3, first 2 shown]
	v_mad_i64_i32 v[2:3], s[20:21], v134, 24, 0
	v_mad_i64_i32 v[2:3], s[2:3], s2, 24, v[2:3]
	v_mad_u64_u32 v[2:3], s[2:3], v57, 24, v[2:3]
	s_ashr_i32 s19, s18, 31
	s_mov_b32 s4, 0
	v_cmp_gt_u32_e32 vcc, 4, v22
	v_mul_u32_u24_e32 v37, 0x104, v22
	v_lshl_add_u64 v[118:119], v[6:7], 0, 8
	v_lshl_add_u64 v[122:123], v[4:5], 0, 8
	;; [unrolled: 1-line block ×3, first 2 shown]
	s_movk_i32 s6, 0x80
	v_add_u32_e32 v53, v130, v131
	v_add_u32_e32 v55, v136, v137
	;; [unrolled: 1-line block ×4, first 2 shown]
	s_mov_b64 s[12:13], 0x120
	s_mov_b64 s[20:21], 0xc0
	v_mov_b32_e32 v136, v25
	v_mov_b32_e32 v137, v25
	;; [unrolled: 1-line block ×4, first 2 shown]
	s_branch .LBB224_6
.LBB224_4:                              ;   in Loop: Header=BB224_6 Depth=1
	s_or_b64 exec, exec, s[22:23]
	s_waitcnt lgkmcnt(0)
	s_barrier
	ds_read_b128 v[14:17], v33
	ds_read_b128 v[18:21], v33 offset:16
	ds_read_b128 v[2:5], v35
	ds_read2_b32 v[138:139], v37 offset0:32 offset1:33
	ds_read_b128 v[10:13], v33 offset:32
	ds_read_b128 v[6:9], v33 offset:48
	ds_read2_b32 v[140:141], v39 offset0:4 offset1:5
	ds_read2_b32 v[142:143], v37 offset0:34 offset1:35
	v_mov_b32_e32 v25, 0
	s_waitcnt lgkmcnt(4)
	v_dot4c_i32_i8_e32 v25, v138, v14
	v_dot4c_i32_i8_e32 v25, v139, v18
	ds_read2_b32 v[138:139], v37 offset0:36 offset1:37
	ds_read2_b32 v[146:147], v37 offset0:38 offset1:39
	;; [unrolled: 1-line block ×3, first 2 shown]
	s_waitcnt lgkmcnt(3)
	v_dot4c_i32_i8_e32 v25, v142, v15
	v_dot4c_i32_i8_e32 v25, v143, v19
	s_waitcnt lgkmcnt(2)
	v_dot4c_i32_i8_e32 v25, v138, v16
	v_dot4c_i32_i8_e32 v25, v139, v20
	;; [unrolled: 3-line block ×3, first 2 shown]
	v_add_u32_e32 v138, 0x2100, v37
	ds_read2_b32 v[146:147], v37 offset0:58 offset1:59
	ds_read2_b32 v[148:149], v37 offset0:60 offset1:61
	;; [unrolled: 1-line block ×3, first 2 shown]
	ds_read2_b32 v[142:143], v138 offset1:1
	v_mov_b32_e32 v168, 0
	v_pk_mul_f16 v153, v2, v140
	v_add_u32_e32 v140, 0x2108, v37
	ds_read2_b32 v[154:155], v41 offset0:4 offset1:5
	ds_read2_b32 v[138:139], v45 offset0:6 offset1:7
	s_waitcnt lgkmcnt(2)
	v_dot4c_i32_i8_e32 v168, v142, v14
	v_dot4c_i32_i8_e32 v168, v143, v18
	ds_read2_b32 v[142:143], v140 offset1:1
	v_add_u32_e32 v156, 0x2110, v37
	v_add_u32_e32 v158, 0x2118, v37
	;; [unrolled: 1-line block ×3, first 2 shown]
	ds_read2_b32 v[156:157], v156 offset1:1
	ds_read2_b32 v[158:159], v158 offset1:1
	;; [unrolled: 1-line block ×3, first 2 shown]
	s_waitcnt lgkmcnt(3)
	v_dot4c_i32_i8_e32 v168, v142, v15
	v_dot4c_i32_i8_e32 v168, v143, v19
	s_waitcnt lgkmcnt(2)
	v_dot4c_i32_i8_e32 v168, v156, v16
	v_dot4c_i32_i8_e32 v168, v157, v20
	v_mov_b32_e32 v169, 0
	s_waitcnt lgkmcnt(1)
	v_dot4c_i32_i8_e32 v168, v158, v17
	s_waitcnt lgkmcnt(0)
	v_dot4c_i32_i8_e32 v169, v160, v14
	v_add_u32_e32 v140, 0x4188, v37
	v_add_u32_e32 v162, 0x4190, v37
	;; [unrolled: 1-line block ×3, first 2 shown]
	v_dot4c_i32_i8_e32 v168, v159, v21
	ds_read2_b32 v[156:157], v43 offset0:4 offset1:5
	ds_read2_b32 v[142:143], v41 offset0:6 offset1:7
	ds_read2_b32 v[158:159], v39 offset0:6 offset1:7
	v_dot4c_i32_i8_e32 v169, v161, v18
	ds_read2_b32 v[160:161], v140 offset1:1
	v_add_u32_e32 v140, 0x6200, v37
	ds_read2_b32 v[162:163], v162 offset1:1
	ds_read2_b32 v[164:165], v164 offset1:1
	ds_read2_b32 v[166:167], v140 offset1:1
	v_mov_b32_e32 v170, 0
	v_add_u32_e32 v140, 0x6218, v37
	s_waitcnt lgkmcnt(3)
	v_dot4c_i32_i8_e32 v169, v160, v15
	v_dot4c_i32_i8_e32 v169, v161, v19
	s_waitcnt lgkmcnt(0)
	v_dot4c_i32_i8_e32 v170, v166, v14
	v_add_u32_e32 v14, 0x6208, v37
	ds_read2_b32 v[160:161], v14 offset1:1
	v_dot4c_i32_i8_e32 v169, v162, v16
	v_dot4c_i32_i8_e32 v169, v163, v20
	;; [unrolled: 1-line block ×4, first 2 shown]
	v_add_u32_e32 v18, 0x6210, v37
	v_dot4c_i32_i8_e32 v169, v165, v21
	v_add_u32_e32 v14, 0x2120, v37
	ds_read2_b32 v[162:163], v18 offset1:1
	ds_read2_b32 v[164:165], v140 offset1:1
	;; [unrolled: 1-line block ×3, first 2 shown]
	s_waitcnt lgkmcnt(3)
	v_dot4c_i32_i8_e32 v170, v160, v15
	v_dot4c_i32_i8_e32 v170, v161, v19
	s_waitcnt lgkmcnt(2)
	v_dot4c_i32_i8_e32 v170, v162, v16
	v_dot4c_i32_i8_e32 v170, v163, v20
	ds_read2_b32 v[18:19], v45 offset0:4 offset1:5
	ds_read2_b32 v[14:15], v43 offset0:6 offset1:7
	s_waitcnt lgkmcnt(3)
	v_dot4c_i32_i8_e32 v170, v164, v17
	ds_read2_b32 v[16:17], v37 offset0:42 offset1:43
	v_mov_b32_e32 v163, 0
	v_dot4c_i32_i8_e32 v163, v144, v10
	v_dot4c_i32_i8_e32 v170, v165, v21
	;; [unrolled: 1-line block ×3, first 2 shown]
	ds_read2_b32 v[20:21], v37 offset0:44 offset1:45
	ds_read2_b32 v[144:145], v37 offset0:46 offset1:47
	;; [unrolled: 1-line block ×3, first 2 shown]
	v_pk_mul_f16 v154, v2, v154
	v_pk_mul_f16 v156, v2, v156
	s_waitcnt lgkmcnt(5)
	v_pk_mul_f16 v162, v2, v18
	s_waitcnt lgkmcnt(3)
	v_dot4c_i32_i8_e32 v163, v16, v11
	v_add_u32_e32 v2, 0x2128, v37
	v_dot4c_i32_i8_e32 v163, v17, v7
	ds_read2_b32 v[16:17], v2 offset1:1
	s_waitcnt lgkmcnt(3)
	v_dot4c_i32_i8_e32 v163, v20, v12
	v_dot4c_i32_i8_e32 v163, v21, v8
	v_mov_b32_e32 v165, 0
	s_waitcnt lgkmcnt(2)
	v_dot4c_i32_i8_e32 v163, v144, v13
	v_dot4c_i32_i8_e32 v165, v166, v10
	v_add_u32_e32 v18, 0x2130, v37
	v_add_u32_e32 v140, 0x2138, v37
	v_dot4c_i32_i8_e32 v163, v145, v9
	v_pk_mul_f16 v164, v3, v141
	v_dot4c_i32_i8_e32 v165, v167, v6
	v_add_u32_e32 v2, 0x41a0, v37
	ds_read2_b32 v[20:21], v18 offset1:1
	ds_read2_b32 v[140:141], v140 offset1:1
	;; [unrolled: 1-line block ×3, first 2 shown]
	s_waitcnt lgkmcnt(3)
	v_dot4c_i32_i8_e32 v165, v16, v11
	v_dot4c_i32_i8_e32 v165, v17, v7
	v_add_u32_e32 v2, 0x41a8, v37
	s_waitcnt lgkmcnt(2)
	v_dot4c_i32_i8_e32 v165, v20, v12
	ds_read2_b32 v[16:17], v2 offset1:1
	v_dot4c_i32_i8_e32 v165, v21, v8
	v_mov_b32_e32 v166, 0
	s_waitcnt lgkmcnt(2)
	v_dot4c_i32_i8_e32 v165, v140, v13
	s_waitcnt lgkmcnt(1)
	v_dot4c_i32_i8_e32 v166, v144, v10
	v_add_u32_e32 v18, 0x41b0, v37
	v_add_u32_e32 v140, 0x41b8, v37
	v_dot4c_i32_i8_e32 v165, v141, v9
	v_dot4c_i32_i8_e32 v166, v145, v6
	v_add_u32_e32 v2, 0x6220, v37
	ds_read2_b32 v[20:21], v18 offset1:1
	ds_read2_b32 v[140:141], v140 offset1:1
	;; [unrolled: 1-line block ×3, first 2 shown]
	s_waitcnt lgkmcnt(3)
	v_dot4c_i32_i8_e32 v166, v16, v11
	v_add_u32_e32 v2, 0x6228, v37
	v_dot4c_i32_i8_e32 v166, v17, v7
	ds_read2_b32 v[16:17], v2 offset1:1
	s_waitcnt lgkmcnt(3)
	v_dot4c_i32_i8_e32 v166, v20, v12
	v_mov_b32_e32 v167, 0
	v_dot4c_i32_i8_e32 v166, v21, v8
	s_waitcnt lgkmcnt(1)
	v_dot4c_i32_i8_e32 v167, v144, v10
	v_dot4c_i32_i8_e32 v166, v140, v13
	;; [unrolled: 1-line block ×3, first 2 shown]
	v_add_u32_e32 v6, 0x6230, v37
	v_dot4c_i32_i8_e32 v166, v141, v9
	v_add_u32_e32 v10, 0x6238, v37
	v_add_u32_e32 v2, 0x2140, v37
	ds_read2_b32 v[20:21], v6 offset1:1
	ds_read2_b32 v[140:141], v10 offset1:1
	;; [unrolled: 1-line block ×3, first 2 shown]
	s_waitcnt lgkmcnt(3)
	v_dot4c_i32_i8_e32 v167, v16, v11
	v_dot4c_i32_i8_e32 v167, v17, v7
	s_waitcnt lgkmcnt(2)
	v_dot4c_i32_i8_e32 v167, v20, v12
	v_dot4c_i32_i8_e32 v167, v21, v8
	s_waitcnt lgkmcnt(1)
	v_dot4c_i32_i8_e32 v167, v140, v13
	ds_read_b128 v[10:13], v33 offset:64
	v_dot4c_i32_i8_e32 v167, v141, v9
	ds_read_b128 v[6:9], v33 offset:80
	v_pk_mul_f16 v155, v3, v155
	v_pk_mul_f16 v157, v3, v157
	;; [unrolled: 1-line block ×3, first 2 shown]
	ds_read2_b32 v[2:3], v37 offset0:50 offset1:51
	v_mov_b32_e32 v172, 0
	s_waitcnt lgkmcnt(2)
	v_dot4c_i32_i8_e32 v172, v160, v10
	s_waitcnt lgkmcnt(1)
	v_dot4c_i32_i8_e32 v172, v161, v6
	ds_read2_b32 v[16:17], v37 offset0:52 offset1:53
	ds_read2_b32 v[18:19], v37 offset0:54 offset1:55
	;; [unrolled: 1-line block ×3, first 2 shown]
	s_waitcnt lgkmcnt(3)
	v_dot4c_i32_i8_e32 v172, v2, v11
	v_add_u32_e32 v2, 0x2148, v37
	v_dot4c_i32_i8_e32 v172, v3, v7
	ds_read2_b32 v[2:3], v2 offset1:1
	s_waitcnt lgkmcnt(3)
	v_dot4c_i32_i8_e32 v172, v16, v12
	v_dot4c_i32_i8_e32 v172, v17, v8
	v_mov_b32_e32 v160, 0
	s_waitcnt lgkmcnt(2)
	v_dot4c_i32_i8_e32 v172, v18, v13
	v_dot4c_i32_i8_e32 v160, v144, v10
	v_add_u32_e32 v16, 0x2150, v37
	v_add_u32_e32 v18, 0x2158, v37
	;; [unrolled: 1-line block ×3, first 2 shown]
	v_dot4c_i32_i8_e32 v172, v19, v9
	v_dot4c_i32_i8_e32 v160, v145, v6
	ds_read2_b32 v[16:17], v16 offset1:1
	ds_read2_b32 v[18:19], v18 offset1:1
	;; [unrolled: 1-line block ×3, first 2 shown]
	s_waitcnt lgkmcnt(3)
	v_dot4c_i32_i8_e32 v160, v2, v11
	v_dot4c_i32_i8_e32 v160, v3, v7
	v_add_u32_e32 v2, 0x41c8, v37
	s_waitcnt lgkmcnt(2)
	v_dot4c_i32_i8_e32 v160, v16, v12
	ds_read2_b32 v[2:3], v2 offset1:1
	v_dot4c_i32_i8_e32 v160, v17, v8
	v_mov_b32_e32 v161, 0
	s_waitcnt lgkmcnt(2)
	v_dot4c_i32_i8_e32 v160, v18, v13
	s_waitcnt lgkmcnt(1)
	v_dot4c_i32_i8_e32 v161, v140, v10
	v_add_u32_e32 v16, 0x41d0, v37
	v_add_u32_e32 v18, 0x41d8, v37
	;; [unrolled: 1-line block ×3, first 2 shown]
	v_dot4c_i32_i8_e32 v160, v19, v9
	v_dot4c_i32_i8_e32 v161, v141, v6
	ds_read2_b32 v[16:17], v16 offset1:1
	ds_read2_b32 v[18:19], v18 offset1:1
	;; [unrolled: 1-line block ×3, first 2 shown]
	s_waitcnt lgkmcnt(3)
	v_dot4c_i32_i8_e32 v161, v2, v11
	v_add_u32_e32 v2, 0x6248, v37
	v_dot4c_i32_i8_e32 v161, v3, v7
	ds_read2_b32 v[2:3], v2 offset1:1
	v_mov_b32_e32 v174, 0
	s_waitcnt lgkmcnt(1)
	v_dot4c_i32_i8_e32 v174, v140, v10
	v_dot4c_i32_i8_e32 v161, v16, v12
	;; [unrolled: 1-line block ×3, first 2 shown]
	v_add_u32_e32 v6, 0x6250, v37
	v_dot4c_i32_i8_e32 v161, v17, v8
	v_pk_mul_f16 v173, v4, v14
	v_add_u32_e32 v10, 0x6258, v37
	v_add_u32_e32 v14, 0x2160, v37
	ds_read2_b32 v[16:17], v6 offset1:1
	ds_read2_b32 v[140:141], v10 offset1:1
	;; [unrolled: 1-line block ×3, first 2 shown]
	s_waitcnt lgkmcnt(3)
	v_dot4c_i32_i8_e32 v174, v2, v11
	v_dot4c_i32_i8_e32 v174, v3, v7
	s_waitcnt lgkmcnt(2)
	v_dot4c_i32_i8_e32 v174, v16, v12
	v_dot4c_i32_i8_e32 v161, v18, v13
	;; [unrolled: 1-line block ×4, first 2 shown]
	s_waitcnt lgkmcnt(1)
	v_dot4c_i32_i8_e32 v174, v140, v13
	ds_read_b128 v[10:13], v33 offset:96
	ds_read_b128 v[16:19], v33 offset:112
	v_pk_mul_f16 v158, v4, v158
	v_pk_mul_f16 v142, v4, v142
	;; [unrolled: 1-line block ×3, first 2 shown]
	v_mov_b32_e32 v4, 0
	s_waitcnt lgkmcnt(1)
	v_dot4c_i32_i8_e32 v4, v20, v10
	s_waitcnt lgkmcnt(0)
	v_dot4c_i32_i8_e32 v4, v21, v16
	v_add_u32_e32 v2, 0x2168, v37
	v_dot4c_i32_i8_e32 v4, v146, v11
	ds_read2_b32 v[2:3], v2 offset1:1
	v_dot4c_i32_i8_e32 v4, v147, v17
	v_dot4c_i32_i8_e32 v4, v148, v12
	v_mov_b32_e32 v148, 0
	v_dot4c_i32_i8_e32 v148, v144, v10
	v_add_u32_e32 v6, 0x2170, v37
	v_add_u32_e32 v8, 0x2178, v37
	;; [unrolled: 1-line block ×3, first 2 shown]
	v_dot4c_i32_i8_e32 v174, v141, v9
	v_dot4c_i32_i8_e32 v148, v145, v16
	ds_read2_b32 v[6:7], v6 offset1:1
	ds_read2_b32 v[8:9], v8 offset1:1
	;; [unrolled: 1-line block ×3, first 2 shown]
	s_waitcnt lgkmcnt(3)
	v_dot4c_i32_i8_e32 v148, v2, v11
	v_dot4c_i32_i8_e32 v148, v3, v17
	s_waitcnt lgkmcnt(2)
	v_dot4c_i32_i8_e32 v148, v6, v12
	v_dot4c_i32_i8_e32 v148, v7, v18
	;; [unrolled: 3-line block ×3, first 2 shown]
	v_cvt_f32_f16_e32 v3, v154
	v_cvt_f32_f16_e32 v2, v153
	v_cvt_f32_f16_sdwa v7, v154 dst_sel:DWORD dst_unused:UNUSED_PAD src0_sel:WORD_1
	v_cvt_f32_f16_sdwa v6, v153 dst_sel:DWORD dst_unused:UNUSED_PAD src0_sel:WORD_1
	v_cvt_f32_i32_e32 v9, v168
	v_cvt_f32_i32_e32 v8, v25
	v_cvt_f32_f16_e32 v141, v155
	v_cvt_f32_f16_e32 v140, v164
	v_cvt_f32_f16_sdwa v145, v155 dst_sel:DWORD dst_unused:UNUSED_PAD src0_sel:WORD_1
	v_cvt_f32_f16_sdwa v144, v164 dst_sel:DWORD dst_unused:UNUSED_PAD src0_sel:WORD_1
	v_cvt_f32_i32_e32 v147, v165
	v_cvt_f32_i32_e32 v146, v163
	v_dot4c_i32_i8_e32 v4, v149, v18
	v_dot4c_i32_i8_e32 v4, v150, v13
	v_pk_fma_f32 v[2:3], v[2:3], v[8:9], v[6:7]
	v_dot4c_i32_i8_e32 v4, v151, v19
	v_pk_mul_f16 v14, v5, v159
	v_pk_mul_f16 v25, v5, v143
	v_pk_add_f32 v[2:3], v[136:137], v[2:3]
	v_pk_fma_f32 v[6:7], v[140:141], v[146:147], v[144:145]
	v_cvt_f32_f16_e32 v9, v142
	v_cvt_f32_f16_e32 v8, v158
	v_cvt_f32_f16_sdwa v137, v142 dst_sel:DWORD dst_unused:UNUSED_PAD src0_sel:WORD_1
	v_cvt_f32_f16_sdwa v136, v158 dst_sel:DWORD dst_unused:UNUSED_PAD src0_sel:WORD_1
	v_cvt_f32_i32_e32 v141, v160
	v_cvt_f32_i32_e32 v140, v172
	v_cvt_f32_f16_e32 v143, v25
	v_cvt_f32_f16_e32 v142, v14
	v_cvt_f32_f16_sdwa v145, v25 dst_sel:DWORD dst_unused:UNUSED_PAD src0_sel:WORD_1
	v_cvt_f32_f16_sdwa v144, v14 dst_sel:DWORD dst_unused:UNUSED_PAD src0_sel:WORD_1
	v_cvt_f32_i32_e32 v147, v148
	v_cvt_f32_i32_e32 v146, v4
	v_pk_add_f32 v[2:3], v[2:3], v[6:7]
	v_pk_fma_f32 v[6:7], v[8:9], v[140:141], v[136:137]
	v_mov_b32_e32 v25, 0
	v_pk_add_f32 v[2:3], v[2:3], v[6:7]
	v_pk_fma_f32 v[6:7], v[142:143], v[146:147], v[144:145]
	s_waitcnt lgkmcnt(0)
	v_dot4c_i32_i8_e32 v25, v20, v10
	v_pk_add_f32 v[136:137], v[2:3], v[6:7]
	v_add_u32_e32 v2, 0x41e8, v37
	ds_read2_b32 v[2:3], v2 offset1:1
	v_add_u32_e32 v4, 0x41f0, v37
	v_add_u32_e32 v8, 0x41f8, v37
	v_dot4c_i32_i8_e32 v25, v21, v16
	v_add_u32_e32 v14, 0x6260, v37
	ds_read2_b32 v[6:7], v4 offset1:1
	ds_read2_b32 v[8:9], v8 offset1:1
	;; [unrolled: 1-line block ×3, first 2 shown]
	s_waitcnt lgkmcnt(3)
	v_dot4c_i32_i8_e32 v25, v2, v11
	v_add_u32_e32 v2, 0x6268, v37
	v_dot4c_i32_i8_e32 v25, v3, v17
	ds_read2_b32 v[2:3], v2 offset1:1
	s_waitcnt lgkmcnt(3)
	v_dot4c_i32_i8_e32 v25, v6, v12
	v_add_u32_e32 v4, 0x6270, v37
	v_dot4c_i32_i8_e32 v25, v7, v18
	ds_read2_b32 v[6:7], v4 offset1:1
	v_mov_b32_e32 v141, 0
	s_waitcnt lgkmcnt(3)
	v_dot4c_i32_i8_e32 v25, v8, v13
	s_waitcnt lgkmcnt(2)
	v_dot4c_i32_i8_e32 v141, v20, v10
	v_add_u32_e32 v4, 0x6278, v37
	v_dot4c_i32_i8_e32 v25, v9, v19
	v_dot4c_i32_i8_e32 v141, v21, v16
	ds_read2_b32 v[8:9], v4 offset1:1
	s_waitcnt lgkmcnt(2)
	v_dot4c_i32_i8_e32 v141, v2, v11
	v_dot4c_i32_i8_e32 v141, v3, v17
	s_waitcnt lgkmcnt(1)
	v_dot4c_i32_i8_e32 v141, v6, v12
	v_dot4c_i32_i8_e32 v141, v7, v18
	s_waitcnt lgkmcnt(0)
	v_dot4c_i32_i8_e32 v141, v8, v13
	v_pk_mul_f16 v140, v5, v15
	v_dot4c_i32_i8_e32 v141, v9, v19
	v_cvt_f32_f16_e32 v3, v162
	v_cvt_f32_f16_e32 v2, v156
	v_cvt_f32_f16_sdwa v7, v162 dst_sel:DWORD dst_unused:UNUSED_PAD src0_sel:WORD_1
	v_cvt_f32_f16_sdwa v6, v156 dst_sel:DWORD dst_unused:UNUSED_PAD src0_sel:WORD_1
	v_cvt_f32_i32_e32 v9, v170
	v_cvt_f32_i32_e32 v8, v169
	v_cvt_f32_f16_e32 v11, v171
	v_cvt_f32_f16_e32 v10, v157
	v_cvt_f32_f16_sdwa v13, v171 dst_sel:DWORD dst_unused:UNUSED_PAD src0_sel:WORD_1
	v_cvt_f32_f16_sdwa v12, v157 dst_sel:DWORD dst_unused:UNUSED_PAD src0_sel:WORD_1
	v_cvt_f32_i32_e32 v15, v167
	v_cvt_f32_i32_e32 v14, v166
	v_pk_mul_f16 v16, v5, v139
	v_pk_fma_f32 v[2:3], v[2:3], v[8:9], v[6:7]
	v_cvt_f32_f16_e32 v7, v138
	v_pk_fma_f32 v[4:5], v[10:11], v[14:15], v[12:13]
	v_cvt_f32_f16_e32 v6, v173
	v_cvt_f32_f16_sdwa v9, v138 dst_sel:DWORD dst_unused:UNUSED_PAD src0_sel:WORD_1
	v_cvt_f32_f16_sdwa v8, v173 dst_sel:DWORD dst_unused:UNUSED_PAD src0_sel:WORD_1
	v_cvt_f32_i32_e32 v11, v174
	v_cvt_f32_i32_e32 v10, v161
	v_cvt_f32_f16_e32 v13, v16
	v_cvt_f32_f16_e32 v12, v140
	v_cvt_f32_f16_sdwa v15, v16 dst_sel:DWORD dst_unused:UNUSED_PAD src0_sel:WORD_1
	v_cvt_f32_f16_sdwa v14, v140 dst_sel:DWORD dst_unused:UNUSED_PAD src0_sel:WORD_1
	v_cvt_f32_i32_e32 v17, v141
	v_cvt_f32_i32_e32 v16, v25
	v_pk_add_f32 v[2:3], v[130:131], v[2:3]
	s_nop 0
	v_pk_add_f32 v[2:3], v[2:3], v[4:5]
	v_pk_fma_f32 v[4:5], v[6:7], v[10:11], v[8:9]
	s_barrier
	v_pk_add_f32 v[2:3], v[2:3], v[4:5]
	v_pk_fma_f32 v[4:5], v[12:13], v[16:17], v[14:15]
	s_nop 0
	v_pk_add_f32 v[130:131], v[2:3], v[4:5]
.LBB224_5:                              ;   in Loop: Header=BB224_6 Depth=1
	s_add_i32 s4, s4, 8
	s_addk_i32 s6, 0x100
	v_lshl_add_u64 v[60:61], v[60:61], 0, s[12:13]
	v_lshl_add_u64 v[62:63], v[62:63], 0, s[20:21]
	;; [unrolled: 1-line block ×36, first 2 shown]
	s_cmp_ge_i32 s4, s24
	v_lshl_add_u64 v[134:135], v[134:135], 0, s[20:21]
	s_cbranch_scc1 .LBB224_19
.LBB224_6:                              ; =>This Inner Loop Header: Depth=1
	v_lshl_add_u64 v[2:3], v[62:63], 0, s[18:19]
	global_load_dword v14, v[2:3], off
	v_lshl_add_u64 v[2:3], v[64:65], 0, s[18:19]
	global_load_dword v15, v[2:3], off offset:4
	v_lshl_add_u64 v[2:3], v[66:67], 0, s[18:19]
	global_load_dword v16, v[2:3], off
	v_lshl_add_u64 v[2:3], v[68:69], 0, s[18:19]
	global_load_dword v17, v[2:3], off
	v_lshl_add_u64 v[4:5], v[72:73], 0, s[18:19]
	v_lshl_add_u64 v[2:3], v[70:71], 0, s[18:19]
	global_load_dword v18, v[4:5], off
	global_load_dword v19, v[2:3], off
	v_lshl_add_u64 v[2:3], v[74:75], 0, s[18:19]
	v_lshl_add_u64 v[4:5], v[76:77], 0, s[18:19]
	;; [unrolled: 1-line block ×6, first 2 shown]
	global_load_dword v20, v[2:3], off
	s_nop 0
	global_load_dword v2, v[4:5], off
	s_nop 0
	global_load_dword v4, v[6:7], off
	global_load_dword v5, v[8:9], off
	s_nop 0
	global_load_dword v6, v[10:11], off
	global_load_dword v7, v[12:13], off
	s_add_i32 s2, s6, 0xffffff80
	s_cmp_lt_i32 s2, s5
	s_waitcnt vmcnt(11)
	v_lshrrev_b32_e32 v8, 4, v14
	v_and_b32_e32 v9, 0xf0f0f0f, v14
	s_waitcnt vmcnt(10)
	v_ashrrev_i32_e32 v3, v24, v15
	v_and_b32_e32 v8, 0xf0f0f0f, v8
	s_waitcnt vmcnt(9)
	v_lshrrev_b32_e32 v11, 4, v16
	v_and_b32_e32 v12, 0xf0f0f0f, v16
	s_waitcnt vmcnt(8)
	v_ashrrev_i32_e32 v10, v24, v17
	v_lshlrev_b32_e32 v16, 4, v3
	s_waitcnt vmcnt(7)
	v_ashrrev_i32_e32 v13, v24, v18
	s_waitcnt vmcnt(6)
	v_lshrrev_b32_e32 v14, 4, v19
	v_and_b32_e32 v15, 0xf0f0f0f, v19
	v_lshlrev_b32_e32 v17, 11, v3
	v_lshrrev_b32_e32 v18, 12, v3
	v_lshrrev_b32_e32 v19, 5, v3
	v_lshlrev_b32_e32 v139, 4, v10
	v_lshlrev_b32_e32 v140, 11, v10
	v_lshrrev_b32_e32 v141, 12, v10
	v_lshrrev_b32_e32 v142, 5, v10
	v_lshlrev_b32_e32 v21, 2, v3
	v_lshlrev_b32_e32 v25, 18, v3
	;; [unrolled: 1-line block ×4, first 2 shown]
	v_and_b32_e32 v11, 0xf0f0f0f, v11
	v_lshlrev_b32_e32 v143, 2, v10
	v_lshlrev_b32_e32 v144, 18, v10
	;; [unrolled: 1-line block ×4, first 2 shown]
	v_and_b32_e32 v18, 16, v18
	v_and_b32_e32 v16, 16, v16
	;; [unrolled: 1-line block ×16, first 2 shown]
	v_or3_b32 v9, v16, v9, v17
	v_or3_b32 v8, v18, v8, v19
	;; [unrolled: 1-line block ×4, first 2 shown]
	v_lshlrev_b32_e32 v146, 4, v13
	v_lshlrev_b32_e32 v147, 11, v13
	v_lshrrev_b32_e32 v148, 12, v13
	v_lshrrev_b32_e32 v149, 5, v13
	v_or3_b32 v8, v8, v21, v138
	v_or3_b32 v3, v9, v25, v3
	;; [unrolled: 1-line block ×4, first 2 shown]
	v_and_b32_e32 v14, 0xf0f0f0f, v14
	v_and_b32_e32 v148, 16, v148
	v_and_b32_e32 v146, 16, v146
	v_and_b32_e32 v149, 0x1000, v149
	v_and_b32_e32 v147, 0x1000, v147
	ds_write2_b32 v26, v3, v8 offset1:1
	ds_write2_b32 v28, v10, v9 offset1:1
	v_lshlrev_b32_e32 v8, 2, v13
	v_lshlrev_b32_e32 v9, 18, v13
	;; [unrolled: 1-line block ×4, first 2 shown]
	v_or3_b32 v15, v146, v15, v147
	v_or3_b32 v3, v148, v14, v149
	v_and_b32_e32 v9, 0x100000, v9
	v_and_b32_e32 v8, 0x100000, v8
	;; [unrolled: 1-line block ×4, first 2 shown]
	v_or3_b32 v3, v3, v8, v10
	v_or3_b32 v8, v15, v9, v11
	ds_write2_b32 v30, v8, v3 offset1:1
	s_waitcnt vmcnt(4)
	v_ashrrev_i32_e32 v8, v24, v2
	v_lshl_add_u64 v[2:3], v[88:89], 0, s[18:19]
	v_lshlrev_b32_e32 v9, 4, v8
	v_lshlrev_b32_e32 v10, 11, v8
	v_lshrrev_b32_e32 v11, 4, v20
	v_lshrrev_b32_e32 v12, 12, v8
	;; [unrolled: 1-line block ×3, first 2 shown]
	global_load_dword v14, v[2:3], off
	v_lshl_add_u64 v[2:3], v[86:87], 0, s[18:19]
	v_and_b32_e32 v11, 0xf0f0f0f, v11
	global_load_dword v15, v[2:3], off
	v_and_b32_e32 v2, 0xf0f0f0f, v20
	v_and_b32_e32 v3, 16, v12
	;; [unrolled: 1-line block ×5, first 2 shown]
	v_or3_b32 v2, v9, v2, v10
	v_or3_b32 v3, v3, v11, v12
	v_lshlrev_b32_e32 v9, 2, v8
	v_lshlrev_b32_e32 v10, 18, v8
	;; [unrolled: 1-line block ×4, first 2 shown]
	v_and_b32_e32 v10, 0x100000, v10
	v_and_b32_e32 v9, 0x100000, v9
	v_and_b32_e32 v8, 0x10000000, v8
	v_and_b32_e32 v11, 0x10000000, v11
	v_or3_b32 v3, v3, v9, v11
	v_or3_b32 v2, v2, v10, v8
	ds_write2_b32 v32, v2, v3 offset1:1
	v_lshl_add_u64 v[2:3], v[92:93], 0, s[18:19]
	s_waitcnt vmcnt(4)
	v_ashrrev_i32_e32 v5, v24, v5
	global_load_dword v13, v[2:3], off
	v_lshl_add_u64 v[2:3], v[90:91], 0, s[18:19]
	v_lshlrev_b32_e32 v8, 4, v5
	v_lshlrev_b32_e32 v9, 11, v5
	v_lshrrev_b32_e32 v10, 4, v4
	v_lshrrev_b32_e32 v11, 12, v5
	;; [unrolled: 1-line block ×3, first 2 shown]
	global_load_dword v16, v[2:3], off
	v_and_b32_e32 v10, 0xf0f0f0f, v10
	v_and_b32_e32 v2, 0xf0f0f0f, v4
	;; [unrolled: 1-line block ×6, first 2 shown]
	v_or3_b32 v2, v4, v2, v9
	v_or3_b32 v3, v3, v10, v8
	v_lshlrev_b32_e32 v4, 2, v5
	v_lshlrev_b32_e32 v8, 18, v5
	;; [unrolled: 1-line block ×4, first 2 shown]
	v_and_b32_e32 v8, 0x100000, v8
	v_and_b32_e32 v4, 0x100000, v4
	;; [unrolled: 1-line block ×4, first 2 shown]
	v_or3_b32 v3, v3, v4, v9
	v_or3_b32 v2, v2, v8, v5
	ds_write2_b32 v34, v2, v3 offset1:1
	v_lshl_add_u64 v[2:3], v[96:97], 0, s[18:19]
	s_waitcnt vmcnt(4)
	v_ashrrev_i32_e32 v4, v24, v7
	global_load_dword v11, v[2:3], off
	v_lshl_add_u64 v[2:3], v[94:95], 0, s[18:19]
	v_lshlrev_b32_e32 v5, 4, v4
	v_lshlrev_b32_e32 v7, 11, v4
	v_lshrrev_b32_e32 v8, 4, v6
	v_lshrrev_b32_e32 v9, 12, v4
	;; [unrolled: 1-line block ×3, first 2 shown]
	global_load_dword v12, v[2:3], off
	v_and_b32_e32 v8, 0xf0f0f0f, v8
	v_and_b32_e32 v2, 0xf0f0f0f, v6
	;; [unrolled: 1-line block ×6, first 2 shown]
	v_or3_b32 v2, v5, v2, v7
	v_or3_b32 v3, v3, v8, v6
	v_lshlrev_b32_e32 v5, 2, v4
	v_lshlrev_b32_e32 v6, 18, v4
	;; [unrolled: 1-line block ×4, first 2 shown]
	v_and_b32_e32 v6, 0x100000, v6
	v_and_b32_e32 v5, 0x100000, v5
	;; [unrolled: 1-line block ×4, first 2 shown]
	v_or3_b32 v3, v3, v5, v7
	v_or3_b32 v2, v2, v6, v4
	ds_write2_b32 v36, v2, v3 offset1:1
	v_lshl_add_u64 v[2:3], v[100:101], 0, s[18:19]
	global_load_dword v10, v[2:3], off
	s_waitcnt vmcnt(6)
	v_ashrrev_i32_e32 v4, v24, v14
	v_lshlrev_b32_e32 v5, 4, v4
	v_lshlrev_b32_e32 v6, 11, v4
	s_waitcnt vmcnt(5)
	v_lshrrev_b32_e32 v7, 4, v15
	v_lshrrev_b32_e32 v8, 12, v4
	;; [unrolled: 1-line block ×3, first 2 shown]
	v_lshl_add_u64 v[2:3], v[98:99], 0, s[18:19]
	v_and_b32_e32 v7, 0xf0f0f0f, v7
	global_load_dword v14, v[2:3], off
	v_and_b32_e32 v2, 0xf0f0f0f, v15
	v_and_b32_e32 v3, 16, v8
	;; [unrolled: 1-line block ×5, first 2 shown]
	v_or3_b32 v2, v5, v2, v6
	v_or3_b32 v3, v3, v7, v8
	v_lshlrev_b32_e32 v5, 2, v4
	v_lshlrev_b32_e32 v6, 18, v4
	;; [unrolled: 1-line block ×4, first 2 shown]
	v_and_b32_e32 v6, 0x100000, v6
	v_and_b32_e32 v5, 0x100000, v5
	;; [unrolled: 1-line block ×4, first 2 shown]
	v_or3_b32 v3, v3, v5, v7
	v_or3_b32 v2, v2, v6, v4
	ds_write2_b32 v38, v2, v3 offset1:1
	s_waitcnt vmcnt(5)
	v_ashrrev_i32_e32 v4, v24, v13
	v_lshl_add_u64 v[2:3], v[104:105], 0, s[18:19]
	v_lshlrev_b32_e32 v5, 4, v4
	v_lshlrev_b32_e32 v6, 11, v4
	s_waitcnt vmcnt(4)
	v_lshrrev_b32_e32 v7, 4, v16
	v_lshrrev_b32_e32 v8, 12, v4
	;; [unrolled: 1-line block ×3, first 2 shown]
	global_load_dword v13, v[2:3], off
	v_lshl_add_u64 v[2:3], v[102:103], 0, s[18:19]
	v_and_b32_e32 v7, 0xf0f0f0f, v7
	global_load_dword v15, v[2:3], off
	v_and_b32_e32 v2, 0xf0f0f0f, v16
	v_and_b32_e32 v3, 16, v8
	;; [unrolled: 1-line block ×5, first 2 shown]
	v_or3_b32 v2, v5, v2, v6
	v_or3_b32 v3, v3, v7, v8
	v_lshlrev_b32_e32 v5, 2, v4
	v_lshlrev_b32_e32 v6, 18, v4
	;; [unrolled: 1-line block ×4, first 2 shown]
	v_and_b32_e32 v6, 0x100000, v6
	v_and_b32_e32 v5, 0x100000, v5
	;; [unrolled: 1-line block ×4, first 2 shown]
	v_or3_b32 v3, v3, v5, v7
	v_or3_b32 v2, v2, v6, v4
	ds_write2_b32 v40, v2, v3 offset1:1
	v_lshl_add_u64 v[2:3], v[108:109], 0, s[18:19]
	s_waitcnt vmcnt(5)
	v_ashrrev_i32_e32 v4, v24, v11
	global_load_dword v11, v[2:3], off
	v_lshl_add_u64 v[2:3], v[106:107], 0, s[18:19]
	v_lshlrev_b32_e32 v5, 4, v4
	v_lshlrev_b32_e32 v6, 11, v4
	s_waitcnt vmcnt(5)
	v_lshrrev_b32_e32 v7, 4, v12
	v_lshrrev_b32_e32 v8, 12, v4
	;; [unrolled: 1-line block ×3, first 2 shown]
	global_load_dword v16, v[2:3], off
	v_and_b32_e32 v7, 0xf0f0f0f, v7
	v_and_b32_e32 v2, 0xf0f0f0f, v12
	;; [unrolled: 1-line block ×6, first 2 shown]
	v_or3_b32 v2, v5, v2, v6
	v_or3_b32 v3, v3, v7, v8
	v_lshlrev_b32_e32 v5, 2, v4
	v_lshlrev_b32_e32 v6, 18, v4
	;; [unrolled: 1-line block ×4, first 2 shown]
	v_and_b32_e32 v6, 0x100000, v6
	v_and_b32_e32 v5, 0x100000, v5
	v_and_b32_e32 v4, 0x10000000, v4
	v_and_b32_e32 v7, 0x10000000, v7
	v_or3_b32 v3, v3, v5, v7
	v_or3_b32 v2, v2, v6, v4
	ds_write2_b32 v42, v2, v3 offset1:1
	v_lshl_add_u64 v[2:3], v[112:113], 0, s[18:19]
	s_waitcnt vmcnt(5)
	v_ashrrev_i32_e32 v4, v24, v10
	global_load_dword v10, v[2:3], off
	v_lshl_add_u64 v[2:3], v[110:111], 0, s[18:19]
	global_load_dword v12, v[2:3], off
	v_lshlrev_b32_e32 v5, 4, v4
	v_lshlrev_b32_e32 v6, 11, v4
	s_waitcnt vmcnt(6)
	v_lshrrev_b32_e32 v7, 4, v14
	v_lshrrev_b32_e32 v8, 12, v4
	;; [unrolled: 1-line block ×3, first 2 shown]
	v_and_b32_e32 v7, 0xf0f0f0f, v7
	v_and_b32_e32 v2, 0xf0f0f0f, v14
	v_and_b32_e32 v3, 16, v8
	v_and_b32_e32 v5, 16, v5
	v_and_b32_e32 v8, 0x1000, v9
	v_and_b32_e32 v6, 0x1000, v6
	v_or3_b32 v2, v5, v2, v6
	v_or3_b32 v3, v3, v7, v8
	v_lshlrev_b32_e32 v5, 2, v4
	v_lshlrev_b32_e32 v6, 18, v4
	;; [unrolled: 1-line block ×4, first 2 shown]
	v_and_b32_e32 v6, 0x100000, v6
	v_and_b32_e32 v5, 0x100000, v5
	;; [unrolled: 1-line block ×4, first 2 shown]
	v_or3_b32 v3, v3, v5, v7
	v_or3_b32 v2, v2, v6, v4
	ds_write2_b32 v44, v2, v3 offset1:1
	s_waitcnt vmcnt(5)
	v_ashrrev_i32_e32 v4, v24, v13
	v_lshlrev_b32_e32 v2, 4, v4
	v_lshlrev_b32_e32 v3, 11, v4
	s_waitcnt vmcnt(4)
	v_lshrrev_b32_e32 v5, 4, v15
	v_lshrrev_b32_e32 v6, 12, v4
	;; [unrolled: 1-line block ×3, first 2 shown]
	v_and_b32_e32 v5, 0xf0f0f0f, v5
	v_and_b32_e32 v6, 16, v6
	;; [unrolled: 1-line block ×5, first 2 shown]
	v_lshl_add_u64 v[2:3], v[116:117], 0, s[18:19]
	global_load_dword v14, v[2:3], off
	v_or3_b32 v5, v6, v5, v7
	v_lshlrev_b32_e32 v6, 2, v4
	v_lshl_add_u64 v[2:3], v[114:115], 0, s[18:19]
	v_and_b32_e32 v8, 0xf0f0f0f, v15
	global_load_dword v7, v[2:3], off
	v_lshlrev_b32_e32 v2, 18, v4
	v_and_b32_e32 v3, 0x100000, v6
	v_lshlrev_b32_e32 v6, 9, v4
	v_lshlrev_b32_e32 v4, 25, v4
	v_or3_b32 v8, v9, v8, v13
	v_and_b32_e32 v2, 0x100000, v2
	v_and_b32_e32 v4, 0x10000000, v4
	;; [unrolled: 1-line block ×3, first 2 shown]
	v_or3_b32 v3, v5, v3, v6
	v_or3_b32 v2, v8, v2, v4
	s_waitcnt vmcnt(5)
	v_ashrrev_i32_e32 v4, v24, v11
	ds_write2_b32 v46, v2, v3 offset1:1
	v_lshlrev_b32_e32 v2, 4, v4
	s_waitcnt vmcnt(4)
	v_lshrrev_b32_e32 v3, 4, v16
	v_lshrrev_b32_e32 v6, 12, v4
	;; [unrolled: 1-line block ×3, first 2 shown]
	v_and_b32_e32 v9, 0xf0f0f0f, v3
	v_and_b32_e32 v13, 16, v2
	v_lshl_add_u64 v[2:3], v[120:121], 0, s[18:19]
	v_lshlrev_b32_e32 v5, 11, v4
	v_and_b32_e32 v6, 16, v6
	global_load_dword v15, v[2:3], off
	v_and_b32_e32 v8, 0x1000, v8
	v_lshl_add_u64 v[2:3], v[118:119], 0, s[18:19]
	v_and_b32_e32 v11, 0xf0f0f0f, v16
	global_load_dword v16, v[2:3], off
	v_and_b32_e32 v2, 0x1000, v5
	v_or3_b32 v3, v6, v9, v8
	v_lshlrev_b32_e32 v5, 2, v4
	v_lshlrev_b32_e32 v6, 18, v4
	;; [unrolled: 1-line block ×4, first 2 shown]
	v_or3_b32 v2, v13, v11, v2
	v_and_b32_e32 v6, 0x100000, v6
	v_and_b32_e32 v5, 0x100000, v5
	;; [unrolled: 1-line block ×4, first 2 shown]
	v_or3_b32 v3, v3, v5, v8
	v_or3_b32 v2, v2, v6, v4
	ds_write2_b32 v48, v2, v3 offset1:1
	s_waitcnt vmcnt(5)
	v_ashrrev_i32_e32 v4, v24, v10
	v_lshl_add_u64 v[2:3], v[124:125], 0, s[18:19]
	v_lshlrev_b32_e32 v5, 4, v4
	v_lshlrev_b32_e32 v6, 11, v4
	s_waitcnt vmcnt(4)
	v_lshrrev_b32_e32 v8, 4, v12
	v_lshrrev_b32_e32 v9, 12, v4
	;; [unrolled: 1-line block ×3, first 2 shown]
	global_load_dword v11, v[2:3], off
	v_lshl_add_u64 v[2:3], v[122:123], 0, s[18:19]
	v_and_b32_e32 v8, 0xf0f0f0f, v8
	global_load_dword v13, v[2:3], off
	v_and_b32_e32 v2, 0xf0f0f0f, v12
	v_and_b32_e32 v3, 16, v9
	;; [unrolled: 1-line block ×5, first 2 shown]
	v_or3_b32 v2, v5, v2, v6
	v_or3_b32 v3, v3, v8, v9
	v_lshlrev_b32_e32 v5, 2, v4
	v_lshlrev_b32_e32 v6, 18, v4
	v_lshlrev_b32_e32 v8, 9, v4
	v_lshlrev_b32_e32 v4, 25, v4
	v_and_b32_e32 v6, 0x100000, v6
	v_and_b32_e32 v5, 0x100000, v5
	v_and_b32_e32 v4, 0x10000000, v4
	v_and_b32_e32 v8, 0x10000000, v8
	v_or3_b32 v3, v3, v5, v8
	v_or3_b32 v2, v2, v6, v4
	ds_write2_b32 v50, v2, v3 offset1:1
	v_lshl_add_u64 v[2:3], v[126:127], 0, s[18:19]
	global_load_dword v4, v[2:3], off
	v_lshl_add_u64 v[2:3], v[128:129], 0, s[18:19]
	global_load_dword v5, v[2:3], off
	;; [unrolled: 2-line block ×4, first 2 shown]
	s_waitcnt vmcnt(9)
	v_ashrrev_i32_e32 v8, v24, v14
	v_lshlrev_b32_e32 v3, 4, v8
	v_lshlrev_b32_e32 v9, 11, v8
	s_waitcnt vmcnt(8)
	v_lshrrev_b32_e32 v10, 4, v7
	v_lshrrev_b32_e32 v12, 12, v8
	v_lshrrev_b32_e32 v14, 5, v8
	v_and_b32_e32 v10, 0xf0f0f0f, v10
	v_and_b32_e32 v7, 0xf0f0f0f, v7
	v_and_b32_e32 v12, 16, v12
	v_and_b32_e32 v3, 16, v3
	v_and_b32_e32 v14, 0x1000, v14
	v_and_b32_e32 v9, 0x1000, v9
	v_or3_b32 v3, v3, v7, v9
	v_or3_b32 v7, v12, v10, v14
	v_lshlrev_b32_e32 v9, 2, v8
	v_lshlrev_b32_e32 v10, 18, v8
	v_lshlrev_b32_e32 v12, 9, v8
	v_lshlrev_b32_e32 v8, 25, v8
	v_and_b32_e32 v10, 0x100000, v10
	v_and_b32_e32 v9, 0x100000, v9
	v_and_b32_e32 v8, 0x10000000, v8
	v_and_b32_e32 v12, 0x10000000, v12
	v_or3_b32 v7, v7, v9, v12
	v_or3_b32 v3, v3, v10, v8
	ds_write2_b32 v52, v3, v7 offset1:1
	s_waitcnt vmcnt(7)
	v_ashrrev_i32_e32 v3, v24, v15
	v_lshlrev_b32_e32 v7, 4, v3
	v_lshlrev_b32_e32 v8, 11, v3
	s_waitcnt vmcnt(6)
	v_lshrrev_b32_e32 v9, 4, v16
	v_lshrrev_b32_e32 v10, 12, v3
	v_lshrrev_b32_e32 v12, 5, v3
	v_and_b32_e32 v9, 0xf0f0f0f, v9
	v_and_b32_e32 v14, 0xf0f0f0f, v16
	v_and_b32_e32 v10, 16, v10
	v_and_b32_e32 v7, 16, v7
	v_and_b32_e32 v12, 0x1000, v12
	v_and_b32_e32 v8, 0x1000, v8
	v_or3_b32 v7, v7, v14, v8
	v_or3_b32 v8, v10, v9, v12
	v_lshlrev_b32_e32 v9, 2, v3
	v_lshlrev_b32_e32 v10, 18, v3
	v_lshlrev_b32_e32 v12, 9, v3
	v_lshlrev_b32_e32 v3, 25, v3
	v_and_b32_e32 v10, 0x100000, v10
	v_and_b32_e32 v9, 0x100000, v9
	v_and_b32_e32 v3, 0x10000000, v3
	v_and_b32_e32 v12, 0x10000000, v12
	v_or3_b32 v8, v8, v9, v12
	v_or3_b32 v3, v7, v10, v3
	ds_write2_b32 v54, v3, v8 offset1:1
	;; [unrolled: 27-line block ×3, first 2 shown]
	s_waitcnt vmcnt(3)
	ds_write_b32 v53, v4
	s_waitcnt vmcnt(2)
	ds_write_b32 v55, v5
	;; [unrolled: 2-line block ×4, first 2 shown]
	s_cbranch_scc0 .LBB224_5
; %bb.7:                                ;   in Loop: Header=BB224_6 Depth=1
	v_add_u32_e32 v2, s4, v27
	v_cmp_gt_i32_e64 s[2:3], s8, v2
	s_and_b64 s[22:23], s[0:1], s[2:3]
	s_and_saveexec_b64 s[2:3], s[22:23]
	s_cbranch_execz .LBB224_9
; %bb.8:                                ;   in Loop: Header=BB224_6 Depth=1
	v_add_u32_e32 v2, s4, v51
	v_mad_i64_i32 v[2:3], s[22:23], v2, 36, v[58:59]
	global_load_dword v2, v[2:3], off offset:4
	s_waitcnt vmcnt(0)
	ds_write_b32 v29, v2
.LBB224_9:                              ;   in Loop: Header=BB224_6 Depth=1
	s_or_b64 exec, exec, s[2:3]
	s_and_saveexec_b64 s[22:23], vcc
	s_cbranch_execz .LBB224_12
; %bb.10:                               ;   in Loop: Header=BB224_6 Depth=1
	v_add_u32_e32 v2, s4, v22
	v_cmp_gt_i32_e64 s[2:3], s8, v2
	s_and_b64 s[2:3], s[0:1], s[2:3]
	s_and_b64 exec, exec, s[2:3]
	s_cbranch_execz .LBB224_12
; %bb.11:                               ;   in Loop: Header=BB224_6 Depth=1
	v_add_u32_e32 v2, s4, v23
	v_mad_i64_i32 v[2:3], s[2:3], v2, 36, s[14:15]
	global_load_dword v2, v[2:3], off
	s_waitcnt vmcnt(0)
	ds_write_b32 v31, v2
.LBB224_12:                             ;   in Loop: Header=BB224_6 Depth=1
	s_or_b64 exec, exec, s[22:23]
	s_waitcnt lgkmcnt(0)
	s_barrier
	ds_read_b128 v[14:17], v33
	ds_read_b128 v[18:21], v33 offset:16
	ds_read_b128 v[2:5], v35
	ds_read2_b32 v[140:141], v37 offset1:1
	ds_read_b128 v[10:13], v33 offset:32
	ds_read_b128 v[6:9], v33 offset:48
	ds_read2_b32 v[138:139], v39 offset1:1
	ds_read2_b32 v[142:143], v37 offset0:2 offset1:3
	v_mov_b32_e32 v25, 0
	s_waitcnt lgkmcnt(4)
	v_dot4c_i32_i8_e32 v25, v140, v14
	v_dot4c_i32_i8_e32 v25, v141, v18
	s_waitcnt lgkmcnt(1)
	v_pk_mul_f16 v153, v2, v138
	s_waitcnt lgkmcnt(0)
	v_dot4c_i32_i8_e32 v25, v142, v15
	v_add_u32_e32 v138, 0x2080, v37
	ds_read2_b32 v[140:141], v37 offset0:4 offset1:5
	ds_read2_b32 v[144:145], v37 offset0:6 offset1:7
	;; [unrolled: 1-line block ×3, first 2 shown]
	v_dot4c_i32_i8_e32 v25, v143, v19
	ds_read2_b32 v[154:155], v37 offset0:26 offset1:27
	ds_read2_b32 v[156:157], v37 offset0:28 offset1:29
	;; [unrolled: 1-line block ×3, first 2 shown]
	ds_read2_b32 v[142:143], v138 offset1:1
	s_waitcnt lgkmcnt(6)
	v_dot4c_i32_i8_e32 v25, v140, v16
	v_dot4c_i32_i8_e32 v25, v141, v20
	ds_read2_b32 v[140:141], v45 offset0:2 offset1:3
	ds_read2_b32 v[160:161], v41 offset1:1
	v_mov_b32_e32 v138, 0
	s_waitcnt lgkmcnt(2)
	v_dot4c_i32_i8_e32 v138, v142, v14
	v_add_u32_e32 v142, 0x2088, v37
	v_dot4c_i32_i8_e32 v138, v143, v18
	ds_read2_b32 v[142:143], v142 offset1:1
	v_dot4c_i32_i8_e32 v25, v144, v17
	v_dot4c_i32_i8_e32 v25, v145, v21
	v_add_u32_e32 v145, 0x2090, v37
	v_add_u32_e32 v150, 0x2098, v37
	;; [unrolled: 1-line block ×3, first 2 shown]
	ds_read2_b32 v[148:149], v145 offset1:1
	ds_read2_b32 v[150:151], v150 offset1:1
	;; [unrolled: 1-line block ×3, first 2 shown]
	s_waitcnt lgkmcnt(3)
	v_dot4c_i32_i8_e32 v138, v142, v15
	v_dot4c_i32_i8_e32 v138, v143, v19
	s_waitcnt lgkmcnt(2)
	v_dot4c_i32_i8_e32 v138, v148, v16
	v_dot4c_i32_i8_e32 v138, v149, v20
	;; [unrolled: 3-line block ×3, first 2 shown]
	ds_read2_b32 v[164:165], v43 offset1:1
	ds_read2_b32 v[148:149], v41 offset0:2 offset1:3
	ds_read2_b32 v[166:167], v39 offset0:2 offset1:3
	v_cvt_f32_i32_e32 v151, v138
	v_add_u32_e32 v138, 0x4108, v37
	v_cvt_f32_i32_e32 v150, v25
	v_mov_b32_e32 v25, 0
	ds_read2_b32 v[142:143], v138 offset1:1
	v_pk_mul_f16 v174, v2, v160
	s_waitcnt lgkmcnt(4)
	v_dot4c_i32_i8_e32 v25, v162, v14
	v_add_u32_e32 v160, 0x4110, v37
	v_add_u32_e32 v168, 0x4118, v37
	v_dot4c_i32_i8_e32 v25, v163, v18
	v_add_u32_e32 v138, 0x6180, v37
	ds_read2_b32 v[162:163], v160 offset1:1
	ds_read2_b32 v[168:169], v168 offset1:1
	;; [unrolled: 1-line block ×3, first 2 shown]
	s_waitcnt lgkmcnt(3)
	v_dot4c_i32_i8_e32 v25, v142, v15
	v_dot4c_i32_i8_e32 v25, v143, v19
	v_mov_b32_e32 v138, 0
	s_waitcnt lgkmcnt(2)
	v_dot4c_i32_i8_e32 v25, v162, v16
	s_waitcnt lgkmcnt(0)
	v_dot4c_i32_i8_e32 v138, v170, v14
	v_add_u32_e32 v14, 0x6188, v37
	v_dot4c_i32_i8_e32 v25, v163, v20
	ds_read2_b32 v[162:163], v14 offset1:1
	v_dot4c_i32_i8_e32 v25, v168, v17
	v_dot4c_i32_i8_e32 v138, v171, v18
	v_add_u32_e32 v18, 0x6190, v37
	v_dot4c_i32_i8_e32 v25, v169, v21
	v_add_u32_e32 v143, 0x6198, v37
	v_add_u32_e32 v14, 0x20a0, v37
	ds_read2_b32 v[168:169], v18 offset1:1
	ds_read2_b32 v[170:171], v143 offset1:1
	;; [unrolled: 1-line block ×3, first 2 shown]
	s_waitcnt lgkmcnt(3)
	v_dot4c_i32_i8_e32 v138, v162, v15
	v_dot4c_i32_i8_e32 v138, v163, v19
	s_waitcnt lgkmcnt(2)
	v_dot4c_i32_i8_e32 v138, v168, v16
	v_dot4c_i32_i8_e32 v138, v169, v20
	s_waitcnt lgkmcnt(1)
	v_dot4c_i32_i8_e32 v138, v170, v17
	ds_read2_b32 v[18:19], v45 offset1:1
	ds_read2_b32 v[16:17], v43 offset0:2 offset1:3
	v_dot4c_i32_i8_e32 v138, v171, v21
	ds_read2_b32 v[20:21], v37 offset0:10 offset1:11
	v_cvt_f32_i32_e32 v14, v25
	v_mov_b32_e32 v25, 0
	v_dot4c_i32_i8_e32 v25, v146, v10
	v_dot4c_i32_i8_e32 v25, v147, v6
	ds_read2_b32 v[146:147], v37 offset0:12 offset1:13
	ds_read2_b32 v[162:163], v37 offset0:14 offset1:15
	;; [unrolled: 1-line block ×3, first 2 shown]
	v_pk_mul_f16 v164, v2, v164
	s_waitcnt lgkmcnt(5)
	v_pk_mul_f16 v170, v2, v18
	s_waitcnt lgkmcnt(3)
	v_dot4c_i32_i8_e32 v25, v20, v11
	v_add_u32_e32 v2, 0x20a8, v37
	v_dot4c_i32_i8_e32 v25, v21, v7
	ds_read2_b32 v[20:21], v2 offset1:1
	s_waitcnt lgkmcnt(3)
	v_dot4c_i32_i8_e32 v25, v146, v12
	v_dot4c_i32_i8_e32 v25, v147, v8
	v_mov_b32_e32 v175, 0
	s_waitcnt lgkmcnt(2)
	v_dot4c_i32_i8_e32 v25, v162, v13
	v_dot4c_i32_i8_e32 v175, v172, v10
	v_add_u32_e32 v18, 0x20b0, v37
	v_add_u32_e32 v146, 0x20b8, v37
	v_cvt_f32_i32_e32 v15, v138
	v_dot4c_i32_i8_e32 v25, v163, v9
	v_pk_mul_f16 v171, v3, v139
	v_dot4c_i32_i8_e32 v175, v173, v6
	v_add_u32_e32 v2, 0x4120, v37
	ds_read2_b32 v[138:139], v18 offset1:1
	ds_read2_b32 v[146:147], v146 offset1:1
	;; [unrolled: 1-line block ×3, first 2 shown]
	s_waitcnt lgkmcnt(3)
	v_dot4c_i32_i8_e32 v175, v20, v11
	v_dot4c_i32_i8_e32 v175, v21, v7
	v_add_u32_e32 v2, 0x4128, v37
	s_waitcnt lgkmcnt(2)
	v_dot4c_i32_i8_e32 v175, v138, v12
	ds_read2_b32 v[20:21], v2 offset1:1
	v_dot4c_i32_i8_e32 v175, v139, v8
	s_waitcnt lgkmcnt(2)
	v_dot4c_i32_i8_e32 v175, v146, v13
	v_mov_b32_e32 v173, 0
	v_add_u32_e32 v18, 0x4130, v37
	v_add_u32_e32 v146, 0x4138, v37
	v_dot4c_i32_i8_e32 v175, v147, v9
	v_pk_mul_f16 v172, v3, v161
	s_waitcnt lgkmcnt(1)
	v_dot4c_i32_i8_e32 v173, v162, v10
	v_add_u32_e32 v2, 0x61a0, v37
	ds_read2_b32 v[138:139], v18 offset1:1
	ds_read2_b32 v[146:147], v146 offset1:1
	;; [unrolled: 1-line block ×3, first 2 shown]
	v_dot4c_i32_i8_e32 v173, v163, v6
	s_waitcnt lgkmcnt(3)
	v_dot4c_i32_i8_e32 v173, v20, v11
	v_add_u32_e32 v2, 0x61a8, v37
	v_dot4c_i32_i8_e32 v173, v21, v7
	ds_read2_b32 v[20:21], v2 offset1:1
	s_waitcnt lgkmcnt(3)
	v_dot4c_i32_i8_e32 v173, v138, v12
	v_mov_b32_e32 v163, 0
	v_dot4c_i32_i8_e32 v173, v139, v8
	s_waitcnt lgkmcnt(1)
	v_dot4c_i32_i8_e32 v163, v160, v10
	v_dot4c_i32_i8_e32 v173, v146, v13
	;; [unrolled: 1-line block ×3, first 2 shown]
	v_add_u32_e32 v6, 0x61b0, v37
	v_dot4c_i32_i8_e32 v173, v147, v9
	v_add_u32_e32 v10, 0x61b8, v37
	v_add_u32_e32 v2, 0x20c0, v37
	ds_read2_b32 v[138:139], v6 offset1:1
	ds_read2_b32 v[146:147], v10 offset1:1
	;; [unrolled: 1-line block ×3, first 2 shown]
	s_waitcnt lgkmcnt(3)
	v_dot4c_i32_i8_e32 v163, v20, v11
	v_dot4c_i32_i8_e32 v163, v21, v7
	s_waitcnt lgkmcnt(2)
	v_dot4c_i32_i8_e32 v163, v138, v12
	v_dot4c_i32_i8_e32 v163, v139, v8
	s_waitcnt lgkmcnt(1)
	v_dot4c_i32_i8_e32 v163, v146, v13
	ds_read_b128 v[10:13], v33 offset:64
	v_dot4c_i32_i8_e32 v163, v147, v9
	ds_read_b128 v[6:9], v33 offset:80
	v_pk_mul_f16 v162, v3, v165
	v_pk_mul_f16 v165, v3, v19
	ds_read2_b32 v[2:3], v37 offset0:18 offset1:19
	v_mov_b32_e32 v176, 0
	s_waitcnt lgkmcnt(2)
	v_dot4c_i32_i8_e32 v176, v168, v10
	s_waitcnt lgkmcnt(1)
	v_dot4c_i32_i8_e32 v176, v169, v6
	ds_read2_b32 v[18:19], v37 offset0:20 offset1:21
	ds_read2_b32 v[20:21], v37 offset0:22 offset1:23
	;; [unrolled: 1-line block ×3, first 2 shown]
	s_waitcnt lgkmcnt(3)
	v_dot4c_i32_i8_e32 v176, v2, v11
	v_add_u32_e32 v2, 0x20c8, v37
	v_dot4c_i32_i8_e32 v176, v3, v7
	ds_read2_b32 v[2:3], v2 offset1:1
	s_waitcnt lgkmcnt(3)
	v_dot4c_i32_i8_e32 v176, v18, v12
	v_dot4c_i32_i8_e32 v176, v19, v8
	v_mov_b32_e32 v168, 0
	s_waitcnt lgkmcnt(2)
	v_dot4c_i32_i8_e32 v176, v20, v13
	v_dot4c_i32_i8_e32 v168, v160, v10
	v_add_u32_e32 v18, 0x20d0, v37
	v_add_u32_e32 v20, 0x20d8, v37
	;; [unrolled: 1-line block ×3, first 2 shown]
	v_dot4c_i32_i8_e32 v176, v21, v9
	v_dot4c_i32_i8_e32 v168, v161, v6
	ds_read2_b32 v[18:19], v18 offset1:1
	ds_read2_b32 v[20:21], v20 offset1:1
	;; [unrolled: 1-line block ×3, first 2 shown]
	s_waitcnt lgkmcnt(3)
	v_dot4c_i32_i8_e32 v168, v2, v11
	v_dot4c_i32_i8_e32 v168, v3, v7
	v_add_u32_e32 v2, 0x4148, v37
	s_waitcnt lgkmcnt(2)
	v_dot4c_i32_i8_e32 v168, v18, v12
	ds_read2_b32 v[2:3], v2 offset1:1
	v_dot4c_i32_i8_e32 v168, v19, v8
	v_mov_b32_e32 v169, 0
	s_waitcnt lgkmcnt(2)
	v_dot4c_i32_i8_e32 v168, v20, v13
	s_waitcnt lgkmcnt(1)
	v_dot4c_i32_i8_e32 v169, v146, v10
	v_add_u32_e32 v18, 0x4150, v37
	v_add_u32_e32 v20, 0x4158, v37
	;; [unrolled: 1-line block ×3, first 2 shown]
	v_dot4c_i32_i8_e32 v168, v21, v9
	v_dot4c_i32_i8_e32 v169, v147, v6
	ds_read2_b32 v[18:19], v18 offset1:1
	ds_read2_b32 v[20:21], v20 offset1:1
	;; [unrolled: 1-line block ×3, first 2 shown]
	s_waitcnt lgkmcnt(3)
	v_dot4c_i32_i8_e32 v169, v2, v11
	v_add_u32_e32 v2, 0x61c8, v37
	v_dot4c_i32_i8_e32 v169, v3, v7
	ds_read2_b32 v[2:3], v2 offset1:1
	v_mov_b32_e32 v177, 0
	s_waitcnt lgkmcnt(3)
	v_dot4c_i32_i8_e32 v169, v18, v12
	s_waitcnt lgkmcnt(1)
	v_dot4c_i32_i8_e32 v177, v146, v10
	v_dot4c_i32_i8_e32 v169, v19, v8
	;; [unrolled: 1-line block ×3, first 2 shown]
	v_add_u32_e32 v6, 0x61d0, v37
	v_dot4c_i32_i8_e32 v169, v20, v13
	v_add_u32_e32 v10, 0x61d8, v37
	v_add_u32_e32 v20, 0x20e0, v37
	ds_read2_b32 v[18:19], v6 offset1:1
	ds_read2_b32 v[146:147], v10 offset1:1
	;; [unrolled: 1-line block ×3, first 2 shown]
	s_waitcnt lgkmcnt(3)
	v_dot4c_i32_i8_e32 v177, v2, v11
	v_dot4c_i32_i8_e32 v177, v3, v7
	s_waitcnt lgkmcnt(2)
	v_dot4c_i32_i8_e32 v177, v18, v12
	v_dot4c_i32_i8_e32 v177, v19, v8
	v_dot4c_i32_i8_e32 v169, v21, v9
	s_waitcnt lgkmcnt(1)
	v_dot4c_i32_i8_e32 v177, v146, v13
	ds_read_b128 v[10:13], v33 offset:96
	ds_read_b128 v[18:21], v33 offset:112
	v_pk_mul_f16 v166, v4, v166
	v_pk_mul_f16 v148, v4, v148
	;; [unrolled: 1-line block ×4, first 2 shown]
	v_mov_b32_e32 v4, 0
	s_waitcnt lgkmcnt(1)
	v_dot4c_i32_i8_e32 v4, v138, v10
	v_add_u32_e32 v2, 0x20e8, v37
	s_waitcnt lgkmcnt(0)
	v_dot4c_i32_i8_e32 v4, v139, v18
	ds_read2_b32 v[2:3], v2 offset1:1
	v_dot4c_i32_i8_e32 v4, v154, v11
	v_dot4c_i32_i8_e32 v4, v155, v19
	v_mov_b32_e32 v155, 0
	v_dot4c_i32_i8_e32 v155, v160, v10
	v_add_u32_e32 v6, 0x20f0, v37
	v_add_u32_e32 v8, 0x20f8, v37
	;; [unrolled: 1-line block ×3, first 2 shown]
	v_dot4c_i32_i8_e32 v177, v147, v9
	v_dot4c_i32_i8_e32 v155, v161, v18
	ds_read2_b32 v[6:7], v6 offset1:1
	ds_read2_b32 v[8:9], v8 offset1:1
	;; [unrolled: 1-line block ×3, first 2 shown]
	s_waitcnt lgkmcnt(3)
	v_dot4c_i32_i8_e32 v155, v2, v11
	v_dot4c_i32_i8_e32 v155, v3, v19
	s_waitcnt lgkmcnt(2)
	v_dot4c_i32_i8_e32 v155, v6, v12
	v_dot4c_i32_i8_e32 v155, v7, v20
	v_cvt_f32_f16_e32 v144, v153
	v_cvt_f32_f16_e32 v145, v174
	s_waitcnt lgkmcnt(1)
	v_dot4c_i32_i8_e32 v155, v8, v13
	v_cvt_f32_f16_sdwa v3, v174 dst_sel:DWORD dst_unused:UNUSED_PAD src0_sel:WORD_1
	v_cvt_f32_f16_sdwa v2, v153 dst_sel:DWORD dst_unused:UNUSED_PAD src0_sel:WORD_1
	v_dot4c_i32_i8_e32 v155, v9, v21
	v_cvt_f32_f16_e32 v7, v172
	v_cvt_f32_f16_e32 v6, v171
	v_cvt_f32_f16_sdwa v9, v172 dst_sel:DWORD dst_unused:UNUSED_PAD src0_sel:WORD_1
	v_cvt_f32_f16_sdwa v8, v171 dst_sel:DWORD dst_unused:UNUSED_PAD src0_sel:WORD_1
	v_cvt_f32_i32_e32 v147, v175
	v_cvt_f32_i32_e32 v146, v25
	v_dot4c_i32_i8_e32 v4, v156, v12
	v_dot4c_i32_i8_e32 v4, v157, v20
	;; [unrolled: 1-line block ×3, first 2 shown]
	v_pk_fma_f32 v[2:3], v[144:145], v[150:151], v[2:3]
	v_dot4c_i32_i8_e32 v4, v159, v21
	v_pk_mul_f16 v154, v5, v167
	v_pk_mul_f16 v25, v5, v149
	v_pk_add_f32 v[2:3], v[136:137], v[2:3]
	v_pk_fma_f32 v[6:7], v[6:7], v[146:147], v[8:9]
	v_cvt_f32_f16_e32 v9, v148
	v_cvt_f32_f16_e32 v8, v166
	v_cvt_f32_f16_sdwa v137, v148 dst_sel:DWORD dst_unused:UNUSED_PAD src0_sel:WORD_1
	v_cvt_f32_f16_sdwa v136, v166 dst_sel:DWORD dst_unused:UNUSED_PAD src0_sel:WORD_1
	v_cvt_f32_i32_e32 v145, v168
	v_cvt_f32_i32_e32 v144, v176
	v_cvt_f32_f16_e32 v147, v25
	v_cvt_f32_f16_e32 v146, v154
	v_cvt_f32_f16_sdwa v149, v25 dst_sel:DWORD dst_unused:UNUSED_PAD src0_sel:WORD_1
	v_cvt_f32_f16_sdwa v148, v154 dst_sel:DWORD dst_unused:UNUSED_PAD src0_sel:WORD_1
	v_cvt_f32_i32_e32 v151, v155
	v_cvt_f32_i32_e32 v150, v4
	v_pk_add_f32 v[2:3], v[2:3], v[6:7]
	v_pk_fma_f32 v[6:7], v[8:9], v[144:145], v[136:137]
	v_mov_b32_e32 v25, 0
	v_pk_add_f32 v[2:3], v[2:3], v[6:7]
	v_pk_fma_f32 v[6:7], v[146:147], v[150:151], v[148:149]
	s_waitcnt lgkmcnt(0)
	v_dot4c_i32_i8_e32 v25, v138, v10
	v_pk_add_f32 v[136:137], v[2:3], v[6:7]
	v_add_u32_e32 v2, 0x4168, v37
	ds_read2_b32 v[2:3], v2 offset1:1
	v_add_u32_e32 v4, 0x4170, v37
	v_add_u32_e32 v8, 0x4178, v37
	;; [unrolled: 1-line block ×3, first 2 shown]
	v_dot4c_i32_i8_e32 v25, v139, v18
	ds_read2_b32 v[6:7], v4 offset1:1
	ds_read2_b32 v[8:9], v8 offset1:1
	;; [unrolled: 1-line block ×3, first 2 shown]
	s_waitcnt lgkmcnt(3)
	v_dot4c_i32_i8_e32 v25, v2, v11
	v_add_u32_e32 v2, 0x61e8, v37
	v_dot4c_i32_i8_e32 v25, v3, v19
	ds_read2_b32 v[2:3], v2 offset1:1
	s_waitcnt lgkmcnt(3)
	v_dot4c_i32_i8_e32 v25, v6, v12
	v_add_u32_e32 v4, 0x61f0, v37
	v_dot4c_i32_i8_e32 v25, v7, v20
	ds_read2_b32 v[6:7], v4 offset1:1
	v_mov_b32_e32 v144, 0
	s_waitcnt lgkmcnt(3)
	v_dot4c_i32_i8_e32 v25, v8, v13
	s_waitcnt lgkmcnt(2)
	v_dot4c_i32_i8_e32 v144, v138, v10
	v_add_u32_e32 v4, 0x61f8, v37
	v_dot4c_i32_i8_e32 v25, v9, v21
	v_dot4c_i32_i8_e32 v144, v139, v18
	ds_read2_b32 v[8:9], v4 offset1:1
	s_waitcnt lgkmcnt(2)
	v_dot4c_i32_i8_e32 v144, v2, v11
	v_dot4c_i32_i8_e32 v144, v3, v19
	s_waitcnt lgkmcnt(1)
	v_dot4c_i32_i8_e32 v144, v6, v12
	v_dot4c_i32_i8_e32 v144, v7, v20
	s_waitcnt lgkmcnt(0)
	v_dot4c_i32_i8_e32 v144, v8, v13
	v_dot4c_i32_i8_e32 v144, v9, v21
	v_cvt_f32_f16_e32 v7, v165
	v_cvt_f32_f16_e32 v6, v162
	v_cvt_f32_f16_sdwa v9, v165 dst_sel:DWORD dst_unused:UNUSED_PAD src0_sel:WORD_1
	v_cvt_f32_f16_sdwa v8, v162 dst_sel:DWORD dst_unused:UNUSED_PAD src0_sel:WORD_1
	v_cvt_f32_i32_e32 v11, v163
	v_cvt_f32_i32_e32 v10, v173
	v_cvt_f32_f16_e32 v142, v164
	v_cvt_f32_f16_e32 v143, v170
	v_cvt_f32_f16_sdwa v3, v170 dst_sel:DWORD dst_unused:UNUSED_PAD src0_sel:WORD_1
	v_cvt_f32_f16_sdwa v2, v164 dst_sel:DWORD dst_unused:UNUSED_PAD src0_sel:WORD_1
	v_pk_mul_f16 v17, v5, v17
	v_pk_mul_f16 v18, v5, v141
	v_pk_fma_f32 v[4:5], v[6:7], v[10:11], v[8:9]
	v_cvt_f32_f16_e32 v7, v140
	v_cvt_f32_f16_e32 v6, v16
	v_cvt_f32_f16_sdwa v9, v140 dst_sel:DWORD dst_unused:UNUSED_PAD src0_sel:WORD_1
	v_cvt_f32_f16_sdwa v8, v16 dst_sel:DWORD dst_unused:UNUSED_PAD src0_sel:WORD_1
	v_cvt_f32_i32_e32 v11, v177
	v_cvt_f32_i32_e32 v10, v169
	v_pk_fma_f32 v[2:3], v[142:143], v[14:15], v[2:3]
	v_cvt_f32_f16_e32 v13, v18
	v_cvt_f32_f16_e32 v12, v17
	v_cvt_f32_f16_sdwa v15, v18 dst_sel:DWORD dst_unused:UNUSED_PAD src0_sel:WORD_1
	v_cvt_f32_f16_sdwa v14, v17 dst_sel:DWORD dst_unused:UNUSED_PAD src0_sel:WORD_1
	v_cvt_f32_i32_e32 v17, v144
	v_cvt_f32_i32_e32 v16, v25
	v_pk_add_f32 v[2:3], v[130:131], v[2:3]
	s_cmp_ge_i32 s6, s5
	v_pk_add_f32 v[2:3], v[2:3], v[4:5]
	v_pk_fma_f32 v[4:5], v[6:7], v[10:11], v[8:9]
	s_nop 0
	v_pk_add_f32 v[2:3], v[2:3], v[4:5]
	v_pk_fma_f32 v[4:5], v[12:13], v[16:17], v[14:15]
	s_barrier
	v_pk_add_f32 v[130:131], v[2:3], v[4:5]
	s_cbranch_scc1 .LBB224_5
; %bb.13:                               ;   in Loop: Header=BB224_6 Depth=1
	v_add_u32_e32 v2, s4, v47
	v_cmp_gt_i32_e64 s[2:3], s8, v2
	s_and_b64 s[22:23], s[0:1], s[2:3]
	s_and_saveexec_b64 s[2:3], s[22:23]
	s_cbranch_execz .LBB224_15
; %bb.14:                               ;   in Loop: Header=BB224_6 Depth=1
	v_add_u32_e32 v2, s4, v49
	v_mad_i64_i32 v[2:3], s[22:23], v2, 36, v[58:59]
	global_load_dword v2, v[2:3], off offset:4
	s_waitcnt vmcnt(0)
	ds_write_b32 v29, v2
.LBB224_15:                             ;   in Loop: Header=BB224_6 Depth=1
	s_or_b64 exec, exec, s[2:3]
	s_and_saveexec_b64 s[22:23], vcc
	s_cbranch_execz .LBB224_4
; %bb.16:                               ;   in Loop: Header=BB224_6 Depth=1
	v_add3_u32 v2, v22, s4, 4
	v_cmp_gt_i32_e64 s[2:3], s8, v2
	s_and_b64 s[2:3], s[0:1], s[2:3]
	s_and_b64 exec, exec, s[2:3]
	s_cbranch_execz .LBB224_4
; %bb.17:                               ;   in Loop: Header=BB224_6 Depth=1
	global_load_dword v2, v[60:61], off
	s_waitcnt vmcnt(0)
	ds_write_b32 v31, v2
	s_branch .LBB224_4
.LBB224_18:
	v_mov_b32_e32 v130, v131
	v_mov_b32_e32 v137, v131
	;; [unrolled: 1-line block ×3, first 2 shown]
.LBB224_19:
	s_mul_i32 s0, s10, s7
	s_waitcnt vmcnt(0)
	v_cmp_gt_i32_e32 vcc, s0, v1
	s_and_saveexec_b64 s[0:1], vcc
	s_cbranch_execz .LBB224_28
; %bb.20:
	v_and_b32_e32 v0, 0x3ff, v0
	v_add_u32_e32 v2, s11, v0
	v_mul_lo_u32 v0, v1, s9
	v_cmp_gt_u32_e32 vcc, s9, v2
	s_and_saveexec_b64 s[0:1], vcc
	s_cbranch_execz .LBB224_22
; %bb.21:
	v_bfe_u32 v1, v136, 16, 1
	s_movk_i32 s2, 0x7fff
	v_add3_u32 v1, v136, v1, s2
	v_lshrrev_b32_e32 v1, 16, v1
	v_mov_b32_e32 v3, 0x7fc0
	v_cmp_o_f32_e32 vcc, v136, v136
	v_add_u32_e32 v4, v0, v2
	v_mov_b32_e32 v5, 0
	v_cndmask_b32_e32 v1, v3, v1, vcc
	v_lshl_add_u64 v[4:5], v[4:5], 1, s[16:17]
	global_store_short v[4:5], v1, off
.LBB224_22:
	s_or_b64 exec, exec, s[0:1]
	v_add_u32_e32 v1, 32, v2
	v_cmp_gt_u32_e32 vcc, s9, v1
	s_and_saveexec_b64 s[0:1], vcc
	s_cbranch_execz .LBB224_24
; %bb.23:
	v_bfe_u32 v3, v137, 16, 1
	s_movk_i32 s2, 0x7fff
	v_add3_u32 v3, v137, v3, s2
	v_lshrrev_b32_e32 v3, 16, v3
	v_mov_b32_e32 v4, 0x7fc0
	v_cmp_o_f32_e32 vcc, v137, v137
	v_mov_b32_e32 v5, 0
	s_nop 0
	v_cndmask_b32_e32 v3, v4, v3, vcc
	v_add_u32_e32 v4, v0, v1
	v_lshl_add_u64 v[4:5], v[4:5], 1, s[16:17]
	global_store_short v[4:5], v3, off
.LBB224_24:
	s_or_b64 exec, exec, s[0:1]
	v_add_u32_e32 v1, 64, v2
	v_cmp_gt_u32_e32 vcc, s9, v1
	s_and_saveexec_b64 s[0:1], vcc
	s_cbranch_execz .LBB224_26
; %bb.25:
	v_bfe_u32 v3, v130, 16, 1
	s_movk_i32 s2, 0x7fff
	v_add3_u32 v3, v130, v3, s2
	v_lshrrev_b32_e32 v3, 16, v3
	v_mov_b32_e32 v4, 0x7fc0
	v_cmp_o_f32_e32 vcc, v130, v130
	v_mov_b32_e32 v5, 0
	s_nop 0
	v_cndmask_b32_e32 v3, v4, v3, vcc
	v_add_u32_e32 v4, v0, v1
	v_lshl_add_u64 v[4:5], v[4:5], 1, s[16:17]
	global_store_short v[4:5], v3, off
.LBB224_26:
	s_or_b64 exec, exec, s[0:1]
	v_add_u32_e32 v1, 0x60, v2
	v_cmp_gt_u32_e32 vcc, s9, v1
	s_and_b64 exec, exec, vcc
	s_cbranch_execz .LBB224_28
; %bb.27:
	v_bfe_u32 v2, v131, 16, 1
	s_movk_i32 s0, 0x7fff
	v_add3_u32 v2, v131, v2, s0
	v_lshrrev_b32_e32 v2, 16, v2
	v_mov_b32_e32 v3, 0x7fc0
	v_cmp_o_f32_e32 vcc, v131, v131
	v_add_u32_e32 v0, v0, v1
	v_mov_b32_e32 v1, 0
	v_cndmask_b32_e32 v2, v3, v2, vcc
	v_lshl_add_u64 v[0:1], v[0:1], 1, s[16:17]
	global_store_short v[0:1], v2, off
.LBB224_28:
	s_endpgm
	.section	.rodata,"a",@progbits
	.p2align	6, 0x0
	.amdhsa_kernel _ZL8moe_q5_1IN3c108BFloat16ELb1EEvPKvS3_PT_PKiS7_S7_iiiiiii
		.amdhsa_group_segment_fixed_size 38656
		.amdhsa_private_segment_fixed_size 0
		.amdhsa_kernarg_size 76
		.amdhsa_user_sgpr_count 2
		.amdhsa_user_sgpr_dispatch_ptr 0
		.amdhsa_user_sgpr_queue_ptr 0
		.amdhsa_user_sgpr_kernarg_segment_ptr 1
		.amdhsa_user_sgpr_dispatch_id 0
		.amdhsa_user_sgpr_kernarg_preload_length 0
		.amdhsa_user_sgpr_kernarg_preload_offset 0
		.amdhsa_user_sgpr_private_segment_size 0
		.amdhsa_uses_dynamic_stack 0
		.amdhsa_enable_private_segment 0
		.amdhsa_system_sgpr_workgroup_id_x 1
		.amdhsa_system_sgpr_workgroup_id_y 1
		.amdhsa_system_sgpr_workgroup_id_z 0
		.amdhsa_system_sgpr_workgroup_info 0
		.amdhsa_system_vgpr_workitem_id 1
		.amdhsa_next_free_vgpr 178
		.amdhsa_next_free_sgpr 25
		.amdhsa_accum_offset 180
		.amdhsa_reserve_vcc 1
		.amdhsa_float_round_mode_32 0
		.amdhsa_float_round_mode_16_64 0
		.amdhsa_float_denorm_mode_32 3
		.amdhsa_float_denorm_mode_16_64 3
		.amdhsa_dx10_clamp 1
		.amdhsa_ieee_mode 1
		.amdhsa_fp16_overflow 0
		.amdhsa_tg_split 0
		.amdhsa_exception_fp_ieee_invalid_op 0
		.amdhsa_exception_fp_denorm_src 0
		.amdhsa_exception_fp_ieee_div_zero 0
		.amdhsa_exception_fp_ieee_overflow 0
		.amdhsa_exception_fp_ieee_underflow 0
		.amdhsa_exception_fp_ieee_inexact 0
		.amdhsa_exception_int_div_zero 0
	.end_amdhsa_kernel
	.section	.text._ZL8moe_q5_1IN3c108BFloat16ELb1EEvPKvS3_PT_PKiS7_S7_iiiiiii,"axG",@progbits,_ZL8moe_q5_1IN3c108BFloat16ELb1EEvPKvS3_PT_PKiS7_S7_iiiiiii,comdat
.Lfunc_end224:
	.size	_ZL8moe_q5_1IN3c108BFloat16ELb1EEvPKvS3_PT_PKiS7_S7_iiiiiii, .Lfunc_end224-_ZL8moe_q5_1IN3c108BFloat16ELb1EEvPKvS3_PT_PKiS7_S7_iiiiiii
                                        ; -- End function
	.section	.AMDGPU.csdata,"",@progbits
; Kernel info:
; codeLenInByte = 11024
; NumSgprs: 31
; NumVgprs: 178
; NumAgprs: 0
; TotalNumVgprs: 178
; ScratchSize: 0
; MemoryBound: 0
; FloatMode: 240
; IeeeMode: 1
; LDSByteSize: 38656 bytes/workgroup (compile time only)
; SGPRBlocks: 3
; VGPRBlocks: 22
; NumSGPRsForWavesPerEU: 31
; NumVGPRsForWavesPerEU: 178
; AccumOffset: 180
; Occupancy: 1
; WaveLimiterHint : 1
; COMPUTE_PGM_RSRC2:SCRATCH_EN: 0
; COMPUTE_PGM_RSRC2:USER_SGPR: 2
; COMPUTE_PGM_RSRC2:TRAP_HANDLER: 0
; COMPUTE_PGM_RSRC2:TGID_X_EN: 1
; COMPUTE_PGM_RSRC2:TGID_Y_EN: 1
; COMPUTE_PGM_RSRC2:TGID_Z_EN: 0
; COMPUTE_PGM_RSRC2:TIDIG_COMP_CNT: 1
; COMPUTE_PGM_RSRC3_GFX90A:ACCUM_OFFSET: 44
; COMPUTE_PGM_RSRC3_GFX90A:TG_SPLIT: 0
	.section	.text._ZL8moe_q8_0IN3c108BFloat16ELb0EEvPKvS3_PT_PKiS7_S7_iiiiiii,"axG",@progbits,_ZL8moe_q8_0IN3c108BFloat16ELb0EEvPKvS3_PT_PKiS7_S7_iiiiiii,comdat
	.globl	_ZL8moe_q8_0IN3c108BFloat16ELb0EEvPKvS3_PT_PKiS7_S7_iiiiiii ; -- Begin function _ZL8moe_q8_0IN3c108BFloat16ELb0EEvPKvS3_PT_PKiS7_S7_iiiiiii
	.p2align	8
	.type	_ZL8moe_q8_0IN3c108BFloat16ELb0EEvPKvS3_PT_PKiS7_S7_iiiiiii,@function
_ZL8moe_q8_0IN3c108BFloat16ELb0EEvPKvS3_PT_PKiS7_S7_iiiiiii: ; @_ZL8moe_q8_0IN3c108BFloat16ELb0EEvPKvS3_PT_PKiS7_S7_iiiiiii
; %bb.0:
	s_load_dwordx4 s[4:7], s[0:1], 0x18
	s_mov_b32 s8, s3
	s_mov_b32 s9, 0
	s_lshl_b64 s[10:11], s[8:9], 2
	s_waitcnt lgkmcnt(0)
	s_add_u32 s6, s6, s10
	s_addc_u32 s7, s7, s11
	s_load_dword s3, s[6:7], 0x0
	s_waitcnt lgkmcnt(0)
	s_cmpk_gt_u32 s3, 0xff
	s_cbranch_scc1 .LBB225_21
; %bb.1:
	s_load_dwordx2 s[6:7], s[0:1], 0x28
	s_waitcnt lgkmcnt(0)
	s_load_dword s7, s[6:7], 0x0
	s_lshl_b32 s6, s8, 3
	s_waitcnt lgkmcnt(0)
	s_cmp_gt_u32 s6, s7
	s_cbranch_scc1 .LBB225_21
; %bb.2:
	v_bfe_u32 v2, v0, 10, 10
	v_mov_b32_e32 v22, 0
	v_mov_b32_e32 v4, s4
	;; [unrolled: 1-line block ×3, first 2 shown]
	v_add_u32_e32 v6, s6, v2
	v_mov_b32_e32 v7, v22
	v_lshl_add_u64 v[4:5], v[6:7], 2, v[4:5]
	global_load_dword v1, v[4:5], off
	s_load_dwordx2 s[14:15], s[0:1], 0x30
	s_load_dwordx2 s[12:13], s[0:1], 0x10
	s_load_dwordx4 s[4:7], s[0:1], 0x3c
	s_lshl_b32 s18, s2, 7
	s_mov_b32 s19, 0
	s_waitcnt lgkmcnt(0)
	s_cmp_lt_i32 s15, 32
	s_cbranch_scc1 .LBB225_11
; %bb.3:
	s_load_dwordx4 s[8:11], s[0:1], 0x0
	s_ashr_i32 s0, s15, 31
	s_lshr_b32 s0, s0, 27
	s_add_i32 s0, s15, s0
	s_ashr_i32 s20, s0, 5
	s_ashr_i32 s0, s5, 31
	s_lshr_b32 s0, s0, 27
	s_add_i32 s0, s5, s0
	v_and_b32_e32 v66, 0x3ff, v0
	s_ashr_i32 s5, s0, 5
	v_lshlrev_b32_e32 v3, 2, v66
	s_movk_i32 s0, 0x84
	v_mul_lo_u32 v6, s20, v2
	v_mad_u32_u24 v68, v2, s0, v3
	s_lshl_b32 s0, s20, 3
	v_add_u32_e32 v8, s0, v6
	v_add_u32_e32 v9, s0, v8
	;; [unrolled: 1-line block ×11, first 2 shown]
	v_and_b32_e32 v4, 28, v3
	v_add_u32_e32 v19, s0, v18
	v_lshlrev_b32_e32 v3, 3, v2
	v_lshrrev_b32_e32 v7, 2, v66
	v_add_u32_e32 v20, s0, v19
	v_add_u32_e32 v24, v7, v3
	v_add_u16_e32 v3, v7, v3
	v_add_u32_e32 v21, s0, v20
	v_and_b32_e32 v44, 3, v66
	v_lshrrev_b16_e32 v3, 1, v3
	v_add_u32_e32 v23, s0, v21
	v_and_b32_e32 v3, 0x1ffc, v3
	v_lshlrev_b32_e32 v7, 2, v44
	s_movk_i32 s0, 0x4200
	v_add3_u32 v64, v3, v7, s0
	v_add_u32_e32 v3, 64, v24
	v_mul_lo_u32 v45, s20, v24
	v_lshlrev_b32_e32 v65, 4, v24
	v_lshrrev_b32_e32 v24, 1, v3
	v_lshlrev_b32_e32 v96, 4, v3
	v_and_b32_e32 v3, 31, v66
	v_lshlrev_b32_e32 v84, 7, v2
	v_and_b32_e32 v24, 0x3ffc, v24
	v_lshl_or_b32 v3, v3, 2, v84
	v_lshrrev_b32_e32 v67, 3, v66
	v_add3_u32 v95, v24, v7, s0
	v_add_u32_e32 v85, 0x4a40, v3
	v_lshl_add_u32 v3, v2, 2, v66
	v_mov_b32_e32 v7, 0x4e40
	v_lshl_add_u32 v86, v3, 2, v7
	v_lshlrev_b32_e32 v87, 4, v2
	v_lshlrev_b32_e32 v2, 2, v67
	;; [unrolled: 1-line block ×3, first 2 shown]
	v_add3_u32 v89, v3, v2, s0
	v_add_u32_e32 v2, 32, v66
	v_lshrrev_b32_e32 v3, 1, v2
	v_and_b32_e32 v3, 0xfc, v3
	v_lshlrev_b32_e32 v2, 4, v2
	v_add3_u32 v90, v2, v3, s0
	v_add_u32_e32 v2, 64, v66
	v_lshrrev_b32_e32 v3, 1, v2
	s_mul_i32 s16, s3, s14
	v_and_b32_e32 v3, 0xfc, v3
	v_lshlrev_b32_e32 v2, 4, v2
	s_abs_i32 s3, s7
	v_add3_u32 v91, v2, v3, s0
	v_cvt_f32_u32_e32 v3, s3
	v_add_u32_e32 v2, 0x60, v66
	v_lshrrev_b32_e32 v7, 1, v2
	v_and_b32_e32 v7, 0xfc, v7
	v_rcp_iflag_f32_e32 v3, v3
	v_lshlrev_b32_e32 v2, 4, v2
	v_add3_u32 v92, v2, v7, s0
	s_sub_i32 s0, 0, s3
	v_mul_f32_e32 v3, 0x4f7ffffe, v3
	v_cvt_u32_f32_e32 v3, v3
	s_waitcnt vmcnt(0)
	v_sub_u32_e32 v7, 0, v1
	v_max_i32_e32 v7, v1, v7
	v_xor_b32_e32 v2, s7, v1
	v_mul_lo_u32 v26, s0, v3
	v_mul_hi_u32 v26, v3, v26
	v_add_u32_e32 v3, v3, v26
	v_mul_hi_u32 v3, v7, v3
	v_mul_lo_u32 v26, v3, s3
	v_sub_u32_e32 v7, v7, v26
	v_add_u32_e32 v26, 1, v3
	v_cmp_le_u32_e64 s[0:1], s3, v7
	v_ashrrev_i32_e32 v2, 31, v2
	s_mul_i32 s2, s20, s18
	v_cndmask_b32_e64 v3, v3, v26, s[0:1]
	v_subrev_u32_e32 v26, s3, v7
	v_cndmask_b32_e64 v7, v7, v26, s[0:1]
	v_add_u32_e32 v26, 1, v3
	v_cmp_le_u32_e64 s[0:1], s3, v7
	s_mul_hi_i32 s3, s2, 34
	s_mul_i32 s14, s2, 34
	v_cndmask_b32_e64 v3, v3, v26, s[0:1]
	v_xor_b32_e32 v3, v3, v2
	v_sub_u32_e32 v2, v3, v2
	v_cmp_gt_i32_e64 s[0:1], s4, v2
	v_mul_lo_u32 v93, v2, s5
	v_mov_b32_e32 v2, s14
	v_mov_b32_e32 v3, s3
	v_mad_u64_u32 v[2:3], s[22:23], v67, 34, v[2:3]
	v_mov_b32_e32 v5, v22
	v_mad_u64_u32 v[6:7], s[22:23], v6, 34, v[2:3]
	v_lshl_add_u64 v[6:7], v[6:7], 0, v[4:5]
	s_waitcnt lgkmcnt(0)
	v_lshl_add_u64 v[6:7], v[6:7], 0, s[8:9]
	v_lshl_add_u64 v[26:27], v[6:7], 0, 2
	v_mad_u64_u32 v[6:7], s[22:23], v8, 34, v[2:3]
	v_lshl_add_u64 v[6:7], v[6:7], 0, v[4:5]
	v_lshl_add_u64 v[6:7], v[6:7], 0, s[8:9]
	v_lshl_add_u64 v[28:29], v[6:7], 0, 2
	v_mad_u64_u32 v[6:7], s[22:23], v9, 34, v[2:3]
	v_lshl_add_u64 v[6:7], v[6:7], 0, v[4:5]
	;; [unrolled: 4-line block ×13, first 2 shown]
	v_lshl_add_u64 v[6:7], v[6:7], 0, s[8:9]
	v_lshl_add_u64 v[54:55], v[6:7], 0, 2
	v_mad_u64_u32 v[6:7], s[22:23], v21, 34, v[2:3]
	v_mad_u64_u32 v[2:3], s[22:23], v23, 34, v[2:3]
	v_lshl_add_u64 v[2:3], v[2:3], 0, v[4:5]
	v_lshl_add_u64 v[2:3], v[2:3], 0, s[8:9]
	;; [unrolled: 1-line block ×3, first 2 shown]
	v_mad_u64_u32 v[2:3], s[22:23], v45, 34, 0
	v_mad_i64_i32 v[2:3], s[22:23], s2, 34, v[2:3]
	v_lshl_add_u32 v62, s20, 6, v45
	v_mad_u64_u32 v[2:3], s[22:23], v44, 34, v[2:3]
	v_lshl_add_u64 v[60:61], s[8:9], 0, v[2:3]
	v_mad_u64_u32 v[2:3], s[22:23], v62, 34, 0
	v_lshl_add_u64 v[6:7], v[6:7], 0, v[4:5]
	v_mad_i64_i32 v[2:3], s[2:3], s2, 34, v[2:3]
	v_mul_u32_u24_e32 v88, 0x84, v66
	v_lshl_add_u64 v[6:7], v[6:7], 0, s[8:9]
	v_mad_u64_u32 v[2:3], s[2:3], v44, 34, v[2:3]
	s_ashr_i32 s17, s16, 31
	v_add_u32_e32 v69, 0x420, v68
	v_add_u32_e32 v70, 0x840, v68
	;; [unrolled: 1-line block ×15, first 2 shown]
	v_lshl_add_u64 v[24:25], s[10:11], 0, v[4:5]
	v_cmp_gt_u32_e32 vcc, 4, v66
	v_lshl_add_u64 v[56:57], v[6:7], 0, 2
	v_lshl_add_u64 v[62:63], s[8:9], 0, v[2:3]
	v_add_u32_e32 v94, v64, v65
	v_add_u32_e32 v95, v95, v96
	;; [unrolled: 1-line block ×18, first 2 shown]
	s_mov_b64 s[8:9], 0x88
	v_add_u32_e32 v112, 0x2120, v88
	v_add_u32_e32 v113, 0x2128, v88
	;; [unrolled: 1-line block ×9, first 2 shown]
	s_mov_b32 s14, 0
	v_mov_b32_e32 v23, v22
	v_mov_b32_e32 v44, v22
	;; [unrolled: 1-line block ×3, first 2 shown]
	s_branch .LBB225_6
.LBB225_4:                              ;   in Loop: Header=BB225_6 Depth=1
	s_or_b64 exec, exec, s[2:3]
	s_waitcnt lgkmcnt(0)
	s_barrier
	ds_read_b128 v[2:5], v87 offset:20032
	ds_read2_b32 v[64:65], v88 offset1:1
	ds_read_b128 v[18:21], v84 offset:19008
	ds_read_b128 v[14:17], v84 offset:19024
	;; [unrolled: 1-line block ×4, first 2 shown]
	ds_read2_b32 v[122:123], v88 offset0:2 offset1:3
	v_mov_b32_e32 v121, 0
	s_waitcnt lgkmcnt(4)
	v_dot4c_i32_i8_e32 v121, v64, v18
	v_dot4c_i32_i8_e32 v121, v65, v19
	ds_read2_b32 v[64:65], v88 offset0:4 offset1:5
	ds_read2_b32 v[124:125], v88 offset0:6 offset1:7
	ds_read2_b32 v[126:127], v88 offset0:8 offset1:9
	s_waitcnt lgkmcnt(3)
	v_dot4c_i32_i8_e32 v121, v122, v20
	v_dot4c_i32_i8_e32 v121, v123, v21
	s_waitcnt lgkmcnt(2)
	v_dot4c_i32_i8_e32 v121, v64, v14
	v_dot4c_i32_i8_e32 v121, v65, v15
	ds_read2_b32 v[122:123], v96 offset1:1
	s_waitcnt lgkmcnt(2)
	v_dot4c_i32_i8_e32 v121, v124, v16
	v_dot4c_i32_i8_e32 v121, v125, v17
	ds_read2_b32 v[124:125], v97 offset1:1
	v_mov_b32_e32 v136, 0
	ds_read2_b32 v[64:65], v92 offset0:2 offset1:3
	s_waitcnt lgkmcnt(2)
	v_dot4c_i32_i8_e32 v136, v122, v18
	v_dot4c_i32_i8_e32 v136, v123, v19
	ds_read2_b32 v[122:123], v98 offset1:1
	ds_read2_b32 v[128:129], v99 offset1:1
	;; [unrolled: 1-line block ×3, first 2 shown]
	s_waitcnt lgkmcnt(4)
	v_dot4c_i32_i8_e32 v136, v124, v20
	v_dot4c_i32_i8_e32 v136, v125, v21
	s_waitcnt lgkmcnt(2)
	v_dot4c_i32_i8_e32 v136, v122, v14
	v_dot4c_i32_i8_e32 v136, v123, v15
	ds_read2_b32 v[122:123], v101 offset1:1
	v_mov_b32_e32 v137, 0
	s_waitcnt lgkmcnt(2)
	v_dot4c_i32_i8_e32 v136, v128, v16
	s_waitcnt lgkmcnt(1)
	v_dot4c_i32_i8_e32 v137, v130, v18
	v_dot4c_i32_i8_e32 v136, v129, v17
	;; [unrolled: 1-line block ×3, first 2 shown]
	ds_read2_b32 v[124:125], v102 offset1:1
	ds_read2_b32 v[128:129], v103 offset1:1
	;; [unrolled: 1-line block ×3, first 2 shown]
	s_waitcnt lgkmcnt(3)
	v_dot4c_i32_i8_e32 v137, v122, v20
	v_dot4c_i32_i8_e32 v137, v123, v21
	ds_read2_b32 v[122:123], v105 offset1:1
	s_waitcnt lgkmcnt(3)
	v_dot4c_i32_i8_e32 v137, v124, v14
	v_dot4c_i32_i8_e32 v137, v125, v15
	v_mov_b32_e32 v138, 0
	s_waitcnt lgkmcnt(2)
	v_dot4c_i32_i8_e32 v137, v128, v16
	s_waitcnt lgkmcnt(1)
	v_dot4c_i32_i8_e32 v138, v130, v18
	v_dot4c_i32_i8_e32 v137, v129, v17
	;; [unrolled: 1-line block ×3, first 2 shown]
	ds_read2_b32 v[18:19], v106 offset1:1
	ds_read2_b32 v[124:125], v107 offset1:1
	;; [unrolled: 1-line block ×3, first 2 shown]
	s_waitcnt lgkmcnt(3)
	v_dot4c_i32_i8_e32 v138, v122, v20
	v_dot4c_i32_i8_e32 v138, v123, v21
	s_waitcnt lgkmcnt(2)
	v_dot4c_i32_i8_e32 v138, v18, v14
	v_dot4c_i32_i8_e32 v138, v19, v15
	ds_read2_b32 v[14:15], v88 offset0:10 offset1:11
	v_mov_b32_e32 v139, 0
	s_waitcnt lgkmcnt(2)
	v_dot4c_i32_i8_e32 v138, v124, v16
	v_dot4c_i32_i8_e32 v139, v126, v10
	v_dot4c_i32_i8_e32 v138, v125, v17
	v_dot4c_i32_i8_e32 v139, v127, v11
	ds_read2_b32 v[16:17], v88 offset0:12 offset1:13
	ds_read2_b32 v[18:19], v88 offset0:14 offset1:15
	;; [unrolled: 1-line block ×3, first 2 shown]
	s_waitcnt lgkmcnt(3)
	v_dot4c_i32_i8_e32 v139, v14, v12
	v_dot4c_i32_i8_e32 v139, v15, v13
	ds_read2_b32 v[14:15], v109 offset1:1
	s_waitcnt lgkmcnt(3)
	v_dot4c_i32_i8_e32 v139, v16, v6
	v_dot4c_i32_i8_e32 v139, v17, v7
	v_mov_b32_e32 v140, 0
	s_waitcnt lgkmcnt(2)
	v_dot4c_i32_i8_e32 v139, v18, v8
	v_dot4c_i32_i8_e32 v140, v128, v10
	;; [unrolled: 1-line block ×4, first 2 shown]
	ds_read2_b32 v[16:17], v110 offset1:1
	ds_read2_b32 v[18:19], v111 offset1:1
	;; [unrolled: 1-line block ×3, first 2 shown]
	s_waitcnt lgkmcnt(3)
	v_dot4c_i32_i8_e32 v140, v14, v12
	v_dot4c_i32_i8_e32 v140, v15, v13
	ds_read2_b32 v[14:15], v113 offset1:1
	s_waitcnt lgkmcnt(3)
	v_dot4c_i32_i8_e32 v140, v16, v6
	v_dot4c_i32_i8_e32 v140, v17, v7
	v_mov_b32_e32 v141, 0
	s_waitcnt lgkmcnt(2)
	v_dot4c_i32_i8_e32 v140, v18, v8
	s_waitcnt lgkmcnt(1)
	v_dot4c_i32_i8_e32 v141, v122, v10
	v_dot4c_i32_i8_e32 v140, v19, v9
	;; [unrolled: 1-line block ×3, first 2 shown]
	ds_read2_b32 v[16:17], v114 offset1:1
	ds_read2_b32 v[18:19], v115 offset1:1
	;; [unrolled: 1-line block ×3, first 2 shown]
	s_waitcnt lgkmcnt(3)
	v_dot4c_i32_i8_e32 v141, v14, v12
	v_dot4c_i32_i8_e32 v141, v15, v13
	ds_read2_b32 v[14:15], v117 offset1:1
	s_waitcnt lgkmcnt(3)
	v_dot4c_i32_i8_e32 v141, v16, v6
	v_dot4c_i32_i8_e32 v141, v17, v7
	v_mov_b32_e32 v142, 0
	s_waitcnt lgkmcnt(2)
	v_dot4c_i32_i8_e32 v141, v18, v8
	s_waitcnt lgkmcnt(1)
	v_dot4c_i32_i8_e32 v142, v122, v10
	v_dot4c_i32_i8_e32 v141, v19, v9
	v_dot4c_i32_i8_e32 v142, v123, v11
	ds_read2_b32 v[10:11], v118 offset1:1
	ds_read2_b32 v[16:17], v119 offset1:1
	;; [unrolled: 1-line block ×3, first 2 shown]
	s_waitcnt lgkmcnt(3)
	v_dot4c_i32_i8_e32 v142, v14, v12
	v_dot4c_i32_i8_e32 v142, v15, v13
	s_waitcnt lgkmcnt(2)
	v_dot4c_i32_i8_e32 v142, v10, v6
	v_dot4c_i32_i8_e32 v142, v11, v7
	;; [unrolled: 3-line block ×3, first 2 shown]
	ds_read_b128 v[8:11], v84 offset:19072
	ds_read_b128 v[12:15], v84 offset:19088
	ds_read2_b32 v[6:7], v91 offset1:1
	ds_read2_b32 v[16:17], v90 offset0:2 offset1:3
	ds_read2_b32 v[122:123], v90 offset1:1
	ds_read2_b32 v[124:125], v89 offset0:2 offset1:3
	ds_read2_b32 v[126:127], v88 offset0:18 offset1:19
	v_mov_b32_e32 v143, 0
	s_waitcnt lgkmcnt(6)
	v_dot4c_i32_i8_e32 v143, v20, v8
	v_dot4c_i32_i8_e32 v143, v21, v9
	ds_read2_b32 v[20:21], v88 offset0:20 offset1:21
	ds_read2_b32 v[128:129], v88 offset0:22 offset1:23
	;; [unrolled: 1-line block ×3, first 2 shown]
	v_mov_b32_e32 v144, 0
	s_waitcnt lgkmcnt(3)
	v_dot4c_i32_i8_e32 v143, v126, v10
	v_dot4c_i32_i8_e32 v144, v18, v8
	v_add_u32_e32 v18, 0x10c8, v88
	v_dot4c_i32_i8_e32 v143, v127, v11
	v_dot4c_i32_i8_e32 v144, v19, v9
	ds_read2_b32 v[18:19], v18 offset1:1
	s_waitcnt lgkmcnt(3)
	v_dot4c_i32_i8_e32 v143, v20, v12
	v_dot4c_i32_i8_e32 v143, v21, v13
	s_waitcnt lgkmcnt(2)
	v_dot4c_i32_i8_e32 v143, v128, v14
	v_add_u32_e32 v20, 0x10d0, v88
	v_add_u32_e32 v126, 0x10d8, v88
	;; [unrolled: 1-line block ×3, first 2 shown]
	v_dot4c_i32_i8_e32 v143, v129, v15
	ds_read2_b32 v[20:21], v20 offset1:1
	ds_read2_b32 v[126:127], v126 offset1:1
	;; [unrolled: 1-line block ×3, first 2 shown]
	s_waitcnt lgkmcnt(3)
	v_dot4c_i32_i8_e32 v144, v18, v10
	v_dot4c_i32_i8_e32 v144, v19, v11
	s_waitcnt lgkmcnt(2)
	v_dot4c_i32_i8_e32 v144, v20, v12
	v_dot4c_i32_i8_e32 v144, v21, v13
	v_mov_b32_e32 v145, 0
	s_waitcnt lgkmcnt(1)
	v_dot4c_i32_i8_e32 v144, v126, v14
	s_waitcnt lgkmcnt(0)
	v_dot4c_i32_i8_e32 v145, v128, v8
	v_add_u32_e32 v126, 0x2148, v88
	v_add_u32_e32 v128, 0x2150, v88
	;; [unrolled: 1-line block ×4, first 2 shown]
	v_dot4c_i32_i8_e32 v144, v127, v15
	ds_read2_b32 v[18:19], v92 offset1:1
	ds_read2_b32 v[20:21], v91 offset0:2 offset1:3
	v_dot4c_i32_i8_e32 v145, v129, v9
	ds_read2_b32 v[126:127], v126 offset1:1
	ds_read2_b32 v[128:129], v128 offset1:1
	;; [unrolled: 1-line block ×4, first 2 shown]
	v_mov_b32_e32 v146, 0
	v_mov_b32_e32 v147, 0
	;; [unrolled: 1-line block ×3, first 2 shown]
	s_waitcnt lgkmcnt(3)
	v_dot4c_i32_i8_e32 v145, v126, v10
	s_waitcnt lgkmcnt(0)
	v_dot4c_i32_i8_e32 v146, v134, v8
	v_add_u32_e32 v8, 0x31c8, v88
	v_dot4c_i32_i8_e32 v145, v127, v11
	v_dot4c_i32_i8_e32 v146, v135, v9
	ds_read2_b32 v[8:9], v8 offset1:1
	v_dot4c_i32_i8_e32 v145, v128, v12
	v_dot4c_i32_i8_e32 v145, v129, v13
	;; [unrolled: 1-line block ×3, first 2 shown]
	v_add_u32_e32 v126, 0x31d0, v88
	v_add_u32_e32 v128, 0x31d8, v88
	;; [unrolled: 1-line block ×3, first 2 shown]
	v_dot4c_i32_i8_e32 v145, v133, v15
	ds_read2_b32 v[126:127], v126 offset1:1
	ds_read2_b32 v[128:129], v128 offset1:1
	;; [unrolled: 1-line block ×3, first 2 shown]
	s_waitcnt lgkmcnt(3)
	v_dot4c_i32_i8_e32 v146, v8, v10
	v_dot4c_i32_i8_e32 v146, v9, v11
	ds_read_b128 v[8:11], v84 offset:19104
	s_waitcnt lgkmcnt(3)
	v_dot4c_i32_i8_e32 v146, v126, v12
	v_dot4c_i32_i8_e32 v146, v127, v13
	ds_read2_b32 v[126:127], v88 offset0:26 offset1:27
	s_waitcnt lgkmcnt(3)
	v_dot4c_i32_i8_e32 v146, v128, v14
	v_dot4c_i32_i8_e32 v146, v129, v15
	ds_read_b128 v[12:15], v84 offset:19120
	s_waitcnt lgkmcnt(2)
	v_dot4c_i32_i8_e32 v147, v130, v8
	v_dot4c_i32_i8_e32 v147, v131, v9
	ds_read2_b32 v[128:129], v88 offset0:28 offset1:29
	ds_read2_b32 v[130:131], v89 offset1:1
	ds_read2_b32 v[134:135], v88 offset0:30 offset1:31
	s_waitcnt lgkmcnt(4)
	v_dot4c_i32_i8_e32 v147, v126, v10
	v_add_u32_e32 v126, 0x10e8, v88
	v_dot4c_i32_i8_e32 v147, v127, v11
	ds_read2_b32 v[126:127], v126 offset1:1
	s_waitcnt lgkmcnt(3)
	v_dot4c_i32_i8_e32 v147, v128, v12
	v_dot4c_i32_i8_e32 v147, v129, v13
	s_waitcnt lgkmcnt(1)
	v_dot4c_i32_i8_e32 v147, v134, v14
	v_dot4c_i32_i8_e32 v148, v132, v8
	v_add_u32_e32 v128, 0x10f0, v88
	v_add_u32_e32 v132, 0x10f8, v88
	;; [unrolled: 1-line block ×3, first 2 shown]
	v_dot4c_i32_i8_e32 v147, v135, v15
	v_dot4c_i32_i8_e32 v148, v133, v9
	ds_read2_b32 v[128:129], v128 offset1:1
	ds_read2_b32 v[132:133], v132 offset1:1
	ds_read2_b32 v[134:135], v134 offset1:1
	s_waitcnt lgkmcnt(3)
	v_dot4c_i32_i8_e32 v148, v126, v10
	v_dot4c_i32_i8_e32 v148, v127, v11
	s_waitcnt lgkmcnt(2)
	v_dot4c_i32_i8_e32 v148, v128, v12
	v_dot4c_i32_i8_e32 v148, v129, v13
	s_waitcnt lgkmcnt(1)
	v_dot4c_i32_i8_e32 v148, v132, v14
	v_cvt_f32_i32_e32 v129, v136
	v_cvt_f32_i32_e32 v128, v121
	v_dot4c_i32_i8_e32 v148, v133, v15
	v_cvt_f32_i32_e32 v133, v140
	v_cvt_f32_i32_e32 v132, v139
	v_mov_b32_e32 v126, v130
	v_mov_b32_e32 v127, v122
	v_pk_mul_f32 v[126:127], v[2:3], v[126:127] op_sel_hi:[0,1]
	v_mov_b32_e32 v122, v131
	v_pk_fma_f32 v[22:23], v[126:127], v[128:129], v[22:23]
	v_pk_mul_f32 v[122:123], v[2:3], v[122:123] op_sel:[1,0]
	v_mov_b32_e32 v126, v124
	v_pk_fma_f32 v[22:23], v[122:123], v[132:133], v[22:23]
	v_cvt_f32_i32_e32 v123, v144
	v_cvt_f32_i32_e32 v122, v143
	v_mov_b32_e32 v127, v16
	v_pk_mul_f32 v[126:127], v[4:5], v[126:127] op_sel_hi:[0,1]
	v_mov_b32_e32 v124, v5
	v_pk_fma_f32 v[22:23], v[126:127], v[122:123], v[22:23]
	v_cvt_f32_i32_e32 v123, v148
	v_cvt_f32_i32_e32 v122, v147
	v_mov_b32_e32 v16, v125
	v_pk_mul_f32 v[16:17], v[124:125], v[16:17] op_sel_hi:[0,1]
	v_add_u32_e32 v5, 0x2168, v88
	v_pk_fma_f32 v[22:23], v[16:17], v[122:123], v[22:23]
	v_add_u32_e32 v122, 0x2170, v88
	v_add_u32_e32 v125, 0x2178, v88
	ds_read2_b32 v[16:17], v5 offset1:1
	v_add_u32_e32 v5, 0x31e0, v88
	ds_read2_b32 v[122:123], v122 offset1:1
	ds_read2_b32 v[126:127], v125 offset1:1
	;; [unrolled: 1-line block ×3, first 2 shown]
	v_mov_b32_e32 v121, 0
	v_mov_b32_e32 v125, 0
	s_waitcnt lgkmcnt(4)
	v_dot4c_i32_i8_e32 v121, v134, v8
	v_add_u32_e32 v5, 0x31e8, v88
	s_waitcnt lgkmcnt(0)
	v_dot4c_i32_i8_e32 v125, v128, v8
	v_dot4c_i32_i8_e32 v121, v135, v9
	;; [unrolled: 1-line block ×3, first 2 shown]
	ds_read2_b32 v[8:9], v5 offset1:1
	v_dot4c_i32_i8_e32 v121, v16, v10
	v_add_u32_e32 v5, 0x31f0, v88
	v_dot4c_i32_i8_e32 v121, v17, v11
	ds_read2_b32 v[16:17], v5 offset1:1
	v_dot4c_i32_i8_e32 v121, v122, v12
	v_add_u32_e32 v5, 0x31f8, v88
	s_waitcnt lgkmcnt(1)
	v_dot4c_i32_i8_e32 v125, v8, v10
	v_dot4c_i32_i8_e32 v121, v123, v13
	ds_read2_b32 v[122:123], v5 offset1:1
	v_dot4c_i32_i8_e32 v125, v9, v11
	s_waitcnt lgkmcnt(1)
	v_dot4c_i32_i8_e32 v125, v16, v12
	v_cvt_f32_i32_e32 v11, v138
	v_cvt_f32_i32_e32 v10, v137
	v_dot4c_i32_i8_e32 v125, v17, v13
	v_cvt_f32_i32_e32 v13, v142
	v_cvt_f32_i32_e32 v12, v141
	v_mov_b32_e32 v8, v6
	v_mov_b32_e32 v9, v18
	v_pk_mul_f32 v[8:9], v[2:3], v[8:9] op_sel_hi:[0,1]
	v_mov_b32_e32 v18, v7
	v_dot4c_i32_i8_e32 v121, v126, v14
	s_waitcnt lgkmcnt(0)
	v_dot4c_i32_i8_e32 v125, v122, v14
	v_pk_fma_f32 v[8:9], v[8:9], v[10:11], v[44:45]
	v_pk_mul_f32 v[2:3], v[2:3], v[18:19] op_sel:[1,0]
	v_dot4c_i32_i8_e32 v121, v127, v15
	v_dot4c_i32_i8_e32 v125, v123, v15
	v_pk_fma_f32 v[2:3], v[2:3], v[12:13], v[8:9]
	v_mov_b32_e32 v6, v20
	v_mov_b32_e32 v7, v64
	v_cvt_f32_i32_e32 v9, v146
	v_cvt_f32_i32_e32 v8, v145
	v_pk_mul_f32 v[4:5], v[4:5], v[6:7] op_sel_hi:[0,1]
	v_cvt_f32_i32_e32 v7, v125
	v_cvt_f32_i32_e32 v6, v121
	v_mov_b32_e32 v64, v21
	v_pk_fma_f32 v[2:3], v[4:5], v[8:9], v[2:3]
	v_pk_mul_f32 v[4:5], v[124:125], v[64:65] op_sel_hi:[0,1]
	v_pk_fma_f32 v[44:45], v[4:5], v[6:7], v[2:3]
	s_barrier
.LBB225_5:                              ;   in Loop: Header=BB225_6 Depth=1
	s_add_i32 s14, s14, 4
	s_addk_i32 s19, 0x80
	v_add_u32_e32 v66, 4, v66
	v_add_u32_e32 v67, 4, v67
	v_lshl_add_u64 v[26:27], v[26:27], 0, s[8:9]
	v_lshl_add_u64 v[28:29], v[28:29], 0, s[8:9]
	;; [unrolled: 1-line block ×17, first 2 shown]
	s_cmp_ge_i32 s14, s20
	v_lshl_add_u64 v[62:63], v[62:63], 0, s[8:9]
	s_cbranch_scc1 .LBB225_12
.LBB225_6:                              ; =>This Inner Loop Header: Depth=1
	v_lshl_add_u64 v[2:3], v[26:27], 0, s[16:17]
	global_load_dword v4, v[2:3], off
	v_lshl_add_u64 v[2:3], v[28:29], 0, s[16:17]
	global_load_dword v5, v[2:3], off
	;; [unrolled: 2-line block ×15, first 2 shown]
	v_lshl_add_u64 v[2:3], v[60:61], 0, s[16:17]
	global_load_ushort v19, v[2:3], off
	v_lshl_add_u64 v[2:3], v[62:63], 0, s[16:17]
	global_load_ushort v20, v[2:3], off
	v_lshl_add_u64 v[2:3], v[58:59], 0, s[16:17]
	global_load_dword v2, v[2:3], off
	s_cmp_lt_i32 s19, s15
	s_waitcnt vmcnt(17)
	ds_write_b32 v68, v4
	s_waitcnt vmcnt(16)
	ds_write_b32 v69, v5
	;; [unrolled: 2-line block ×14, first 2 shown]
	s_waitcnt vmcnt(2)
	v_cvt_f32_f16_e32 v3, v19
	s_waitcnt vmcnt(1)
	v_cvt_f32_f16_e32 v4, v20
	ds_write_b32 v82, v18
	s_waitcnt vmcnt(0)
	ds_write_b32 v83, v2
	ds_write_b32 v94, v3
	;; [unrolled: 1-line block ×3, first 2 shown]
	s_cbranch_scc0 .LBB225_5
; %bb.7:                                ;   in Loop: Header=BB225_6 Depth=1
	v_cmp_gt_i32_e64 s[2:3], s5, v67
	s_and_b64 s[22:23], s[0:1], s[2:3]
	s_and_saveexec_b64 s[2:3], s[22:23]
	s_cbranch_execz .LBB225_9
; %bb.8:                                ;   in Loop: Header=BB225_6 Depth=1
	v_add_u32_e32 v2, v93, v67
	v_mad_i64_i32 v[2:3], s[22:23], v2, 36, v[24:25]
	global_load_dword v2, v[2:3], off offset:4
	s_waitcnt vmcnt(0)
	ds_write_b32 v85, v2
.LBB225_9:                              ;   in Loop: Header=BB225_6 Depth=1
	s_or_b64 exec, exec, s[2:3]
	v_cmp_gt_i32_e64 s[2:3], s5, v66
	s_and_b64 s[2:3], s[0:1], s[2:3]
	s_and_b64 s[22:23], vcc, s[2:3]
	s_and_saveexec_b64 s[2:3], s[22:23]
	s_cbranch_execz .LBB225_4
; %bb.10:                               ;   in Loop: Header=BB225_6 Depth=1
	v_add_u32_e32 v2, v93, v66
	v_mad_i64_i32 v[2:3], s[22:23], v2, 36, s[10:11]
	global_load_dword v2, v[2:3], off
	s_waitcnt vmcnt(0)
	v_cvt_f32_f16_e32 v2, v2
	ds_write_b32 v86, v2
	s_branch .LBB225_4
.LBB225_11:
	v_mov_b32_e32 v45, v22
	v_mov_b32_e32 v44, v22
	;; [unrolled: 1-line block ×3, first 2 shown]
.LBB225_12:
	s_mul_i32 s0, s7, s4
	s_waitcnt vmcnt(0)
	v_cmp_gt_i32_e32 vcc, s0, v1
	s_and_saveexec_b64 s[0:1], vcc
	s_cbranch_execz .LBB225_21
; %bb.13:
	v_and_b32_e32 v0, 0x3ff, v0
	v_add_u32_e32 v2, s18, v0
	v_mul_lo_u32 v0, v1, s6
	v_cmp_gt_u32_e32 vcc, s6, v2
	s_and_saveexec_b64 s[0:1], vcc
	s_cbranch_execz .LBB225_15
; %bb.14:
	v_bfe_u32 v1, v22, 16, 1
	s_movk_i32 s2, 0x7fff
	v_add3_u32 v1, v22, v1, s2
	v_lshrrev_b32_e32 v1, 16, v1
	v_mov_b32_e32 v3, 0x7fc0
	v_cmp_o_f32_e32 vcc, v22, v22
	v_add_u32_e32 v4, v0, v2
	v_mov_b32_e32 v5, 0
	v_cndmask_b32_e32 v1, v3, v1, vcc
	v_lshl_add_u64 v[4:5], v[4:5], 1, s[12:13]
	global_store_short v[4:5], v1, off
.LBB225_15:
	s_or_b64 exec, exec, s[0:1]
	v_add_u32_e32 v1, 32, v2
	v_cmp_gt_u32_e32 vcc, s6, v1
	s_and_saveexec_b64 s[0:1], vcc
	s_cbranch_execz .LBB225_17
; %bb.16:
	v_bfe_u32 v3, v23, 16, 1
	s_movk_i32 s2, 0x7fff
	v_add3_u32 v3, v23, v3, s2
	v_lshrrev_b32_e32 v3, 16, v3
	v_mov_b32_e32 v4, 0x7fc0
	v_cmp_o_f32_e32 vcc, v23, v23
	v_mov_b32_e32 v5, 0
	s_nop 0
	v_cndmask_b32_e32 v3, v4, v3, vcc
	v_add_u32_e32 v4, v0, v1
	v_lshl_add_u64 v[4:5], v[4:5], 1, s[12:13]
	global_store_short v[4:5], v3, off
.LBB225_17:
	s_or_b64 exec, exec, s[0:1]
	v_add_u32_e32 v1, 64, v2
	v_cmp_gt_u32_e32 vcc, s6, v1
	s_and_saveexec_b64 s[0:1], vcc
	s_cbranch_execz .LBB225_19
; %bb.18:
	v_bfe_u32 v3, v44, 16, 1
	s_movk_i32 s2, 0x7fff
	v_add3_u32 v3, v44, v3, s2
	v_lshrrev_b32_e32 v3, 16, v3
	v_mov_b32_e32 v4, 0x7fc0
	v_cmp_o_f32_e32 vcc, v44, v44
	v_mov_b32_e32 v5, 0
	s_nop 0
	v_cndmask_b32_e32 v3, v4, v3, vcc
	v_add_u32_e32 v4, v0, v1
	v_lshl_add_u64 v[4:5], v[4:5], 1, s[12:13]
	global_store_short v[4:5], v3, off
.LBB225_19:
	s_or_b64 exec, exec, s[0:1]
	v_add_u32_e32 v1, 0x60, v2
	v_cmp_gt_u32_e32 vcc, s6, v1
	s_and_b64 exec, exec, vcc
	s_cbranch_execz .LBB225_21
; %bb.20:
	v_bfe_u32 v2, v45, 16, 1
	s_movk_i32 s0, 0x7fff
	v_add3_u32 v2, v45, v2, s0
	v_lshrrev_b32_e32 v2, 16, v2
	v_mov_b32_e32 v3, 0x7fc0
	v_cmp_o_f32_e32 vcc, v45, v45
	v_add_u32_e32 v0, v0, v1
	v_mov_b32_e32 v1, 0
	v_cndmask_b32_e32 v2, v3, v2, vcc
	v_lshl_add_u64 v[0:1], v[0:1], 1, s[12:13]
	global_store_short v[0:1], v2, off
.LBB225_21:
	s_endpgm
	.section	.rodata,"a",@progbits
	.p2align	6, 0x0
	.amdhsa_kernel _ZL8moe_q8_0IN3c108BFloat16ELb0EEvPKvS3_PT_PKiS7_S7_iiiiiii
		.amdhsa_group_segment_fixed_size 20160
		.amdhsa_private_segment_fixed_size 0
		.amdhsa_kernarg_size 76
		.amdhsa_user_sgpr_count 2
		.amdhsa_user_sgpr_dispatch_ptr 0
		.amdhsa_user_sgpr_queue_ptr 0
		.amdhsa_user_sgpr_kernarg_segment_ptr 1
		.amdhsa_user_sgpr_dispatch_id 0
		.amdhsa_user_sgpr_kernarg_preload_length 0
		.amdhsa_user_sgpr_kernarg_preload_offset 0
		.amdhsa_user_sgpr_private_segment_size 0
		.amdhsa_uses_dynamic_stack 0
		.amdhsa_enable_private_segment 0
		.amdhsa_system_sgpr_workgroup_id_x 1
		.amdhsa_system_sgpr_workgroup_id_y 1
		.amdhsa_system_sgpr_workgroup_id_z 0
		.amdhsa_system_sgpr_workgroup_info 0
		.amdhsa_system_vgpr_workitem_id 1
		.amdhsa_next_free_vgpr 149
		.amdhsa_next_free_sgpr 24
		.amdhsa_accum_offset 152
		.amdhsa_reserve_vcc 1
		.amdhsa_float_round_mode_32 0
		.amdhsa_float_round_mode_16_64 0
		.amdhsa_float_denorm_mode_32 3
		.amdhsa_float_denorm_mode_16_64 3
		.amdhsa_dx10_clamp 1
		.amdhsa_ieee_mode 1
		.amdhsa_fp16_overflow 0
		.amdhsa_tg_split 0
		.amdhsa_exception_fp_ieee_invalid_op 0
		.amdhsa_exception_fp_denorm_src 0
		.amdhsa_exception_fp_ieee_div_zero 0
		.amdhsa_exception_fp_ieee_overflow 0
		.amdhsa_exception_fp_ieee_underflow 0
		.amdhsa_exception_fp_ieee_inexact 0
		.amdhsa_exception_int_div_zero 0
	.end_amdhsa_kernel
	.section	.text._ZL8moe_q8_0IN3c108BFloat16ELb0EEvPKvS3_PT_PKiS7_S7_iiiiiii,"axG",@progbits,_ZL8moe_q8_0IN3c108BFloat16ELb0EEvPKvS3_PT_PKiS7_S7_iiiiiii,comdat
.Lfunc_end225:
	.size	_ZL8moe_q8_0IN3c108BFloat16ELb0EEvPKvS3_PT_PKiS7_S7_iiiiiii, .Lfunc_end225-_ZL8moe_q8_0IN3c108BFloat16ELb0EEvPKvS3_PT_PKiS7_S7_iiiiiii
                                        ; -- End function
	.section	.AMDGPU.csdata,"",@progbits
; Kernel info:
; codeLenInByte = 4820
; NumSgprs: 30
; NumVgprs: 149
; NumAgprs: 0
; TotalNumVgprs: 149
; ScratchSize: 0
; MemoryBound: 0
; FloatMode: 240
; IeeeMode: 1
; LDSByteSize: 20160 bytes/workgroup (compile time only)
; SGPRBlocks: 3
; VGPRBlocks: 18
; NumSGPRsForWavesPerEU: 30
; NumVGPRsForWavesPerEU: 149
; AccumOffset: 152
; Occupancy: 3
; WaveLimiterHint : 1
; COMPUTE_PGM_RSRC2:SCRATCH_EN: 0
; COMPUTE_PGM_RSRC2:USER_SGPR: 2
; COMPUTE_PGM_RSRC2:TRAP_HANDLER: 0
; COMPUTE_PGM_RSRC2:TGID_X_EN: 1
; COMPUTE_PGM_RSRC2:TGID_Y_EN: 1
; COMPUTE_PGM_RSRC2:TGID_Z_EN: 0
; COMPUTE_PGM_RSRC2:TIDIG_COMP_CNT: 1
; COMPUTE_PGM_RSRC3_GFX90A:ACCUM_OFFSET: 37
; COMPUTE_PGM_RSRC3_GFX90A:TG_SPLIT: 0
	.section	.text._ZL8moe_q8_0IN3c108BFloat16ELb1EEvPKvS3_PT_PKiS7_S7_iiiiiii,"axG",@progbits,_ZL8moe_q8_0IN3c108BFloat16ELb1EEvPKvS3_PT_PKiS7_S7_iiiiiii,comdat
	.globl	_ZL8moe_q8_0IN3c108BFloat16ELb1EEvPKvS3_PT_PKiS7_S7_iiiiiii ; -- Begin function _ZL8moe_q8_0IN3c108BFloat16ELb1EEvPKvS3_PT_PKiS7_S7_iiiiiii
	.p2align	8
	.type	_ZL8moe_q8_0IN3c108BFloat16ELb1EEvPKvS3_PT_PKiS7_S7_iiiiiii,@function
_ZL8moe_q8_0IN3c108BFloat16ELb1EEvPKvS3_PT_PKiS7_S7_iiiiiii: ; @_ZL8moe_q8_0IN3c108BFloat16ELb1EEvPKvS3_PT_PKiS7_S7_iiiiiii
; %bb.0:
	s_load_dwordx4 s[4:7], s[0:1], 0x18
	s_mov_b32 s8, s3
	s_mov_b32 s9, 0
	s_lshl_b64 s[10:11], s[8:9], 2
	s_waitcnt lgkmcnt(0)
	s_add_u32 s6, s6, s10
	s_addc_u32 s7, s7, s11
	s_load_dword s3, s[6:7], 0x0
	s_waitcnt lgkmcnt(0)
	s_cmpk_gt_u32 s3, 0xff
	s_cbranch_scc1 .LBB226_21
; %bb.1:
	s_load_dwordx2 s[6:7], s[0:1], 0x28
	s_waitcnt lgkmcnt(0)
	s_load_dword s7, s[6:7], 0x0
	s_lshl_b32 s6, s8, 3
	s_waitcnt lgkmcnt(0)
	s_cmp_gt_u32 s6, s7
	s_cbranch_scc1 .LBB226_21
; %bb.2:
	v_bfe_u32 v2, v0, 10, 10
	v_mov_b32_e32 v22, 0
	v_mov_b32_e32 v4, s4
	;; [unrolled: 1-line block ×3, first 2 shown]
	v_add_u32_e32 v6, s6, v2
	v_mov_b32_e32 v7, v22
	v_lshl_add_u64 v[4:5], v[6:7], 2, v[4:5]
	global_load_dword v1, v[4:5], off
	s_load_dwordx8 s[4:11], s[0:1], 0x30
	s_load_dwordx2 s[16:17], s[0:1], 0x10
	s_waitcnt lgkmcnt(0)
	s_lshl_b32 s11, s2, 7
	s_mov_b32 s20, 0
	s_cmp_lt_i32 s5, 32
	s_cbranch_scc1 .LBB226_11
; %bb.3:
	s_load_dwordx4 s[12:15], s[0:1], 0x0
	s_ashr_i32 s0, s5, 31
	s_lshr_b32 s0, s0, 27
	s_add_i32 s0, s5, s0
	s_ashr_i32 s21, s0, 5
	s_ashr_i32 s0, s8, 31
	s_lshr_b32 s0, s0, 27
	s_add_i32 s0, s8, s0
	s_ashr_i32 s8, s0, 5
	s_not_b32 s0, s11
	s_mul_i32 s18, s3, s4
	s_add_i32 s3, s0, s6
	v_and_b32_e32 v98, 0x3ff, v0
	v_min_i32_e32 v3, s3, v2
	v_lshlrev_b32_e32 v4, 2, v98
	v_mul_lo_u32 v5, v3, s21
	s_movk_i32 s4, 0x84
	v_mad_u64_u32 v[24:25], s[0:1], v3, s4, v[4:5]
	v_add_u32_e32 v3, 8, v2
	v_min_i32_e32 v3, s3, v3
	v_mul_lo_u32 v8, v3, s21
	v_mad_u64_u32 v[26:27], s[0:1], v3, s4, v[4:5]
	v_add_u32_e32 v3, 16, v2
	v_min_i32_e32 v3, s3, v3
	v_mul_lo_u32 v9, v3, s21
	;; [unrolled: 4-line block ×15, first 2 shown]
	v_mad_u64_u32 v[54:55], s[0:1], v3, s4, v[4:5]
	v_lshrrev_b32_e32 v3, 2, v98
	v_lshl_add_u32 v3, v2, 3, v3
	v_and_b32_e32 v6, 28, v4
	v_min_i32_e32 v4, s3, v3
	v_ashrrev_i32_e32 v25, 31, v4
	v_add_u32_e32 v3, 64, v3
	v_lshrrev_b32_e32 v25, 29, v25
	v_min_i32_e32 v3, s3, v3
	v_mul_lo_u32 v47, v4, s21
	v_add_u32_e32 v25, v4, v25
	v_lshlrev_b32_e32 v51, 4, v4
	v_ashrrev_i32_e32 v4, 31, v3
	v_and_b32_e32 v45, 3, v98
	v_ashrrev_i32_e32 v25, 3, v25
	v_lshrrev_b32_e32 v4, 29, v4
	v_lshlrev_b32_e32 v25, 2, v25
	v_lshlrev_b32_e32 v27, 2, v45
	s_movk_i32 s0, 0x4200
	v_add_u32_e32 v4, v3, v4
	v_add3_u32 v49, v25, v27, s0
	v_mul_lo_u32 v53, v3, s21
	v_ashrrev_i32_e32 v4, 3, v4
	v_lshlrev_b32_e32 v76, 4, v3
	v_and_b32_e32 v3, 31, v98
	v_lshlrev_b32_e32 v25, 7, v2
	v_lshlrev_b32_e32 v4, 2, v4
	v_lshl_or_b32 v3, v3, 2, v25
	v_lshrrev_b32_e32 v99, 3, v98
	v_add3_u32 v55, v4, v27, s0
	v_add_u32_e32 v27, 0x4a40, v3
	v_lshl_add_u32 v3, v2, 2, v98
	v_mov_b32_e32 v4, 0x4e40
	v_lshl_add_u32 v29, v3, 2, v4
	v_lshlrev_b32_e32 v31, 4, v2
	v_lshlrev_b32_e32 v2, 2, v99
	;; [unrolled: 1-line block ×3, first 2 shown]
	v_add3_u32 v35, v3, v2, s0
	v_add_u32_e32 v2, 32, v98
	v_lshrrev_b32_e32 v3, 1, v2
	v_and_b32_e32 v3, 0xfc, v3
	v_lshlrev_b32_e32 v2, 4, v2
	v_add3_u32 v37, v2, v3, s0
	v_add_u32_e32 v2, 64, v98
	v_lshrrev_b32_e32 v3, 1, v2
	v_and_b32_e32 v3, 0xfc, v3
	v_lshlrev_b32_e32 v2, 4, v2
	s_abs_i32 s3, s10
	v_add3_u32 v39, v2, v3, s0
	v_cvt_f32_u32_e32 v3, s3
	v_add_u32_e32 v2, 0x60, v98
	v_lshrrev_b32_e32 v4, 1, v2
	v_and_b32_e32 v4, 0xfc, v4
	v_rcp_iflag_f32_e32 v3, v3
	v_lshlrev_b32_e32 v2, 4, v2
	v_add3_u32 v41, v2, v4, s0
	s_sub_i32 s0, 0, s3
	v_mul_f32_e32 v3, 0x4f7ffffe, v3
	v_cvt_u32_f32_e32 v3, v3
	s_waitcnt vmcnt(0)
	v_sub_u32_e32 v4, 0, v1
	v_max_i32_e32 v4, v1, v4
	v_xor_b32_e32 v2, s10, v1
	v_mul_lo_u32 v43, s0, v3
	v_mul_hi_u32 v43, v3, v43
	v_add_u32_e32 v3, v3, v43
	v_mul_hi_u32 v3, v4, v3
	v_mul_lo_u32 v43, v3, s3
	v_sub_u32_e32 v4, v4, v43
	v_add_u32_e32 v43, 1, v3
	v_cmp_le_u32_e64 s[0:1], s3, v4
	v_ashrrev_i32_e32 v2, 31, v2
	s_mul_i32 s2, s21, s11
	v_cndmask_b32_e64 v3, v3, v43, s[0:1]
	v_subrev_u32_e32 v43, s3, v4
	v_cndmask_b32_e64 v4, v4, v43, s[0:1]
	v_add_u32_e32 v43, 1, v3
	v_cmp_le_u32_e64 s[0:1], s3, v4
	s_mul_hi_i32 s3, s2, 34
	s_mul_i32 s4, s2, 34
	v_cndmask_b32_e64 v3, v3, v43, s[0:1]
	v_xor_b32_e32 v3, v3, v2
	v_sub_u32_e32 v2, v3, v2
	v_cmp_gt_i32_e64 s[0:1], s7, v2
	v_mul_lo_u32 v43, v2, s8
	v_mov_b32_e32 v2, s4
	v_mov_b32_e32 v3, s3
	v_mad_u64_u32 v[2:3], s[22:23], v99, 34, v[2:3]
	v_mov_b32_e32 v7, v22
	v_mad_i64_i32 v[4:5], s[22:23], v5, 34, v[2:3]
	v_lshl_add_u64 v[4:5], v[4:5], 0, v[6:7]
	s_waitcnt lgkmcnt(0)
	v_lshl_add_u64 v[4:5], v[4:5], 0, s[12:13]
	v_lshl_add_u64 v[58:59], v[4:5], 0, 2
	v_mad_i64_i32 v[4:5], s[22:23], v8, 34, v[2:3]
	v_lshl_add_u64 v[4:5], v[4:5], 0, v[6:7]
	v_lshl_add_u64 v[4:5], v[4:5], 0, s[12:13]
	v_lshl_add_u64 v[60:61], v[4:5], 0, 2
	v_mad_i64_i32 v[4:5], s[22:23], v9, 34, v[2:3]
	v_lshl_add_u64 v[4:5], v[4:5], 0, v[6:7]
	;; [unrolled: 4-line block ×13, first 2 shown]
	v_lshl_add_u64 v[4:5], v[4:5], 0, s[12:13]
	v_lshl_add_u64 v[86:87], v[4:5], 0, 2
	v_mad_i64_i32 v[4:5], s[22:23], v21, 34, v[2:3]
	v_mad_i64_i32 v[2:3], s[22:23], v23, 34, v[2:3]
	v_lshl_add_u64 v[2:3], v[2:3], 0, v[6:7]
	v_lshl_add_u64 v[2:3], v[2:3], 0, s[12:13]
	;; [unrolled: 1-line block ×3, first 2 shown]
	v_mad_i64_i32 v[2:3], s[22:23], v47, 34, 0
	v_mad_i64_i32 v[2:3], s[22:23], s2, 34, v[2:3]
	v_mad_u64_u32 v[2:3], s[22:23], v45, 34, v[2:3]
	v_lshl_add_u64 v[92:93], s[12:13], 0, v[2:3]
	v_mad_i64_i32 v[2:3], s[22:23], v53, 34, 0
	v_lshl_add_u64 v[4:5], v[4:5], 0, v[6:7]
	v_mad_i64_i32 v[2:3], s[2:3], s2, 34, v[2:3]
	v_mul_u32_u24_e32 v33, 0x84, v98
	v_lshl_add_u64 v[4:5], v[4:5], 0, s[12:13]
	v_mad_u64_u32 v[2:3], s[2:3], v45, 34, v[2:3]
	s_ashr_i32 s19, s18, 31
	v_lshl_add_u64 v[56:57], s[14:15], 0, v[6:7]
	v_cmp_gt_u32_e32 vcc, 4, v98
	v_lshl_add_u64 v[88:89], v[4:5], 0, 2
	v_lshl_add_u64 v[94:95], s[12:13], 0, v[2:3]
	v_add_u32_e32 v45, v49, v51
	v_add_u32_e32 v47, v55, v76
	;; [unrolled: 1-line block ×17, first 2 shown]
	s_mov_b64 s[12:13], 0x88
	v_add_u32_e32 v111, 0x10b8, v33
	v_add_u32_e32 v112, 0x2120, v33
	v_add_u32_e32 v113, 0x2128, v33
	v_add_u32_e32 v114, 0x2130, v33
	v_add_u32_e32 v115, 0x2138, v33
	v_add_u32_e32 v116, 0x31a0, v33
	v_add_u32_e32 v117, 0x31a8, v33
	v_add_u32_e32 v118, 0x31b0, v33
	v_add_u32_e32 v119, 0x31b8, v33
	s_mov_b32 s4, 0
	v_mov_b32_e32 v23, v22
	v_mov_b32_e32 v76, v22
	;; [unrolled: 1-line block ×3, first 2 shown]
	s_branch .LBB226_6
.LBB226_4:                              ;   in Loop: Header=BB226_6 Depth=1
	s_or_b64 exec, exec, s[2:3]
	s_waitcnt lgkmcnt(0)
	s_barrier
	ds_read_b128 v[2:5], v31 offset:20032
	ds_read2_b32 v[96:97], v33 offset1:1
	ds_read_b128 v[18:21], v25 offset:19008
	ds_read_b128 v[14:17], v25 offset:19024
	;; [unrolled: 1-line block ×4, first 2 shown]
	ds_read2_b32 v[122:123], v33 offset0:2 offset1:3
	v_mov_b32_e32 v120, 0
	s_waitcnt lgkmcnt(4)
	v_dot4c_i32_i8_e32 v120, v96, v18
	v_dot4c_i32_i8_e32 v120, v97, v19
	ds_read2_b32 v[96:97], v33 offset0:4 offset1:5
	ds_read2_b32 v[124:125], v33 offset0:6 offset1:7
	;; [unrolled: 1-line block ×3, first 2 shown]
	s_waitcnt lgkmcnt(3)
	v_dot4c_i32_i8_e32 v120, v122, v20
	v_dot4c_i32_i8_e32 v120, v123, v21
	s_waitcnt lgkmcnt(2)
	v_dot4c_i32_i8_e32 v120, v96, v14
	v_dot4c_i32_i8_e32 v120, v97, v15
	ds_read2_b32 v[122:123], v49 offset1:1
	s_waitcnt lgkmcnt(2)
	v_dot4c_i32_i8_e32 v120, v124, v16
	v_dot4c_i32_i8_e32 v120, v125, v17
	ds_read2_b32 v[124:125], v51 offset1:1
	v_mov_b32_e32 v121, 0
	ds_read2_b32 v[96:97], v41 offset0:2 offset1:3
	s_waitcnt lgkmcnt(2)
	v_dot4c_i32_i8_e32 v121, v122, v18
	v_dot4c_i32_i8_e32 v121, v123, v19
	ds_read2_b32 v[122:123], v53 offset1:1
	ds_read2_b32 v[128:129], v55 offset1:1
	;; [unrolled: 1-line block ×3, first 2 shown]
	s_waitcnt lgkmcnt(4)
	v_dot4c_i32_i8_e32 v121, v124, v20
	v_dot4c_i32_i8_e32 v121, v125, v21
	s_waitcnt lgkmcnt(2)
	v_dot4c_i32_i8_e32 v121, v122, v14
	v_dot4c_i32_i8_e32 v121, v123, v15
	ds_read2_b32 v[122:123], v101 offset1:1
	v_mov_b32_e32 v136, 0
	s_waitcnt lgkmcnt(2)
	v_dot4c_i32_i8_e32 v121, v128, v16
	s_waitcnt lgkmcnt(1)
	v_dot4c_i32_i8_e32 v136, v130, v18
	v_dot4c_i32_i8_e32 v121, v129, v17
	;; [unrolled: 1-line block ×3, first 2 shown]
	ds_read2_b32 v[124:125], v102 offset1:1
	ds_read2_b32 v[128:129], v103 offset1:1
	;; [unrolled: 1-line block ×3, first 2 shown]
	s_waitcnt lgkmcnt(3)
	v_dot4c_i32_i8_e32 v136, v122, v20
	v_dot4c_i32_i8_e32 v136, v123, v21
	ds_read2_b32 v[122:123], v105 offset1:1
	s_waitcnt lgkmcnt(3)
	v_dot4c_i32_i8_e32 v136, v124, v14
	v_dot4c_i32_i8_e32 v136, v125, v15
	v_mov_b32_e32 v137, 0
	s_waitcnt lgkmcnt(2)
	v_dot4c_i32_i8_e32 v136, v128, v16
	s_waitcnt lgkmcnt(1)
	v_dot4c_i32_i8_e32 v137, v130, v18
	v_dot4c_i32_i8_e32 v136, v129, v17
	;; [unrolled: 1-line block ×3, first 2 shown]
	ds_read2_b32 v[18:19], v106 offset1:1
	ds_read2_b32 v[124:125], v107 offset1:1
	ds_read2_b32 v[128:129], v108 offset1:1
	s_waitcnt lgkmcnt(3)
	v_dot4c_i32_i8_e32 v137, v122, v20
	v_dot4c_i32_i8_e32 v137, v123, v21
	s_waitcnt lgkmcnt(2)
	v_dot4c_i32_i8_e32 v137, v18, v14
	v_dot4c_i32_i8_e32 v137, v19, v15
	ds_read2_b32 v[14:15], v33 offset0:10 offset1:11
	v_mov_b32_e32 v138, 0
	s_waitcnt lgkmcnt(2)
	v_dot4c_i32_i8_e32 v137, v124, v16
	v_dot4c_i32_i8_e32 v138, v126, v10
	;; [unrolled: 1-line block ×4, first 2 shown]
	ds_read2_b32 v[16:17], v33 offset0:12 offset1:13
	ds_read2_b32 v[18:19], v33 offset0:14 offset1:15
	ds_read2_b32 v[20:21], v33 offset0:16 offset1:17
	s_waitcnt lgkmcnt(3)
	v_dot4c_i32_i8_e32 v138, v14, v12
	v_dot4c_i32_i8_e32 v138, v15, v13
	ds_read2_b32 v[14:15], v109 offset1:1
	s_waitcnt lgkmcnt(3)
	v_dot4c_i32_i8_e32 v138, v16, v6
	v_dot4c_i32_i8_e32 v138, v17, v7
	v_mov_b32_e32 v139, 0
	s_waitcnt lgkmcnt(2)
	v_dot4c_i32_i8_e32 v138, v18, v8
	v_dot4c_i32_i8_e32 v139, v128, v10
	;; [unrolled: 1-line block ×4, first 2 shown]
	ds_read2_b32 v[16:17], v110 offset1:1
	ds_read2_b32 v[18:19], v111 offset1:1
	;; [unrolled: 1-line block ×3, first 2 shown]
	s_waitcnt lgkmcnt(3)
	v_dot4c_i32_i8_e32 v139, v14, v12
	v_dot4c_i32_i8_e32 v139, v15, v13
	s_waitcnt lgkmcnt(2)
	v_dot4c_i32_i8_e32 v139, v16, v6
	v_dot4c_i32_i8_e32 v139, v17, v7
	v_mov_b32_e32 v140, 0
	s_waitcnt lgkmcnt(1)
	v_dot4c_i32_i8_e32 v139, v18, v8
	s_waitcnt lgkmcnt(0)
	v_dot4c_i32_i8_e32 v140, v122, v10
	v_dot4c_i32_i8_e32 v139, v19, v9
	ds_read2_b32 v[14:15], v113 offset1:1
	v_dot4c_i32_i8_e32 v140, v123, v11
	ds_read2_b32 v[16:17], v114 offset1:1
	ds_read2_b32 v[18:19], v115 offset1:1
	;; [unrolled: 1-line block ×3, first 2 shown]
	v_mov_b32_e32 v141, 0
	v_mov_b32_e32 v142, 0
	s_waitcnt lgkmcnt(3)
	v_dot4c_i32_i8_e32 v140, v14, v12
	v_dot4c_i32_i8_e32 v140, v15, v13
	s_waitcnt lgkmcnt(0)
	v_dot4c_i32_i8_e32 v141, v122, v10
	v_dot4c_i32_i8_e32 v141, v123, v11
	ds_read2_b32 v[10:11], v117 offset1:1
	v_dot4c_i32_i8_e32 v140, v16, v6
	v_dot4c_i32_i8_e32 v140, v17, v7
	;; [unrolled: 1-line block ×3, first 2 shown]
	v_add_u32_e32 v18, 0x10c0, v33
	v_dot4c_i32_i8_e32 v140, v19, v9
	ds_read2_b32 v[14:15], v118 offset1:1
	ds_read2_b32 v[16:17], v119 offset1:1
	;; [unrolled: 1-line block ×3, first 2 shown]
	s_waitcnt lgkmcnt(3)
	v_dot4c_i32_i8_e32 v141, v10, v12
	v_dot4c_i32_i8_e32 v141, v11, v13
	s_waitcnt lgkmcnt(2)
	v_dot4c_i32_i8_e32 v141, v14, v6
	v_dot4c_i32_i8_e32 v141, v15, v7
	;; [unrolled: 3-line block ×3, first 2 shown]
	ds_read_b128 v[8:11], v25 offset:19072
	ds_read_b128 v[12:15], v25 offset:19088
	ds_read2_b32 v[6:7], v39 offset1:1
	ds_read2_b32 v[16:17], v37 offset0:2 offset1:3
	ds_read2_b32 v[122:123], v37 offset1:1
	ds_read2_b32 v[124:125], v35 offset0:2 offset1:3
	ds_read2_b32 v[126:127], v33 offset0:18 offset1:19
	s_waitcnt lgkmcnt(6)
	v_dot4c_i32_i8_e32 v142, v20, v8
	v_dot4c_i32_i8_e32 v142, v21, v9
	ds_read2_b32 v[20:21], v33 offset0:20 offset1:21
	ds_read2_b32 v[128:129], v33 offset0:22 offset1:23
	ds_read2_b32 v[130:131], v33 offset0:24 offset1:25
	v_mov_b32_e32 v143, 0
	s_waitcnt lgkmcnt(3)
	v_dot4c_i32_i8_e32 v142, v126, v10
	v_dot4c_i32_i8_e32 v143, v18, v8
	v_add_u32_e32 v18, 0x10c8, v33
	v_dot4c_i32_i8_e32 v142, v127, v11
	v_dot4c_i32_i8_e32 v143, v19, v9
	ds_read2_b32 v[18:19], v18 offset1:1
	s_waitcnt lgkmcnt(3)
	v_dot4c_i32_i8_e32 v142, v20, v12
	v_dot4c_i32_i8_e32 v142, v21, v13
	s_waitcnt lgkmcnt(2)
	v_dot4c_i32_i8_e32 v142, v128, v14
	v_add_u32_e32 v20, 0x10d0, v33
	v_add_u32_e32 v126, 0x10d8, v33
	;; [unrolled: 1-line block ×3, first 2 shown]
	v_dot4c_i32_i8_e32 v142, v129, v15
	ds_read2_b32 v[20:21], v20 offset1:1
	ds_read2_b32 v[126:127], v126 offset1:1
	ds_read2_b32 v[128:129], v128 offset1:1
	s_waitcnt lgkmcnt(3)
	v_dot4c_i32_i8_e32 v143, v18, v10
	v_dot4c_i32_i8_e32 v143, v19, v11
	s_waitcnt lgkmcnt(2)
	v_dot4c_i32_i8_e32 v143, v20, v12
	v_dot4c_i32_i8_e32 v143, v21, v13
	v_mov_b32_e32 v144, 0
	s_waitcnt lgkmcnt(1)
	v_dot4c_i32_i8_e32 v143, v126, v14
	s_waitcnt lgkmcnt(0)
	v_dot4c_i32_i8_e32 v144, v128, v8
	v_add_u32_e32 v126, 0x2148, v33
	v_add_u32_e32 v128, 0x2150, v33
	;; [unrolled: 1-line block ×4, first 2 shown]
	v_dot4c_i32_i8_e32 v143, v127, v15
	ds_read2_b32 v[18:19], v41 offset1:1
	ds_read2_b32 v[20:21], v39 offset0:2 offset1:3
	v_dot4c_i32_i8_e32 v144, v129, v9
	ds_read2_b32 v[126:127], v126 offset1:1
	ds_read2_b32 v[128:129], v128 offset1:1
	ds_read2_b32 v[132:133], v132 offset1:1
	ds_read2_b32 v[134:135], v134 offset1:1
	v_mov_b32_e32 v145, 0
	v_mov_b32_e32 v146, 0
	;; [unrolled: 1-line block ×3, first 2 shown]
	s_waitcnt lgkmcnt(3)
	v_dot4c_i32_i8_e32 v144, v126, v10
	s_waitcnt lgkmcnt(0)
	v_dot4c_i32_i8_e32 v145, v134, v8
	v_add_u32_e32 v8, 0x31c8, v33
	v_dot4c_i32_i8_e32 v144, v127, v11
	v_dot4c_i32_i8_e32 v145, v135, v9
	ds_read2_b32 v[8:9], v8 offset1:1
	v_dot4c_i32_i8_e32 v144, v128, v12
	v_dot4c_i32_i8_e32 v144, v129, v13
	v_dot4c_i32_i8_e32 v144, v132, v14
	v_add_u32_e32 v126, 0x31d0, v33
	v_add_u32_e32 v128, 0x31d8, v33
	;; [unrolled: 1-line block ×3, first 2 shown]
	v_dot4c_i32_i8_e32 v144, v133, v15
	ds_read2_b32 v[126:127], v126 offset1:1
	ds_read2_b32 v[128:129], v128 offset1:1
	;; [unrolled: 1-line block ×3, first 2 shown]
	s_waitcnt lgkmcnt(3)
	v_dot4c_i32_i8_e32 v145, v8, v10
	v_dot4c_i32_i8_e32 v145, v9, v11
	ds_read_b128 v[8:11], v25 offset:19104
	s_waitcnt lgkmcnt(3)
	v_dot4c_i32_i8_e32 v145, v126, v12
	v_dot4c_i32_i8_e32 v145, v127, v13
	ds_read2_b32 v[126:127], v33 offset0:26 offset1:27
	s_waitcnt lgkmcnt(3)
	v_dot4c_i32_i8_e32 v145, v128, v14
	v_dot4c_i32_i8_e32 v145, v129, v15
	ds_read_b128 v[12:15], v25 offset:19120
	s_waitcnt lgkmcnt(2)
	v_dot4c_i32_i8_e32 v146, v130, v8
	v_dot4c_i32_i8_e32 v146, v131, v9
	ds_read2_b32 v[128:129], v33 offset0:28 offset1:29
	ds_read2_b32 v[130:131], v35 offset1:1
	ds_read2_b32 v[134:135], v33 offset0:30 offset1:31
	s_waitcnt lgkmcnt(4)
	v_dot4c_i32_i8_e32 v146, v126, v10
	v_add_u32_e32 v126, 0x10e8, v33
	v_dot4c_i32_i8_e32 v146, v127, v11
	ds_read2_b32 v[126:127], v126 offset1:1
	s_waitcnt lgkmcnt(3)
	v_dot4c_i32_i8_e32 v146, v128, v12
	v_dot4c_i32_i8_e32 v146, v129, v13
	s_waitcnt lgkmcnt(1)
	v_dot4c_i32_i8_e32 v146, v134, v14
	v_dot4c_i32_i8_e32 v147, v132, v8
	v_add_u32_e32 v128, 0x10f0, v33
	v_add_u32_e32 v132, 0x10f8, v33
	;; [unrolled: 1-line block ×3, first 2 shown]
	v_dot4c_i32_i8_e32 v146, v135, v15
	v_dot4c_i32_i8_e32 v147, v133, v9
	ds_read2_b32 v[128:129], v128 offset1:1
	ds_read2_b32 v[132:133], v132 offset1:1
	;; [unrolled: 1-line block ×3, first 2 shown]
	s_waitcnt lgkmcnt(3)
	v_dot4c_i32_i8_e32 v147, v126, v10
	v_dot4c_i32_i8_e32 v147, v127, v11
	s_waitcnt lgkmcnt(2)
	v_dot4c_i32_i8_e32 v147, v128, v12
	v_cvt_f32_i32_e32 v121, v121
	v_cvt_f32_i32_e32 v120, v120
	v_dot4c_i32_i8_e32 v147, v129, v13
	v_cvt_f32_i32_e32 v129, v139
	v_cvt_f32_i32_e32 v128, v138
	v_mov_b32_e32 v126, v130
	v_mov_b32_e32 v127, v122
	v_pk_mul_f32 v[126:127], v[2:3], v[126:127] op_sel_hi:[0,1]
	v_mov_b32_e32 v122, v131
	v_pk_fma_f32 v[22:23], v[126:127], v[120:121], v[22:23]
	v_pk_mul_f32 v[120:121], v[2:3], v[122:123] op_sel:[1,0]
	s_waitcnt lgkmcnt(1)
	v_dot4c_i32_i8_e32 v147, v132, v14
	v_pk_fma_f32 v[22:23], v[120:121], v[128:129], v[22:23]
	v_cvt_f32_i32_e32 v121, v143
	v_cvt_f32_i32_e32 v120, v142
	v_mov_b32_e32 v122, v124
	v_mov_b32_e32 v123, v16
	v_dot4c_i32_i8_e32 v147, v133, v15
	v_pk_mul_f32 v[122:123], v[4:5], v[122:123] op_sel_hi:[0,1]
	v_pk_fma_f32 v[22:23], v[122:123], v[120:121], v[22:23]
	v_cvt_f32_i32_e32 v120, v146
	v_cvt_f32_i32_e32 v121, v147
	v_mov_b32_e32 v122, v5
	v_mov_b32_e32 v16, v125
	v_pk_mul_f32 v[16:17], v[122:123], v[16:17] op_sel_hi:[0,1]
	v_add_u32_e32 v5, 0x2168, v33
	v_pk_fma_f32 v[22:23], v[16:17], v[120:121], v[22:23]
	ds_read2_b32 v[16:17], v5 offset1:1
	v_mov_b32_e32 v123, 0
	s_waitcnt lgkmcnt(1)
	v_dot4c_i32_i8_e32 v123, v134, v8
	v_add_u32_e32 v120, 0x2170, v33
	v_add_u32_e32 v124, 0x2178, v33
	v_dot4c_i32_i8_e32 v123, v135, v9
	v_add_u32_e32 v5, 0x31e0, v33
	ds_read2_b32 v[120:121], v120 offset1:1
	ds_read2_b32 v[124:125], v124 offset1:1
	;; [unrolled: 1-line block ×3, first 2 shown]
	s_waitcnt lgkmcnt(3)
	v_dot4c_i32_i8_e32 v123, v16, v10
	v_dot4c_i32_i8_e32 v123, v17, v11
	s_waitcnt lgkmcnt(2)
	v_dot4c_i32_i8_e32 v123, v120, v12
	v_dot4c_i32_i8_e32 v123, v121, v13
	s_waitcnt lgkmcnt(1)
	v_dot4c_i32_i8_e32 v123, v124, v14
	v_mov_b32_e32 v124, 0
	s_waitcnt lgkmcnt(0)
	v_dot4c_i32_i8_e32 v124, v126, v8
	v_add_u32_e32 v5, 0x31e8, v33
	v_dot4c_i32_i8_e32 v124, v127, v9
	ds_read2_b32 v[8:9], v5 offset1:1
	v_add_u32_e32 v5, 0x31f0, v33
	ds_read2_b32 v[16:17], v5 offset1:1
	v_add_u32_e32 v5, 0x31f8, v33
	ds_read2_b32 v[120:121], v5 offset1:1
	s_waitcnt lgkmcnt(2)
	v_dot4c_i32_i8_e32 v124, v8, v10
	v_dot4c_i32_i8_e32 v124, v9, v11
	s_waitcnt lgkmcnt(1)
	v_dot4c_i32_i8_e32 v124, v16, v12
	v_cvt_f32_i32_e32 v11, v137
	v_cvt_f32_i32_e32 v10, v136
	v_dot4c_i32_i8_e32 v124, v17, v13
	v_cvt_f32_i32_e32 v13, v141
	v_cvt_f32_i32_e32 v12, v140
	v_mov_b32_e32 v8, v6
	v_mov_b32_e32 v9, v18
	v_pk_mul_f32 v[8:9], v[2:3], v[8:9] op_sel_hi:[0,1]
	v_mov_b32_e32 v18, v7
	s_waitcnt lgkmcnt(0)
	v_dot4c_i32_i8_e32 v124, v120, v14
	v_pk_fma_f32 v[8:9], v[8:9], v[10:11], v[76:77]
	v_pk_mul_f32 v[2:3], v[2:3], v[18:19] op_sel:[1,0]
	v_dot4c_i32_i8_e32 v123, v125, v15
	v_dot4c_i32_i8_e32 v124, v121, v15
	v_pk_fma_f32 v[2:3], v[2:3], v[12:13], v[8:9]
	v_mov_b32_e32 v6, v20
	v_mov_b32_e32 v7, v96
	v_cvt_f32_i32_e32 v9, v145
	v_cvt_f32_i32_e32 v8, v144
	v_pk_mul_f32 v[4:5], v[4:5], v[6:7] op_sel_hi:[0,1]
	v_cvt_f32_i32_e32 v7, v124
	v_cvt_f32_i32_e32 v6, v123
	v_mov_b32_e32 v96, v21
	v_pk_fma_f32 v[2:3], v[4:5], v[8:9], v[2:3]
	v_pk_mul_f32 v[4:5], v[122:123], v[96:97] op_sel_hi:[0,1]
	v_pk_fma_f32 v[76:77], v[4:5], v[6:7], v[2:3]
	s_barrier
.LBB226_5:                              ;   in Loop: Header=BB226_6 Depth=1
	s_add_i32 s4, s4, 4
	s_addk_i32 s20, 0x80
	v_add_u32_e32 v98, 4, v98
	v_add_u32_e32 v99, 4, v99
	v_lshl_add_u64 v[58:59], v[58:59], 0, s[12:13]
	v_lshl_add_u64 v[60:61], v[60:61], 0, s[12:13]
	;; [unrolled: 1-line block ×17, first 2 shown]
	s_cmp_ge_i32 s4, s21
	v_lshl_add_u64 v[94:95], v[94:95], 0, s[12:13]
	s_cbranch_scc1 .LBB226_12
.LBB226_6:                              ; =>This Inner Loop Header: Depth=1
	v_lshl_add_u64 v[2:3], v[58:59], 0, s[18:19]
	global_load_dword v4, v[2:3], off
	v_lshl_add_u64 v[2:3], v[60:61], 0, s[18:19]
	global_load_dword v5, v[2:3], off
	;; [unrolled: 2-line block ×15, first 2 shown]
	v_lshl_add_u64 v[2:3], v[92:93], 0, s[18:19]
	global_load_ushort v19, v[2:3], off
	v_lshl_add_u64 v[2:3], v[94:95], 0, s[18:19]
	global_load_ushort v20, v[2:3], off
	v_lshl_add_u64 v[2:3], v[90:91], 0, s[18:19]
	global_load_dword v2, v[2:3], off
	s_cmp_lt_i32 s20, s5
	s_waitcnt vmcnt(17)
	ds_write_b32 v24, v4
	s_waitcnt vmcnt(16)
	ds_write_b32 v26, v5
	;; [unrolled: 2-line block ×14, first 2 shown]
	s_waitcnt vmcnt(2)
	v_cvt_f32_f16_e32 v3, v19
	s_waitcnt vmcnt(1)
	v_cvt_f32_f16_e32 v4, v20
	ds_write_b32 v52, v18
	s_waitcnt vmcnt(0)
	ds_write_b32 v54, v2
	ds_write_b32 v45, v3
	ds_write_b32 v47, v4
	s_cbranch_scc0 .LBB226_5
; %bb.7:                                ;   in Loop: Header=BB226_6 Depth=1
	v_cmp_gt_i32_e64 s[2:3], s8, v99
	s_and_b64 s[22:23], s[0:1], s[2:3]
	s_and_saveexec_b64 s[2:3], s[22:23]
	s_cbranch_execz .LBB226_9
; %bb.8:                                ;   in Loop: Header=BB226_6 Depth=1
	v_add_u32_e32 v2, v43, v99
	v_mad_i64_i32 v[2:3], s[22:23], v2, 36, v[56:57]
	global_load_dword v2, v[2:3], off offset:4
	s_waitcnt vmcnt(0)
	ds_write_b32 v27, v2
.LBB226_9:                              ;   in Loop: Header=BB226_6 Depth=1
	s_or_b64 exec, exec, s[2:3]
	v_cmp_gt_i32_e64 s[2:3], s8, v98
	s_and_b64 s[2:3], s[0:1], s[2:3]
	s_and_b64 s[22:23], vcc, s[2:3]
	s_and_saveexec_b64 s[2:3], s[22:23]
	s_cbranch_execz .LBB226_4
; %bb.10:                               ;   in Loop: Header=BB226_6 Depth=1
	v_add_u32_e32 v2, v43, v98
	v_mad_i64_i32 v[2:3], s[22:23], v2, 36, s[14:15]
	global_load_dword v2, v[2:3], off
	s_waitcnt vmcnt(0)
	v_cvt_f32_f16_e32 v2, v2
	ds_write_b32 v29, v2
	s_branch .LBB226_4
.LBB226_11:
	v_mov_b32_e32 v77, v22
	v_mov_b32_e32 v76, v22
	;; [unrolled: 1-line block ×3, first 2 shown]
.LBB226_12:
	s_mul_i32 s0, s10, s7
	s_waitcnt vmcnt(0)
	v_cmp_gt_i32_e32 vcc, s0, v1
	s_and_saveexec_b64 s[0:1], vcc
	s_cbranch_execz .LBB226_21
; %bb.13:
	v_and_b32_e32 v0, 0x3ff, v0
	v_add_u32_e32 v2, s11, v0
	v_mul_lo_u32 v0, v1, s9
	v_cmp_gt_u32_e32 vcc, s9, v2
	s_and_saveexec_b64 s[0:1], vcc
	s_cbranch_execz .LBB226_15
; %bb.14:
	v_bfe_u32 v1, v22, 16, 1
	s_movk_i32 s2, 0x7fff
	v_add3_u32 v1, v22, v1, s2
	v_lshrrev_b32_e32 v1, 16, v1
	v_mov_b32_e32 v3, 0x7fc0
	v_cmp_o_f32_e32 vcc, v22, v22
	v_add_u32_e32 v4, v0, v2
	v_mov_b32_e32 v5, 0
	v_cndmask_b32_e32 v1, v3, v1, vcc
	v_lshl_add_u64 v[4:5], v[4:5], 1, s[16:17]
	global_store_short v[4:5], v1, off
.LBB226_15:
	s_or_b64 exec, exec, s[0:1]
	v_add_u32_e32 v1, 32, v2
	v_cmp_gt_u32_e32 vcc, s9, v1
	s_and_saveexec_b64 s[0:1], vcc
	s_cbranch_execz .LBB226_17
; %bb.16:
	v_bfe_u32 v3, v23, 16, 1
	s_movk_i32 s2, 0x7fff
	v_add3_u32 v3, v23, v3, s2
	v_lshrrev_b32_e32 v3, 16, v3
	v_mov_b32_e32 v4, 0x7fc0
	v_cmp_o_f32_e32 vcc, v23, v23
	v_mov_b32_e32 v5, 0
	s_nop 0
	v_cndmask_b32_e32 v3, v4, v3, vcc
	v_add_u32_e32 v4, v0, v1
	v_lshl_add_u64 v[4:5], v[4:5], 1, s[16:17]
	global_store_short v[4:5], v3, off
.LBB226_17:
	s_or_b64 exec, exec, s[0:1]
	v_add_u32_e32 v1, 64, v2
	v_cmp_gt_u32_e32 vcc, s9, v1
	s_and_saveexec_b64 s[0:1], vcc
	s_cbranch_execz .LBB226_19
; %bb.18:
	v_bfe_u32 v3, v76, 16, 1
	s_movk_i32 s2, 0x7fff
	v_add3_u32 v3, v76, v3, s2
	v_lshrrev_b32_e32 v3, 16, v3
	v_mov_b32_e32 v4, 0x7fc0
	v_cmp_o_f32_e32 vcc, v76, v76
	v_mov_b32_e32 v5, 0
	s_nop 0
	v_cndmask_b32_e32 v3, v4, v3, vcc
	v_add_u32_e32 v4, v0, v1
	v_lshl_add_u64 v[4:5], v[4:5], 1, s[16:17]
	global_store_short v[4:5], v3, off
.LBB226_19:
	s_or_b64 exec, exec, s[0:1]
	v_add_u32_e32 v1, 0x60, v2
	v_cmp_gt_u32_e32 vcc, s9, v1
	s_and_b64 exec, exec, vcc
	s_cbranch_execz .LBB226_21
; %bb.20:
	v_bfe_u32 v2, v77, 16, 1
	s_movk_i32 s0, 0x7fff
	v_add3_u32 v2, v77, v2, s0
	v_lshrrev_b32_e32 v2, 16, v2
	v_mov_b32_e32 v3, 0x7fc0
	v_cmp_o_f32_e32 vcc, v77, v77
	v_add_u32_e32 v0, v0, v1
	v_mov_b32_e32 v1, 0
	v_cndmask_b32_e32 v2, v3, v2, vcc
	v_lshl_add_u64 v[0:1], v[0:1], 1, s[16:17]
	global_store_short v[0:1], v2, off
.LBB226_21:
	s_endpgm
	.section	.rodata,"a",@progbits
	.p2align	6, 0x0
	.amdhsa_kernel _ZL8moe_q8_0IN3c108BFloat16ELb1EEvPKvS3_PT_PKiS7_S7_iiiiiii
		.amdhsa_group_segment_fixed_size 20160
		.amdhsa_private_segment_fixed_size 0
		.amdhsa_kernarg_size 76
		.amdhsa_user_sgpr_count 2
		.amdhsa_user_sgpr_dispatch_ptr 0
		.amdhsa_user_sgpr_queue_ptr 0
		.amdhsa_user_sgpr_kernarg_segment_ptr 1
		.amdhsa_user_sgpr_dispatch_id 0
		.amdhsa_user_sgpr_kernarg_preload_length 0
		.amdhsa_user_sgpr_kernarg_preload_offset 0
		.amdhsa_user_sgpr_private_segment_size 0
		.amdhsa_uses_dynamic_stack 0
		.amdhsa_enable_private_segment 0
		.amdhsa_system_sgpr_workgroup_id_x 1
		.amdhsa_system_sgpr_workgroup_id_y 1
		.amdhsa_system_sgpr_workgroup_id_z 0
		.amdhsa_system_sgpr_workgroup_info 0
		.amdhsa_system_vgpr_workitem_id 1
		.amdhsa_next_free_vgpr 148
		.amdhsa_next_free_sgpr 24
		.amdhsa_accum_offset 148
		.amdhsa_reserve_vcc 1
		.amdhsa_float_round_mode_32 0
		.amdhsa_float_round_mode_16_64 0
		.amdhsa_float_denorm_mode_32 3
		.amdhsa_float_denorm_mode_16_64 3
		.amdhsa_dx10_clamp 1
		.amdhsa_ieee_mode 1
		.amdhsa_fp16_overflow 0
		.amdhsa_tg_split 0
		.amdhsa_exception_fp_ieee_invalid_op 0
		.amdhsa_exception_fp_denorm_src 0
		.amdhsa_exception_fp_ieee_div_zero 0
		.amdhsa_exception_fp_ieee_overflow 0
		.amdhsa_exception_fp_ieee_underflow 0
		.amdhsa_exception_fp_ieee_inexact 0
		.amdhsa_exception_int_div_zero 0
	.end_amdhsa_kernel
	.section	.text._ZL8moe_q8_0IN3c108BFloat16ELb1EEvPKvS3_PT_PKiS7_S7_iiiiiii,"axG",@progbits,_ZL8moe_q8_0IN3c108BFloat16ELb1EEvPKvS3_PT_PKiS7_S7_iiiiiii,comdat
.Lfunc_end226:
	.size	_ZL8moe_q8_0IN3c108BFloat16ELb1EEvPKvS3_PT_PKiS7_S7_iiiiiii, .Lfunc_end226-_ZL8moe_q8_0IN3c108BFloat16ELb1EEvPKvS3_PT_PKiS7_S7_iiiiiii
                                        ; -- End function
	.section	.AMDGPU.csdata,"",@progbits
; Kernel info:
; codeLenInByte = 5052
; NumSgprs: 30
; NumVgprs: 148
; NumAgprs: 0
; TotalNumVgprs: 148
; ScratchSize: 0
; MemoryBound: 0
; FloatMode: 240
; IeeeMode: 1
; LDSByteSize: 20160 bytes/workgroup (compile time only)
; SGPRBlocks: 3
; VGPRBlocks: 18
; NumSGPRsForWavesPerEU: 30
; NumVGPRsForWavesPerEU: 148
; AccumOffset: 148
; Occupancy: 3
; WaveLimiterHint : 1
; COMPUTE_PGM_RSRC2:SCRATCH_EN: 0
; COMPUTE_PGM_RSRC2:USER_SGPR: 2
; COMPUTE_PGM_RSRC2:TRAP_HANDLER: 0
; COMPUTE_PGM_RSRC2:TGID_X_EN: 1
; COMPUTE_PGM_RSRC2:TGID_Y_EN: 1
; COMPUTE_PGM_RSRC2:TGID_Z_EN: 0
; COMPUTE_PGM_RSRC2:TIDIG_COMP_CNT: 1
; COMPUTE_PGM_RSRC3_GFX90A:ACCUM_OFFSET: 36
; COMPUTE_PGM_RSRC3_GFX90A:TG_SPLIT: 0
	.section	.text._ZL8moe_q2_KIN3c108BFloat16ELb0EEvPKvS3_PT_PKiS7_S7_iiiiiii,"axG",@progbits,_ZL8moe_q2_KIN3c108BFloat16ELb0EEvPKvS3_PT_PKiS7_S7_iiiiiii,comdat
	.globl	_ZL8moe_q2_KIN3c108BFloat16ELb0EEvPKvS3_PT_PKiS7_S7_iiiiiii ; -- Begin function _ZL8moe_q2_KIN3c108BFloat16ELb0EEvPKvS3_PT_PKiS7_S7_iiiiiii
	.p2align	8
	.type	_ZL8moe_q2_KIN3c108BFloat16ELb0EEvPKvS3_PT_PKiS7_S7_iiiiiii,@function
_ZL8moe_q2_KIN3c108BFloat16ELb0EEvPKvS3_PT_PKiS7_S7_iiiiiii: ; @_ZL8moe_q2_KIN3c108BFloat16ELb0EEvPKvS3_PT_PKiS7_S7_iiiiiii
; %bb.0:
	s_load_dwordx4 s[4:7], s[0:1], 0x18
	s_mov_b32 s8, s3
	s_mov_b32 s9, 0
	s_lshl_b64 s[10:11], s[8:9], 2
	s_waitcnt lgkmcnt(0)
	s_add_u32 s6, s6, s10
	s_addc_u32 s7, s7, s11
	s_load_dword s3, s[6:7], 0x0
	s_waitcnt lgkmcnt(0)
	s_cmpk_gt_u32 s3, 0xff
	s_cbranch_scc1 .LBB227_47
; %bb.1:
	s_load_dwordx2 s[6:7], s[0:1], 0x28
	s_waitcnt lgkmcnt(0)
	s_load_dword s7, s[6:7], 0x0
	s_lshl_b32 s6, s8, 3
	s_waitcnt lgkmcnt(0)
	s_cmp_gt_u32 s6, s7
	s_cbranch_scc1 .LBB227_47
; %bb.2:
	v_bfe_u32 v2, v0, 10, 10
	v_mov_b32_e32 v4, s4
	v_mov_b32_e32 v5, s5
	v_add_u32_e32 v10, s6, v2
	v_mov_b32_e32 v11, 0
	v_lshl_add_u64 v[4:5], v[10:11], 2, v[4:5]
	global_load_dword v1, v[4:5], off
	s_load_dwordx2 s[12:13], s[0:1], 0x10
	s_load_dwordx2 s[14:15], s[0:1], 0x30
	s_load_dwordx4 s[4:7], s[0:1], 0x3c
	s_mov_b32 s16, 0
	s_lshl_b32 s24, s2, 7
	s_mov_b32 s17, s16
	s_waitcnt lgkmcnt(0)
	s_cmpk_lt_i32 s15, 0x100
	v_mov_b64_e32 v[64:65], s[16:17]
	v_mov_b64_e32 v[66:67], s[16:17]
	s_cbranch_scc1 .LBB227_38
; %bb.3:
	s_load_dwordx4 s[8:11], s[0:1], 0x0
	s_ashr_i32 s0, s15, 31
	s_lshr_b32 s0, s0, 24
	s_add_i32 s0, s15, s0
	s_ashr_i32 s25, s0, 8
	s_ashr_i32 s0, s5, 31
	s_lshr_b32 s0, s0, 27
	s_add_i32 s0, s5, s0
	s_mul_i32 s3, s3, s14
	s_ashr_i32 s5, s0, 5
	s_ashr_i32 s0, s3, 31
	s_waitcnt lgkmcnt(0)
	s_add_u32 s1, s8, s3
	s_mul_i32 s2, s25, s24
	s_addc_u32 s0, s9, s0
	s_mul_hi_i32 s3, s2, 0x54
	s_mulk_i32 s2, 0x54
	s_add_u32 s26, s1, s2
	s_addc_u32 s27, s0, s3
	s_lshl_b32 s1, s25, 3
	v_mov_b32_e32 v4, s1
	v_mad_i32_i24 v16, s25, v2, v4
	v_add_u32_e32 v18, s1, v16
	v_add_u32_e32 v20, s1, v18
	;; [unrolled: 1-line block ×9, first 2 shown]
	v_and_b32_e32 v13, 0x3ff, v0
	v_add_u32_e32 v36, s1, v34
	v_add_u32_e32 v38, s1, v36
	v_lshlrev_b32_e32 v6, 4, v2
	v_lshrrev_b32_e32 v4, 1, v13
	v_add_u32_e32 v40, s1, v38
	v_and_b32_e32 v46, 1, v13
	v_add_u32_e32 v4, v4, v6
	v_add_u32_e32 v42, s1, v40
	v_and_b32_e32 v5, 0x7f, v4
	v_lshlrev_b32_e32 v7, 2, v46
	v_lshrrev_b32_e32 v4, 2, v4
	v_add_u32_e32 v44, s1, v42
	v_mul_i32_i24_e32 v48, s25, v5
	v_lshl_or_b32 v5, v5, 3, v7
	v_and_b32_e32 v4, 28, v4
	s_movk_i32 s1, 0x5280
	v_lshlrev_b32_e32 v7, 2, v2
	v_lshrrev_b32_e32 v49, 3, v13
	v_add3_u32 v47, v5, v4, s1
	v_add_u32_e32 v4, v49, v7
	s_lshl_b32 s3, s25, 5
	v_and_b32_e32 v5, 7, v13
	v_add_u32_e32 v51, 32, v4
	v_mov_b32_e32 v55, s3
	v_cmp_lt_u32_e32 vcc, 3, v5
	v_mul_i32_i24_e32 v54, s25, v4
	v_and_b32_e32 v8, 0x1ffc, v4
	v_lshlrev_b32_e32 v5, 2, v5
	s_movk_i32 s2, 0x4200
	v_lshlrev_b32_e32 v9, 5, v4
	v_mad_i32_i24 v56, s25, v4, v55
	v_and_b32_e32 v55, 0x3ffc, v51
	v_lshlrev_b32_e32 v65, 5, v51
	v_add_u32_e32 v51, 64, v4
	v_add_u32_e32 v4, 0x60, v4
	v_lshlrev_b32_e32 v3, 2, v13
	s_movk_i32 s0, 0x84
	v_add3_u32 v64, v55, v5, s2
	v_and_b32_e32 v55, 0x3ffc, v51
	v_lshlrev_b32_e32 v96, 5, v51
	v_and_b32_e32 v51, 0x3ffc, v4
	v_mul_i32_i24_e32 v14, s25, v2
	v_mad_u32_u24 v15, v2, s0, v3
	v_add3_u32 v97, v51, v5, s2
	v_and_b32_e32 v51, 31, v13
	v_lshlrev_b32_e32 v2, 7, v2
	v_and_b32_e32 v10, 60, v3
	v_and_b32_e32 v52, 12, v3
	v_add3_u32 v8, v8, v5, s2
	v_add3_u32 v70, v55, v5, s2
	v_lshlrev_b32_e32 v98, 5, v4
	v_and_b32_e32 v4, 28, v3
	v_mov_b32_e32 v5, v11
	v_lshl_or_b32 v3, v51, 2, v2
	v_lshrrev_b32_e32 v12, 4, v13
	v_lshl_add_u64 v[62:63], s[10:11], 0, v[4:5]
	v_add_u32_e32 v51, 0x56a0, v3
	v_or_b32_e32 v3, v7, v13
	v_mov_b32_e32 v4, 0x5aa0
	v_lshl_add_u32 v55, v3, 2, v4
	v_lshlrev_b32_e32 v3, 3, v13
	v_lshlrev_b32_e32 v59, 2, v12
	v_add_u32_e32 v4, 32, v13
	v_add3_u32 v59, v59, v3, s1
	v_mov_b32_e32 v3, 0x1080
	v_mad_u32_u24 v61, v13, s0, v3
	v_lshrrev_b32_e32 v3, 2, v4
	v_lshlrev_b32_e32 v5, 3, v4
	v_and_b32_e32 v3, 0x7c, v3
	v_add_u32_e32 v7, 64, v13
	v_add3_u32 v71, v5, v3, s1
	v_mov_b32_e32 v3, 0x2100
	v_mad_u32_u24 v72, v13, s0, v3
	v_lshrrev_b32_e32 v3, 2, v7
	s_abs_i32 s2, s7
	v_lshlrev_b32_e32 v66, 3, v7
	v_and_b32_e32 v3, 0x7c, v3
	v_cvt_f32_u32_e32 v5, s2
	v_add_u32_e32 v67, 0x60, v13
	v_add3_u32 v73, v66, v3, s1
	v_mov_b32_e32 v3, 0x3180
	v_mad_u32_u24 v74, v13, s0, v3
	v_lshrrev_b32_e32 v3, 2, v67
	v_lshlrev_b32_e32 v68, 3, v67
	v_and_b32_e32 v3, 0x7c, v3
	v_add3_u32 v75, v68, v3, s1
	v_rcp_iflag_f32_e32 v3, v5
	s_sub_i32 s0, 0, s2
	s_waitcnt vmcnt(0)
	v_sub_u32_e32 v66, 0, v1
	v_max_i32_e32 v66, v1, v66
	v_mul_f32_e32 v3, 0x4f7ffffe, v3
	v_cvt_u32_f32_e32 v3, v3
	v_xor_b32_e32 v5, s7, v1
	s_add_u32 s8, s10, 0x90
	v_ashrrev_i32_e32 v5, 31, v5
	v_mul_lo_u32 v68, s0, v3
	v_mul_hi_u32 v68, v3, v68
	v_add_u32_e32 v3, v3, v68
	v_mul_hi_u32 v3, v66, v3
	v_mul_lo_u32 v68, v3, s2
	v_sub_u32_e32 v66, v66, v68
	v_add_u32_e32 v68, 1, v3
	v_cmp_le_u32_e64 s[0:1], s2, v66
	s_addc_u32 s9, s11, 0
	s_add_u32 s18, s10, 0x120
	v_cndmask_b32_e64 v3, v3, v68, s[0:1]
	v_subrev_u32_e32 v68, s2, v66
	v_cndmask_b32_e64 v66, v66, v68, s[0:1]
	v_add_u32_e32 v68, 1, v3
	v_cmp_le_u32_e64 s[0:1], s2, v66
	s_addc_u32 s19, s11, 0
	v_add_u32_e32 v58, s3, v56
	v_cndmask_b32_e64 v3, v3, v68, s[0:1]
	v_xor_b32_e32 v3, v3, v5
	v_sub_u32_e32 v3, v3, v5
	v_lshrrev_b32_e32 v78, 3, v67
	v_mul_lo_u32 v68, v3, s5
	s_add_u32 s20, s10, 0x1b0
	v_and_b32_e32 v79, 0x1fc, v67
	v_lshlrev_b32_e32 v80, 5, v13
	v_and_b32_e32 v81, 0x1fc, v7
	v_and_b32_e32 v82, 0x1fc, v4
	;; [unrolled: 1-line block ×3, first 2 shown]
	v_mov_b64_e32 v[66:67], s[16:17]
	s_movk_i32 s14, 0x54
	v_add_u32_e32 v17, 0x420, v15
	v_add_u32_e32 v19, 0x840, v15
	;; [unrolled: 1-line block ×15, first 2 shown]
	v_cndmask_b32_e64 v50, 0, 1, vcc
	v_mov_b32_e32 v53, v11
	v_add_u32_e32 v60, s3, v58
	v_cmp_gt_u32_e32 vcc, 4, v13
	v_mul_u32_u24_e32 v57, 0x84, v13
	v_lshrrev_b32_e32 v76, 3, v4
	v_lshrrev_b32_e32 v77, 3, v7
	v_cmp_gt_i32_e64 s[0:1], s4, v3
	v_ashrrev_i32_e32 v69, 31, v68
	s_addc_u32 s21, s11, 0
	v_add_u32_e32 v84, 0x56a0, v2
	v_add_u32_e32 v85, 0x5aa0, v6
	;; [unrolled: 1-line block ×14, first 2 shown]
	s_mov_b32 s17, 0x1010101
	v_mov_b32_e32 v98, 4
	v_mov_b32_e32 v99, 15
	v_mov_b64_e32 v[64:65], v[66:67]
	s_branch .LBB227_5
.LBB227_4:                              ;   in Loop: Header=BB227_5 Depth=1
	s_add_i32 s16, s16, 2
	s_cmp_ge_i32 s16, s25
	s_cbranch_scc1 .LBB227_38
.LBB227_5:                              ; =>This Loop Header: Depth=1
                                        ;     Child Loop BB227_12 Depth 2
                                        ;     Child Loop BB227_20 Depth 2
	;; [unrolled: 1-line block ×4, first 2 shown]
	s_mul_i32 s2, s16, 0x54
	s_mul_hi_u32 s3, s16, 0x54
	s_add_u32 s2, s26, s2
	s_addc_u32 s3, s27, s3
	v_mov_b64_e32 v[2:3], s[2:3]
	v_mad_u64_u32 v[4:5], s[2:3], v12, s14, v[2:3]
	v_lshl_add_u64 v[4:5], v[4:5], 0, v[10:11]
	v_lshl_add_u64 v[4:5], v[4:5], 0, 16
	v_mad_u64_u32 v[6:7], s[2:3], v14, s14, v[4:5]
	v_mad_u64_u32 v[8:9], s[2:3], v16, s14, v[4:5]
	;; [unrolled: 1-line block ×8, first 2 shown]
	global_load_dword v70, v[6:7], off
	global_load_dword v112, v[8:9], off
	;; [unrolled: 1-line block ×8, first 2 shown]
	v_mad_u64_u32 v[6:7], s[2:3], v30, s14, v[4:5]
	v_mad_u64_u32 v[8:9], s[2:3], v32, s14, v[4:5]
	;; [unrolled: 1-line block ×8, first 2 shown]
	global_load_dword v110, v[6:7], off
	global_load_dword v111, v[8:9], off
	;; [unrolled: 1-line block ×8, first 2 shown]
	v_mad_u64_u32 v[4:5], s[2:3], v48, s14, v[2:3]
	v_mad_u64_u32 v[2:3], s[2:3], v50, s14, v[2:3]
	v_lshl_add_u64 v[2:3], v[2:3], 0, v[52:53]
	v_mad_u64_u32 v[4:5], s[2:3], v46, s14, v[4:5]
	v_mad_u64_u32 v[6:7], s[2:3], v54, s14, v[2:3]
	;; [unrolled: 1-line block ×5, first 2 shown]
	global_load_dword v102, v[4:5], off offset:80
	global_load_dword v103, v[6:7], off
	global_load_dword v104, v[8:9], off
	global_load_dword v105, v[100:101], off
	s_lshl_b32 s29, s16, 8
	global_load_dword v2, v[2:3], off
	s_cmp_lt_i32 s29, s15
	s_waitcnt vmcnt(20)
	ds_write_b32 v15, v70
	s_waitcnt vmcnt(19)
	ds_write_b32 v17, v112
	;; [unrolled: 2-line block ×21, first 2 shown]
	s_cbranch_scc0 .LBB227_4
; %bb.6:                                ;   in Loop: Header=BB227_5 Depth=1
	s_lshl_b32 s28, s16, 3
	v_add_u32_e32 v2, s28, v49
	v_cmp_gt_i32_e64 s[2:3], s5, v2
	s_and_b64 s[22:23], s[0:1], s[2:3]
	s_and_saveexec_b64 s[2:3], s[22:23]
	s_cbranch_execz .LBB227_8
; %bb.7:                                ;   in Loop: Header=BB227_5 Depth=1
	v_add_u32_e32 v2, v68, v2
	v_mad_i64_i32 v[2:3], s[22:23], v2, 36, v[62:63]
	global_load_dword v2, v[2:3], off offset:4
	s_waitcnt vmcnt(0)
	ds_write_b32 v51, v2
.LBB227_8:                              ;   in Loop: Header=BB227_5 Depth=1
	s_or_b64 exec, exec, s[2:3]
	s_and_saveexec_b64 s[22:23], vcc
	s_cbranch_execz .LBB227_11
; %bb.9:                                ;   in Loop: Header=BB227_5 Depth=1
	v_or_b32_e32 v2, s28, v13
	v_cmp_gt_i32_e64 s[2:3], s5, v2
	s_and_b64 s[2:3], s[0:1], s[2:3]
	s_and_b64 exec, exec, s[2:3]
	s_cbranch_execz .LBB227_11
; %bb.10:                               ;   in Loop: Header=BB227_5 Depth=1
	v_add_u32_e32 v2, v68, v2
	v_mad_i64_i32 v[2:3], s[2:3], v2, 36, s[10:11]
	global_load_dword v2, v[2:3], off
	s_waitcnt vmcnt(0)
	v_cvt_f32_f16_e32 v2, v2
	ds_write_b32 v55, v2
.LBB227_11:                             ;   in Loop: Header=BB227_5 Depth=1
	s_or_b64 exec, exec, s[22:23]
	s_mov_b32 s2, 0
	s_mov_b32 s3, -2
	v_mov_b32_e32 v100, v85
	v_mov_b32_e32 v101, v84
	s_waitcnt lgkmcnt(0)
	s_barrier
.LBB227_12:                             ;   Parent Loop BB227_5 Depth=1
                                        ; =>  This Inner Loop Header: Depth=2
	s_and_b32 s23, s2, -16
	s_add_i32 s22, s3, 2
	v_add_u32_e32 v102, s23, v80
	s_and_b32 s23, s22, 0x3ffffff8
	s_lshr_b32 s30, s22, 2
	s_lshl_b32 s23, s23, 2
	s_and_b32 s30, s30, 0x3ffffffc
	v_add3_u32 v114, v83, s3, v102
	v_add3_u32 v118, v82, s3, v102
	;; [unrolled: 1-line block ×4, first 2 shown]
	v_add_u32_e32 v108, s23, v57
	v_add_u32_e32 v115, s30, v59
	;; [unrolled: 1-line block ×8, first 2 shown]
	ds_read_b32 v70, v100
	ds_read_b128 v[6:9], v101
	ds_read_b128 v[2:5], v101 offset:16
	ds_read2_b32 v[102:103], v108 offset1:1
	ds_read2_b32 v[104:105], v108 offset0:2 offset1:3
	ds_read2_b32 v[106:107], v108 offset0:4 offset1:5
	;; [unrolled: 1-line block ×3, first 2 shown]
	ds_read2_b32 v[110:111], v116 offset1:1
	ds_read2_b32 v[112:113], v116 offset0:2 offset1:3
	ds_read_b32 v148, v115
	ds_read_u16 v149, v114 offset:16898
	ds_read2_b32 v[114:115], v116 offset0:4 offset1:5
	ds_read2_b32 v[116:117], v116 offset0:6 offset1:7
	ds_read_b32 v150, v119
	ds_read_u16 v151, v118 offset:17922
	ds_read2_b32 v[118:119], v124 offset1:1
	ds_read2_b32 v[120:121], v124 offset0:2 offset1:3
	ds_read2_b32 v[122:123], v124 offset0:4 offset1:5
	;; [unrolled: 1-line block ×3, first 2 shown]
	ds_read2_b32 v[126:127], v132 offset1:1
	ds_read2_b32 v[128:129], v132 offset0:2 offset1:3
	ds_read_b32 v152, v131
	ds_read_u16 v153, v130 offset:18946
	ds_read2_b32 v[130:131], v132 offset0:4 offset1:5
	ds_read2_b32 v[132:133], v132 offset0:6 offset1:7
	ds_read_b32 v147, v147
	ds_read_u16 v146, v146 offset:19970
	s_waitcnt lgkmcnt(14)
	v_ashrrev_i32_e32 v154, s22, v102
	v_ashrrev_i32_e32 v155, s22, v103
	;; [unrolled: 1-line block ×8, first 2 shown]
	v_bfe_u32 v162, v149, 4, 4
	v_lshrrev_b32_sdwa v164, v98, v149 dst_sel:DWORD dst_unused:UNUSED_PAD src0_sel:DWORD src1_sel:BYTE_1
	s_waitcnt lgkmcnt(12)
	v_bfe_u32 v165, v151, 4, 4
	v_lshrrev_b32_sdwa v167, v98, v151 dst_sel:DWORD dst_unused:UNUSED_PAD src0_sel:DWORD src1_sel:BYTE_1
	v_cvt_f32_f16_e32 v102, v148
	v_cvt_f32_f16_sdwa v104, v148 dst_sel:DWORD dst_unused:UNUSED_PAD src0_sel:WORD_1
	s_waitcnt lgkmcnt(4)
	v_bfe_u32 v148, v153, 4, 4
	s_waitcnt lgkmcnt(0)
	v_bfe_u32 v169, v146, 4, 4
	v_mov_b32_e32 v135, 0
	v_mov_b32_e32 v138, 0
	;; [unrolled: 1-line block ×4, first 2 shown]
	v_cvt_f32_f16_e32 v107, v147
	v_cvt_f32_f16_e32 v106, v152
	v_cvt_f32_f16_sdwa v109, v147 dst_sel:DWORD dst_unused:UNUSED_PAD src0_sel:WORD_1
	v_cvt_f32_f16_sdwa v108, v152 dst_sel:DWORD dst_unused:UNUSED_PAD src0_sel:WORD_1
	v_and_b32_e32 v147, 0x3030303, v154
	v_and_b32_e32 v152, 0x3030303, v155
	;; [unrolled: 1-line block ×8, first 2 shown]
	v_mul_lo_u32 v160, v162, s17
	v_mul_lo_u32 v161, v164, s17
	;; [unrolled: 1-line block ×6, first 2 shown]
	v_ashrrev_i32_e32 v110, s22, v110
	v_ashrrev_i32_e32 v126, s22, v126
	v_dot4c_i32_i8_e32 v135, v160, v6
	v_dot4c_i32_i8_e32 v138, v162, v6
	;; [unrolled: 1-line block ×4, first 2 shown]
	v_mov_b32_e32 v137, 0
	v_mov_b32_e32 v143, 0
	v_ashrrev_i32_e32 v111, s22, v111
	v_ashrrev_i32_e32 v114, s22, v114
	;; [unrolled: 1-line block ×5, first 2 shown]
	v_and_b32_e32 v110, 0x3030303, v110
	v_and_b32_e32 v126, 0x3030303, v126
	v_dot4c_i32_i8_e32 v135, v160, v7
	v_dot4c_i32_i8_e32 v138, v162, v7
	v_dot4c_i32_i8_e32 v141, v148, v7
	v_dot4c_i32_i8_e32 v144, v167, v7
	v_mov_b32_e32 v134, 0
	v_mov_b32_e32 v139, 0
	;; [unrolled: 1-line block ×4, first 2 shown]
	v_ashrrev_i32_e32 v112, s22, v112
	v_ashrrev_i32_e32 v115, s22, v115
	;; [unrolled: 1-line block ×4, first 2 shown]
	v_lshrrev_b32_sdwa v168, v98, v153 dst_sel:DWORD dst_unused:UNUSED_PAD src0_sel:DWORD src1_sel:BYTE_1
	v_ashrrev_i32_e32 v128, s22, v128
	v_ashrrev_i32_e32 v131, s22, v131
	v_lshrrev_b32_sdwa v171, v98, v146 dst_sel:DWORD dst_unused:UNUSED_PAD src0_sel:DWORD src1_sel:BYTE_1
	v_and_b32_e32 v111, 0x3030303, v111
	v_and_b32_e32 v114, 0x3030303, v114
	;; [unrolled: 1-line block ×5, first 2 shown]
	v_dot4c_i32_i8_e32 v137, v110, v6
	v_dot4c_i32_i8_e32 v143, v126, v6
	;; [unrolled: 1-line block ×6, first 2 shown]
	v_mov_b32_e32 v136, 0
	v_mov_b32_e32 v142, 0
	v_ashrrev_i32_e32 v113, s22, v113
	v_ashrrev_i32_e32 v116, s22, v116
	;; [unrolled: 1-line block ×6, first 2 shown]
	v_and_b32_e32 v112, 0x3030303, v112
	v_and_b32_e32 v115, 0x3030303, v115
	v_and_b32_e32 v119, 0x3030303, v119
	v_and_b32_e32 v122, 0x3030303, v122
	v_mul_lo_u32 v165, v168, s17
	v_and_b32_e32 v128, 0x3030303, v128
	v_and_b32_e32 v131, 0x3030303, v131
	v_mul_lo_u32 v168, v171, s17
	v_dot4c_i32_i8_e32 v134, v147, v6
	v_dot4c_i32_i8_e32 v139, v114, v2
	;; [unrolled: 1-line block ×10, first 2 shown]
	v_ashrrev_i32_e32 v117, s22, v117
	v_ashrrev_i32_e32 v121, s22, v121
	;; [unrolled: 1-line block ×4, first 2 shown]
	v_and_b32_e32 v113, 0x3030303, v113
	v_and_b32_e32 v116, 0x3030303, v116
	;; [unrolled: 1-line block ×6, first 2 shown]
	v_dot4c_i32_i8_e32 v136, v156, v2
	v_dot4c_i32_i8_e32 v142, v122, v2
	;; [unrolled: 1-line block ×12, first 2 shown]
	v_and_b32_e32 v166, 15, v151
	v_ashrrev_i32_e32 v125, s22, v125
	v_and_b32_e32 v170, 15, v146
	v_and_b32_e32 v117, 0x3030303, v117
	;; [unrolled: 1-line block ×5, first 2 shown]
	v_dot4c_i32_i8_e32 v136, v157, v3
	v_dot4c_i32_i8_e32 v142, v123, v3
	;; [unrolled: 1-line block ×12, first 2 shown]
	s_add_i32 s2, s2, 2
	v_and_b32_e32 v163, 15, v149
	v_and_b32_sdwa v151, v151, v99 dst_sel:DWORD dst_unused:UNUSED_PAD src0_sel:BYTE_1 src1_sel:DWORD
	v_cvt_f32_f16_e32 v103, v150
	v_cvt_f32_f16_sdwa v105, v150 dst_sel:DWORD dst_unused:UNUSED_PAD src0_sel:WORD_1
	v_and_b32_e32 v150, 15, v153
	v_and_b32_sdwa v146, v146, v99 dst_sel:DWORD dst_unused:UNUSED_PAD src0_sel:BYTE_1 src1_sel:DWORD
	v_and_b32_e32 v125, 0x3030303, v125
	v_dot4c_i32_i8_e32 v136, v158, v4
	v_dot4c_i32_i8_e32 v142, v124, v4
	;; [unrolled: 1-line block ×6, first 2 shown]
	v_mul_lo_u32 v8, v166, v137
	v_mul_lo_u32 v112, v170, v143
	v_dot4c_i32_i8_e32 v135, v161, v4
	v_dot4c_i32_i8_e32 v138, v164, v4
	;; [unrolled: 1-line block ×4, first 2 shown]
	s_mov_b32 s3, s22
	s_cmp_lt_u32 s22, 6
	v_and_b32_sdwa v149, v149, v99 dst_sel:DWORD dst_unused:UNUSED_PAD src0_sel:BYTE_1 src1_sel:DWORD
	v_and_b32_sdwa v153, v153, v99 dst_sel:DWORD dst_unused:UNUSED_PAD src0_sel:BYTE_1 src1_sel:DWORD
	v_dot4c_i32_i8_e32 v136, v159, v5
	v_dot4c_i32_i8_e32 v142, v125, v5
	v_mul_lo_u32 v6, v163, v134
	v_mul_lo_u32 v110, v150, v140
	v_mad_u64_u32 v[8:9], s[22:23], v151, v139, v[8:9]
	v_mad_u64_u32 v[2:3], s[22:23], v146, v145, v[112:113]
	v_dot4c_i32_i8_e32 v135, v161, v5
	v_dot4c_i32_i8_e32 v138, v164, v5
	v_dot4c_i32_i8_e32 v141, v165, v5
	v_dot4c_i32_i8_e32 v144, v168, v5
	v_mad_u64_u32 v[6:7], s[22:23], v149, v136, v[6:7]
	v_mad_u64_u32 v[110:111], s[22:23], v153, v142, v[110:111]
	v_cvt_f32_i32_e32 v9, v2
	v_cvt_f32_i32_e32 v3, v138
	;; [unrolled: 1-line block ×8, first 2 shown]
	v_pk_mul_f32 v[2:3], v[104:105], v[2:3]
	v_pk_mul_f32 v[4:5], v[108:109], v[4:5]
	v_pk_fma_f32 v[2:3], v[6:7], v[102:103], v[2:3] neg_lo:[0,0,1] neg_hi:[0,0,1]
	v_pk_fma_f32 v[4:5], v[8:9], v[106:107], v[4:5] neg_lo:[0,0,1] neg_hi:[0,0,1]
	v_add_u32_e32 v101, 32, v101
	v_add_u32_e32 v100, 4, v100
	v_pk_fma_f32 v[66:67], v[70:71], v[2:3], v[66:67] op_sel_hi:[0,1,1]
	v_pk_fma_f32 v[64:65], v[70:71], v[4:5], v[64:65] op_sel_hi:[0,1,1]
	s_cbranch_scc1 .LBB227_12
; %bb.13:                               ;   in Loop: Header=BB227_5 Depth=1
	s_or_b32 s2, s29, 0x80
	s_cmp_ge_i32 s2, s15
	s_barrier
	s_cbranch_scc1 .LBB227_4
; %bb.14:                               ;   in Loop: Header=BB227_5 Depth=1
	v_add_u32_e32 v2, s28, v76
	v_cmp_gt_i32_e64 s[2:3], s5, v2
	s_and_b64 s[22:23], s[0:1], s[2:3]
	s_and_saveexec_b64 s[2:3], s[22:23]
	s_cbranch_execz .LBB227_16
; %bb.15:                               ;   in Loop: Header=BB227_5 Depth=1
	v_add_u32_e32 v2, v68, v2
	v_mad_i64_i32 v[2:3], s[22:23], v2, 36, v[62:63]
	global_load_dword v2, v[2:3], off offset:4
	s_waitcnt vmcnt(0)
	ds_write_b32 v51, v2
.LBB227_16:                             ;   in Loop: Header=BB227_5 Depth=1
	s_or_b64 exec, exec, s[2:3]
	s_and_saveexec_b64 s[22:23], vcc
	s_cbranch_execz .LBB227_19
; %bb.17:                               ;   in Loop: Header=BB227_5 Depth=1
	v_or_b32_e32 v2, s28, v13
	v_or_b32_e32 v3, 4, v2
	v_cmp_gt_i32_e64 s[2:3], s5, v3
	s_and_b64 s[2:3], s[0:1], s[2:3]
	s_and_b64 exec, exec, s[2:3]
	s_cbranch_execz .LBB227_19
; %bb.18:                               ;   in Loop: Header=BB227_5 Depth=1
	v_ashrrev_i32_e32 v3, 31, v2
	v_lshl_add_u64 v[2:3], v[68:69], 0, v[2:3]
	v_mad_u64_u32 v[4:5], s[2:3], v2, 36, s[8:9]
	v_mad_i32_i24 v5, v3, 36, v5
	global_load_dword v2, v[4:5], off
	s_waitcnt vmcnt(0)
	v_cvt_f32_f16_e32 v2, v2
	ds_write_b32 v55, v2
.LBB227_19:                             ;   in Loop: Header=BB227_5 Depth=1
	s_or_b64 exec, exec, s[22:23]
	s_mov_b32 s2, 8
	s_mov_b32 s3, 0
	v_mov_b32_e32 v100, v84
	v_mov_b32_e32 v101, v85
	s_waitcnt lgkmcnt(0)
	s_barrier
.LBB227_20:                             ;   Parent Loop BB227_5 Depth=1
                                        ; =>  This Inner Loop Header: Depth=2
	s_add_i32 s22, s3, 8
	s_and_b32 s23, s2, -16
	v_add_u32_e32 v102, s3, v80
	s_and_b32 s30, s22, 0x3ffffff8
	s_lshr_b32 s31, s22, 2
	v_add3_u32 v114, v89, s23, v102
	v_add3_u32 v118, v88, s23, v102
	;; [unrolled: 1-line block ×4, first 2 shown]
	s_lshl_b32 s23, s30, 2
	s_and_b32 s30, s31, 0x3ffffffc
	v_add_u32_e32 v108, s23, v57
	v_add_u32_e32 v115, s30, v59
	;; [unrolled: 1-line block ×8, first 2 shown]
	ds_read_b32 v70, v101
	ds_read_b128 v[6:9], v100
	ds_read_b128 v[2:5], v100 offset:16
	ds_read2_b32 v[102:103], v108 offset1:1
	ds_read2_b32 v[104:105], v108 offset0:2 offset1:3
	ds_read2_b32 v[106:107], v108 offset0:4 offset1:5
	;; [unrolled: 1-line block ×3, first 2 shown]
	ds_read2_b32 v[110:111], v116 offset1:1
	ds_read2_b32 v[112:113], v116 offset0:2 offset1:3
	ds_read_b32 v148, v115
	ds_read_u16 v149, v114
	ds_read2_b32 v[114:115], v116 offset0:4 offset1:5
	ds_read2_b32 v[116:117], v116 offset0:6 offset1:7
	ds_read_b32 v150, v119
	ds_read_u16 v151, v118
	ds_read2_b32 v[118:119], v124 offset1:1
	ds_read2_b32 v[120:121], v124 offset0:2 offset1:3
	ds_read2_b32 v[122:123], v124 offset0:4 offset1:5
	;; [unrolled: 1-line block ×3, first 2 shown]
	ds_read2_b32 v[126:127], v132 offset1:1
	ds_read2_b32 v[128:129], v132 offset0:2 offset1:3
	ds_read_b32 v152, v131
	ds_read_u16 v153, v130
	ds_read2_b32 v[130:131], v132 offset0:4 offset1:5
	ds_read2_b32 v[132:133], v132 offset0:6 offset1:7
	ds_read_b32 v147, v147
	ds_read_u16 v146, v146
	s_waitcnt lgkmcnt(14)
	v_ashrrev_i32_e32 v154, s3, v102
	v_ashrrev_i32_e32 v155, s3, v103
	;; [unrolled: 1-line block ×8, first 2 shown]
	v_bfe_u32 v162, v149, 4, 4
	v_lshrrev_b32_sdwa v164, v98, v149 dst_sel:DWORD dst_unused:UNUSED_PAD src0_sel:DWORD src1_sel:BYTE_1
	s_waitcnt lgkmcnt(12)
	v_bfe_u32 v165, v151, 4, 4
	v_lshrrev_b32_sdwa v167, v98, v151 dst_sel:DWORD dst_unused:UNUSED_PAD src0_sel:DWORD src1_sel:BYTE_1
	v_cvt_f32_f16_e32 v102, v148
	v_cvt_f32_f16_sdwa v104, v148 dst_sel:DWORD dst_unused:UNUSED_PAD src0_sel:WORD_1
	s_waitcnt lgkmcnt(4)
	v_bfe_u32 v148, v153, 4, 4
	s_waitcnt lgkmcnt(0)
	v_bfe_u32 v169, v146, 4, 4
	v_mov_b32_e32 v135, 0
	v_mov_b32_e32 v138, 0
	;; [unrolled: 1-line block ×4, first 2 shown]
	v_cvt_f32_f16_e32 v107, v147
	v_cvt_f32_f16_e32 v106, v152
	v_cvt_f32_f16_sdwa v109, v147 dst_sel:DWORD dst_unused:UNUSED_PAD src0_sel:WORD_1
	v_cvt_f32_f16_sdwa v108, v152 dst_sel:DWORD dst_unused:UNUSED_PAD src0_sel:WORD_1
	v_and_b32_e32 v147, 0x3030303, v154
	v_and_b32_e32 v152, 0x3030303, v155
	;; [unrolled: 1-line block ×8, first 2 shown]
	v_mul_lo_u32 v160, v162, s17
	v_mul_lo_u32 v161, v164, s17
	v_mul_lo_u32 v162, v165, s17
	v_mul_lo_u32 v164, v167, s17
	v_mul_lo_u32 v148, v148, s17
	v_mul_lo_u32 v167, v169, s17
	v_ashrrev_i32_e32 v110, s3, v110
	v_dot4c_i32_i8_e32 v135, v160, v6
	v_dot4c_i32_i8_e32 v138, v162, v6
	;; [unrolled: 1-line block ×4, first 2 shown]
	v_mov_b32_e32 v134, 0
	v_mov_b32_e32 v137, 0
	v_ashrrev_i32_e32 v111, s3, v111
	v_ashrrev_i32_e32 v114, s3, v114
	;; [unrolled: 1-line block ×4, first 2 shown]
	v_and_b32_e32 v110, 0x3030303, v110
	v_dot4c_i32_i8_e32 v135, v160, v7
	v_dot4c_i32_i8_e32 v138, v162, v7
	;; [unrolled: 1-line block ×4, first 2 shown]
	v_mov_b32_e32 v136, 0
	v_mov_b32_e32 v139, 0
	v_mov_b32_e32 v140, 0
	v_mov_b32_e32 v143, 0
	v_ashrrev_i32_e32 v112, s3, v112
	v_ashrrev_i32_e32 v115, s3, v115
	;; [unrolled: 1-line block ×4, first 2 shown]
	v_lshrrev_b32_sdwa v168, v98, v153 dst_sel:DWORD dst_unused:UNUSED_PAD src0_sel:DWORD src1_sel:BYTE_1
	v_ashrrev_i32_e32 v127, s3, v127
	v_ashrrev_i32_e32 v130, s3, v130
	v_lshrrev_b32_sdwa v171, v98, v146 dst_sel:DWORD dst_unused:UNUSED_PAD src0_sel:DWORD src1_sel:BYTE_1
	v_and_b32_e32 v111, 0x3030303, v111
	v_and_b32_e32 v114, 0x3030303, v114
	v_and_b32_e32 v118, 0x3030303, v118
	v_and_b32_e32 v126, 0x3030303, v126
	v_dot4c_i32_i8_e32 v134, v147, v6
	v_dot4c_i32_i8_e32 v137, v110, v6
	;; [unrolled: 1-line block ×6, first 2 shown]
	v_mov_b32_e32 v142, 0
	v_mov_b32_e32 v145, 0
	v_ashrrev_i32_e32 v113, s3, v113
	v_ashrrev_i32_e32 v116, s3, v116
	v_ashrrev_i32_e32 v120, s3, v120
	v_ashrrev_i32_e32 v123, s3, v123
	v_ashrrev_i32_e32 v128, s3, v128
	v_ashrrev_i32_e32 v131, s3, v131
	v_and_b32_e32 v112, 0x3030303, v112
	v_and_b32_e32 v115, 0x3030303, v115
	;; [unrolled: 1-line block ×4, first 2 shown]
	v_mul_lo_u32 v165, v168, s17
	v_and_b32_e32 v127, 0x3030303, v127
	v_and_b32_e32 v130, 0x3030303, v130
	v_mul_lo_u32 v168, v171, s17
	v_dot4c_i32_i8_e32 v136, v156, v2
	v_dot4c_i32_i8_e32 v139, v114, v2
	;; [unrolled: 1-line block ×10, first 2 shown]
	v_ashrrev_i32_e32 v117, s3, v117
	v_ashrrev_i32_e32 v121, s3, v121
	;; [unrolled: 1-line block ×5, first 2 shown]
	v_and_b32_e32 v113, 0x3030303, v113
	v_and_b32_e32 v116, 0x3030303, v116
	;; [unrolled: 1-line block ×6, first 2 shown]
	v_dot4c_i32_i8_e32 v142, v122, v2
	v_dot4c_i32_i8_e32 v145, v130, v2
	;; [unrolled: 1-line block ×12, first 2 shown]
	v_and_b32_e32 v163, 15, v149
	v_and_b32_e32 v166, 15, v151
	v_ashrrev_i32_e32 v125, s3, v125
	v_ashrrev_i32_e32 v133, s3, v133
	v_and_b32_e32 v117, 0x3030303, v117
	v_and_b32_e32 v121, 0x3030303, v121
	;; [unrolled: 1-line block ×5, first 2 shown]
	v_dot4c_i32_i8_e32 v142, v123, v3
	v_dot4c_i32_i8_e32 v145, v131, v3
	;; [unrolled: 1-line block ×12, first 2 shown]
	s_add_i32 s2, s2, 2
	v_and_b32_sdwa v149, v149, v99 dst_sel:DWORD dst_unused:UNUSED_PAD src0_sel:BYTE_1 src1_sel:DWORD
	v_and_b32_sdwa v151, v151, v99 dst_sel:DWORD dst_unused:UNUSED_PAD src0_sel:BYTE_1 src1_sel:DWORD
	v_cvt_f32_f16_e32 v103, v150
	v_cvt_f32_f16_sdwa v105, v150 dst_sel:DWORD dst_unused:UNUSED_PAD src0_sel:WORD_1
	v_and_b32_e32 v150, 15, v153
	v_and_b32_e32 v170, 15, v146
	s_add_i32 s3, s3, 2
	v_and_b32_e32 v125, 0x3030303, v125
	v_and_b32_e32 v133, 0x3030303, v133
	v_dot4c_i32_i8_e32 v142, v124, v4
	v_dot4c_i32_i8_e32 v145, v132, v4
	;; [unrolled: 1-line block ×6, first 2 shown]
	v_mul_lo_u32 v6, v163, v134
	v_mul_lo_u32 v8, v166, v137
	v_dot4c_i32_i8_e32 v135, v161, v4
	v_dot4c_i32_i8_e32 v138, v164, v4
	v_dot4c_i32_i8_e32 v141, v165, v4
	v_dot4c_i32_i8_e32 v144, v168, v4
	v_and_b32_sdwa v153, v153, v99 dst_sel:DWORD dst_unused:UNUSED_PAD src0_sel:BYTE_1 src1_sel:DWORD
	v_and_b32_sdwa v146, v146, v99 dst_sel:DWORD dst_unused:UNUSED_PAD src0_sel:BYTE_1 src1_sel:DWORD
	s_cmp_lt_u32 s22, 14
	v_dot4c_i32_i8_e32 v142, v125, v5
	v_dot4c_i32_i8_e32 v145, v133, v5
	v_mul_lo_u32 v110, v150, v140
	v_mul_lo_u32 v112, v170, v143
	v_mad_u64_u32 v[6:7], s[22:23], v149, v136, v[6:7]
	v_mad_u64_u32 v[8:9], s[22:23], v151, v139, v[8:9]
	v_dot4c_i32_i8_e32 v135, v161, v5
	v_dot4c_i32_i8_e32 v138, v164, v5
	;; [unrolled: 1-line block ×4, first 2 shown]
	v_mad_u64_u32 v[2:3], s[22:23], v153, v142, v[110:111]
	v_mad_u64_u32 v[110:111], s[22:23], v146, v145, v[112:113]
	v_cvt_f32_i32_e32 v7, v8
	v_cvt_f32_i32_e32 v5, v138
	;; [unrolled: 1-line block ×8, first 2 shown]
	v_pk_mul_f32 v[4:5], v[104:105], v[4:5]
	v_pk_mul_f32 v[8:9], v[108:109], v[8:9]
	v_pk_fma_f32 v[4:5], v[102:103], v[6:7], v[4:5] neg_lo:[0,0,1] neg_hi:[0,0,1]
	v_pk_fma_f32 v[2:3], v[106:107], v[2:3], v[8:9] neg_lo:[0,0,1] neg_hi:[0,0,1]
	v_add_u32_e32 v101, 4, v101
	v_add_u32_e32 v100, 32, v100
	v_pk_fma_f32 v[66:67], v[70:71], v[4:5], v[66:67] op_sel_hi:[0,1,1]
	v_pk_fma_f32 v[64:65], v[70:71], v[2:3], v[64:65] op_sel_hi:[0,1,1]
	s_cbranch_scc1 .LBB227_20
; %bb.21:                               ;   in Loop: Header=BB227_5 Depth=1
	s_or_b32 s2, s29, 0x100
	s_cmp_ge_i32 s2, s15
	s_barrier
	s_cbranch_scc1 .LBB227_4
; %bb.22:                               ;   in Loop: Header=BB227_5 Depth=1
	v_add_u32_e32 v2, s28, v77
	v_cmp_gt_i32_e64 s[2:3], s5, v2
	s_and_b64 s[22:23], s[0:1], s[2:3]
	s_and_saveexec_b64 s[2:3], s[22:23]
	s_cbranch_execz .LBB227_24
; %bb.23:                               ;   in Loop: Header=BB227_5 Depth=1
	v_add_u32_e32 v2, v68, v2
	v_mad_i64_i32 v[2:3], s[22:23], v2, 36, v[62:63]
	global_load_dword v2, v[2:3], off offset:4
	s_waitcnt vmcnt(0)
	ds_write_b32 v51, v2
.LBB227_24:                             ;   in Loop: Header=BB227_5 Depth=1
	s_or_b64 exec, exec, s[2:3]
	s_and_saveexec_b64 s[22:23], vcc
	s_cbranch_execz .LBB227_27
; %bb.25:                               ;   in Loop: Header=BB227_5 Depth=1
	v_or_b32_e32 v2, s28, v13
	v_or_b32_e32 v3, 8, v2
	v_cmp_gt_i32_e64 s[2:3], s5, v3
	s_and_b64 s[2:3], s[0:1], s[2:3]
	s_and_b64 exec, exec, s[2:3]
	s_cbranch_execz .LBB227_27
; %bb.26:                               ;   in Loop: Header=BB227_5 Depth=1
	v_ashrrev_i32_e32 v3, 31, v2
	v_lshl_add_u64 v[2:3], v[68:69], 0, v[2:3]
	v_mad_u64_u32 v[4:5], s[2:3], v2, 36, s[18:19]
	v_mad_i32_i24 v5, v3, 36, v5
	global_load_dword v2, v[4:5], off
	s_waitcnt vmcnt(0)
	v_cvt_f32_f16_e32 v2, v2
	ds_write_b32 v55, v2
.LBB227_27:                             ;   in Loop: Header=BB227_5 Depth=1
	s_or_b64 exec, exec, s[22:23]
	s_mov_b32 s2, 16
	s_mov_b32 s3, 14
	v_mov_b32_e32 v100, v84
	v_mov_b32_e32 v101, v85
	s_waitcnt lgkmcnt(0)
	s_barrier
.LBB227_28:                             ;   Parent Loop BB227_5 Depth=1
                                        ; =>  This Inner Loop Header: Depth=2
	s_add_i32 s23, s3, 2
	s_and_b32 s30, s2, -16
	s_and_b32 s31, s23, 0x3ffffff8
	s_lshr_b32 s33, s23, 2
	s_add_i32 s30, s3, s30
	s_lshl_b32 s31, s31, 2
	s_and_b32 s33, s33, 0x3ffffffc
	v_add_u32_e32 v114, s30, v93
	v_add_u32_e32 v118, s30, v92
	;; [unrolled: 1-line block ×12, first 2 shown]
	ds_read_b32 v70, v101
	ds_read_b128 v[6:9], v100
	ds_read_b128 v[2:5], v100 offset:16
	ds_read2_b32 v[102:103], v108 offset1:1
	ds_read2_b32 v[104:105], v108 offset0:2 offset1:3
	ds_read2_b32 v[106:107], v108 offset0:4 offset1:5
	;; [unrolled: 1-line block ×3, first 2 shown]
	ds_read2_b32 v[110:111], v116 offset1:1
	ds_read2_b32 v[112:113], v116 offset0:2 offset1:3
	ds_read_b32 v148, v115
	ds_read_u16 v149, v114 offset:16882
	ds_read2_b32 v[114:115], v116 offset0:4 offset1:5
	ds_read2_b32 v[116:117], v116 offset0:6 offset1:7
	ds_read_b32 v150, v119
	ds_read_u16 v151, v118 offset:17906
	ds_read2_b32 v[118:119], v124 offset1:1
	ds_read2_b32 v[120:121], v124 offset0:2 offset1:3
	ds_read2_b32 v[122:123], v124 offset0:4 offset1:5
	;; [unrolled: 1-line block ×3, first 2 shown]
	ds_read2_b32 v[126:127], v132 offset1:1
	ds_read2_b32 v[128:129], v132 offset0:2 offset1:3
	ds_read_b32 v152, v131
	ds_read_u16 v153, v130 offset:18930
	ds_read2_b32 v[130:131], v132 offset0:4 offset1:5
	ds_read2_b32 v[132:133], v132 offset0:6 offset1:7
	ds_read_b32 v147, v147
	ds_read_u16 v146, v146 offset:19954
	s_add_i32 s22, s3, -14
	s_waitcnt lgkmcnt(14)
	v_ashrrev_i32_e32 v154, s22, v102
	v_ashrrev_i32_e32 v156, s22, v104
	;; [unrolled: 1-line block ×4, first 2 shown]
	v_bfe_u32 v162, v149, 4, 4
	s_waitcnt lgkmcnt(12)
	v_bfe_u32 v164, v151, 4, 4
	v_cvt_f32_f16_e32 v102, v148
	v_cvt_f32_f16_sdwa v104, v148 dst_sel:DWORD dst_unused:UNUSED_PAD src0_sel:WORD_1
	s_waitcnt lgkmcnt(4)
	v_bfe_u32 v148, v153, 4, 4
	s_waitcnt lgkmcnt(0)
	v_bfe_u32 v168, v146, 4, 4
	v_mov_b32_e32 v135, 0
	v_mov_b32_e32 v138, 0
	;; [unrolled: 1-line block ×4, first 2 shown]
	v_ashrrev_i32_e32 v159, s22, v107
	v_ashrrev_i32_e32 v161, s22, v109
	v_cvt_f32_f16_e32 v107, v147
	v_cvt_f32_f16_sdwa v109, v147 dst_sel:DWORD dst_unused:UNUSED_PAD src0_sel:WORD_1
	v_and_b32_e32 v147, 0x3030303, v154
	v_and_b32_e32 v154, 0x3030303, v156
	;; [unrolled: 1-line block ×4, first 2 shown]
	v_mul_lo_u32 v160, v162, s17
	v_mul_lo_u32 v162, v164, s17
	;; [unrolled: 1-line block ×4, first 2 shown]
	v_ashrrev_i32_e32 v110, s22, v110
	v_dot4c_i32_i8_e32 v135, v160, v6
	v_dot4c_i32_i8_e32 v138, v162, v6
	;; [unrolled: 1-line block ×4, first 2 shown]
	v_mov_b32_e32 v134, 0
	v_mov_b32_e32 v137, 0
	v_ashrrev_i32_e32 v155, s22, v103
	v_ashrrev_i32_e32 v111, s22, v111
	;; [unrolled: 1-line block ×5, first 2 shown]
	v_and_b32_e32 v110, 0x3030303, v110
	v_dot4c_i32_i8_e32 v135, v160, v7
	v_dot4c_i32_i8_e32 v138, v162, v7
	;; [unrolled: 1-line block ×4, first 2 shown]
	v_mov_b32_e32 v136, 0
	v_mov_b32_e32 v139, 0
	;; [unrolled: 1-line block ×4, first 2 shown]
	v_ashrrev_i32_e32 v157, s22, v105
	v_lshrrev_b32_sdwa v163, v98, v149 dst_sel:DWORD dst_unused:UNUSED_PAD src0_sel:DWORD src1_sel:BYTE_1
	v_ashrrev_i32_e32 v112, s22, v112
	v_ashrrev_i32_e32 v115, s22, v115
	v_lshrrev_b32_sdwa v165, v98, v151 dst_sel:DWORD dst_unused:UNUSED_PAD src0_sel:DWORD src1_sel:BYTE_1
	v_cvt_f32_f16_e32 v103, v150
	v_cvt_f32_f16_sdwa v105, v150 dst_sel:DWORD dst_unused:UNUSED_PAD src0_sel:WORD_1
	v_ashrrev_i32_e32 v119, s22, v119
	v_ashrrev_i32_e32 v122, s22, v122
	v_lshrrev_b32_sdwa v150, v98, v153 dst_sel:DWORD dst_unused:UNUSED_PAD src0_sel:DWORD src1_sel:BYTE_1
	v_ashrrev_i32_e32 v127, s22, v127
	v_ashrrev_i32_e32 v130, s22, v130
	v_lshrrev_b32_sdwa v169, v98, v146 dst_sel:DWORD dst_unused:UNUSED_PAD src0_sel:DWORD src1_sel:BYTE_1
	v_cvt_f32_f16_e32 v106, v152
	v_cvt_f32_f16_sdwa v108, v152 dst_sel:DWORD dst_unused:UNUSED_PAD src0_sel:WORD_1
	v_and_b32_e32 v152, 0x3030303, v155
	v_and_b32_e32 v111, 0x3030303, v111
	;; [unrolled: 1-line block ×5, first 2 shown]
	v_dot4c_i32_i8_e32 v134, v147, v6
	v_dot4c_i32_i8_e32 v137, v110, v6
	;; [unrolled: 1-line block ×6, first 2 shown]
	v_mov_b32_e32 v142, 0
	v_mov_b32_e32 v145, 0
	v_ashrrev_i32_e32 v113, s22, v113
	v_ashrrev_i32_e32 v116, s22, v116
	;; [unrolled: 1-line block ×6, first 2 shown]
	v_and_b32_e32 v155, 0x3030303, v157
	v_and_b32_e32 v157, 0x3030303, v159
	;; [unrolled: 1-line block ×3, first 2 shown]
	v_mul_lo_u32 v161, v163, s17
	v_and_b32_e32 v112, 0x3030303, v112
	v_and_b32_e32 v115, 0x3030303, v115
	v_mul_lo_u32 v163, v165, s17
	v_and_b32_e32 v119, 0x3030303, v119
	v_and_b32_e32 v122, 0x3030303, v122
	;; [unrolled: 3-line block ×3, first 2 shown]
	v_mul_lo_u32 v165, v169, s17
	v_dot4c_i32_i8_e32 v136, v156, v2
	v_dot4c_i32_i8_e32 v139, v114, v2
	;; [unrolled: 1-line block ×10, first 2 shown]
	v_ashrrev_i32_e32 v117, s22, v117
	v_ashrrev_i32_e32 v121, s22, v121
	;; [unrolled: 1-line block ×5, first 2 shown]
	v_and_b32_e32 v113, 0x3030303, v113
	v_and_b32_e32 v116, 0x3030303, v116
	;; [unrolled: 1-line block ×6, first 2 shown]
	v_dot4c_i32_i8_e32 v142, v122, v2
	v_dot4c_i32_i8_e32 v145, v130, v2
	;; [unrolled: 1-line block ×12, first 2 shown]
	v_and_b32_e32 v166, 15, v149
	v_and_b32_e32 v167, 15, v151
	v_ashrrev_i32_e32 v125, s22, v125
	v_ashrrev_i32_e32 v133, s22, v133
	v_and_b32_e32 v117, 0x3030303, v117
	v_and_b32_e32 v121, 0x3030303, v121
	;; [unrolled: 1-line block ×5, first 2 shown]
	v_dot4c_i32_i8_e32 v142, v123, v3
	v_dot4c_i32_i8_e32 v145, v131, v3
	;; [unrolled: 1-line block ×12, first 2 shown]
	s_add_i32 s2, s2, 2
	v_and_b32_sdwa v151, v151, v99 dst_sel:DWORD dst_unused:UNUSED_PAD src0_sel:BYTE_1 src1_sel:DWORD
	v_and_b32_sdwa v149, v149, v99 dst_sel:DWORD dst_unused:UNUSED_PAD src0_sel:BYTE_1 src1_sel:DWORD
	v_and_b32_e32 v170, 15, v153
	v_and_b32_e32 v171, 15, v146
	;; [unrolled: 1-line block ×4, first 2 shown]
	v_dot4c_i32_i8_e32 v142, v124, v4
	v_dot4c_i32_i8_e32 v145, v132, v4
	;; [unrolled: 1-line block ×6, first 2 shown]
	v_mul_lo_u32 v6, v167, v137
	v_mul_lo_u32 v8, v166, v134
	v_dot4c_i32_i8_e32 v135, v161, v4
	v_dot4c_i32_i8_e32 v138, v163, v4
	;; [unrolled: 1-line block ×4, first 2 shown]
	s_mov_b32 s3, s23
	s_cmp_lt_u32 s23, 22
	v_and_b32_sdwa v146, v146, v99 dst_sel:DWORD dst_unused:UNUSED_PAD src0_sel:BYTE_1 src1_sel:DWORD
	v_and_b32_sdwa v153, v153, v99 dst_sel:DWORD dst_unused:UNUSED_PAD src0_sel:BYTE_1 src1_sel:DWORD
	v_dot4c_i32_i8_e32 v142, v125, v5
	v_dot4c_i32_i8_e32 v145, v133, v5
	v_mul_lo_u32 v2, v171, v143
	v_mul_lo_u32 v110, v170, v140
	v_mad_u64_u32 v[8:9], s[22:23], v149, v136, v[8:9]
	v_mad_u64_u32 v[6:7], s[22:23], v151, v139, v[6:7]
	v_dot4c_i32_i8_e32 v135, v161, v5
	v_dot4c_i32_i8_e32 v138, v163, v5
	v_dot4c_i32_i8_e32 v141, v150, v5
	v_dot4c_i32_i8_e32 v144, v165, v5
	v_mad_u64_u32 v[110:111], s[22:23], v153, v142, v[110:111]
	v_mad_u64_u32 v[2:3], s[22:23], v146, v145, v[2:3]
	v_cvt_f32_i32_e32 v7, v6
	v_cvt_f32_i32_e32 v6, v8
	;; [unrolled: 1-line block ×8, first 2 shown]
	v_pk_mul_f32 v[4:5], v[104:105], v[4:5]
	v_pk_mul_f32 v[8:9], v[108:109], v[8:9]
	v_pk_fma_f32 v[4:5], v[102:103], v[6:7], v[4:5] neg_lo:[0,0,1] neg_hi:[0,0,1]
	v_pk_fma_f32 v[2:3], v[106:107], v[2:3], v[8:9] neg_lo:[0,0,1] neg_hi:[0,0,1]
	v_add_u32_e32 v101, 4, v101
	v_add_u32_e32 v100, 32, v100
	v_pk_fma_f32 v[66:67], v[70:71], v[4:5], v[66:67] op_sel_hi:[0,1,1]
	v_pk_fma_f32 v[64:65], v[70:71], v[2:3], v[64:65] op_sel_hi:[0,1,1]
	s_cbranch_scc1 .LBB227_28
; %bb.29:                               ;   in Loop: Header=BB227_5 Depth=1
	s_or_b32 s2, s29, 0x180
	s_cmp_ge_i32 s2, s15
	s_barrier
	s_cbranch_scc1 .LBB227_4
; %bb.30:                               ;   in Loop: Header=BB227_5 Depth=1
	v_add_u32_e32 v2, s28, v78
	v_cmp_gt_i32_e64 s[2:3], s5, v2
	s_and_b64 s[22:23], s[0:1], s[2:3]
	s_and_saveexec_b64 s[2:3], s[22:23]
	s_cbranch_execz .LBB227_32
; %bb.31:                               ;   in Loop: Header=BB227_5 Depth=1
	v_add_u32_e32 v2, v68, v2
	v_mad_i64_i32 v[2:3], s[22:23], v2, 36, v[62:63]
	global_load_dword v2, v[2:3], off offset:4
	s_waitcnt vmcnt(0)
	ds_write_b32 v51, v2
.LBB227_32:                             ;   in Loop: Header=BB227_5 Depth=1
	s_or_b64 exec, exec, s[2:3]
	s_and_saveexec_b64 s[22:23], vcc
	s_cbranch_execz .LBB227_35
; %bb.33:                               ;   in Loop: Header=BB227_5 Depth=1
	v_or_b32_e32 v2, s28, v13
	v_or_b32_e32 v3, 12, v2
	v_cmp_gt_i32_e64 s[2:3], s5, v3
	s_and_b64 s[2:3], s[0:1], s[2:3]
	s_and_b64 exec, exec, s[2:3]
	s_cbranch_execz .LBB227_35
; %bb.34:                               ;   in Loop: Header=BB227_5 Depth=1
	v_ashrrev_i32_e32 v3, 31, v2
	v_lshl_add_u64 v[2:3], v[68:69], 0, v[2:3]
	v_mad_u64_u32 v[4:5], s[2:3], v2, 36, s[20:21]
	v_mad_i32_i24 v5, v3, 36, v5
	global_load_dword v2, v[4:5], off
	s_waitcnt vmcnt(0)
	v_cvt_f32_f16_e32 v2, v2
	ds_write_b32 v55, v2
.LBB227_35:                             ;   in Loop: Header=BB227_5 Depth=1
	s_or_b64 exec, exec, s[22:23]
	s_mov_b32 s2, 24
	s_mov_b32 s3, 22
	v_mov_b32_e32 v100, v84
	v_mov_b32_e32 v101, v85
	s_waitcnt lgkmcnt(0)
	s_barrier
.LBB227_36:                             ;   Parent Loop BB227_5 Depth=1
                                        ; =>  This Inner Loop Header: Depth=2
	s_add_i32 s23, s3, 2
	s_and_b32 s28, s2, -16
	s_and_b32 s29, s23, 0x3ffffff8
	s_lshr_b32 s30, s23, 2
	s_add_i32 s28, s3, s28
	s_lshl_b32 s29, s29, 2
	s_and_b32 s30, s30, 0x3ffffffc
	v_add_u32_e32 v114, s28, v93
	v_add_u32_e32 v118, s28, v92
	;; [unrolled: 1-line block ×12, first 2 shown]
	ds_read_b32 v70, v101
	ds_read_b128 v[6:9], v100
	ds_read_b128 v[2:5], v100 offset:16
	ds_read2_b32 v[102:103], v108 offset1:1
	ds_read2_b32 v[104:105], v108 offset0:2 offset1:3
	ds_read2_b32 v[106:107], v108 offset0:4 offset1:5
	ds_read2_b32 v[108:109], v108 offset0:6 offset1:7
	ds_read2_b32 v[110:111], v116 offset1:1
	ds_read2_b32 v[112:113], v116 offset0:2 offset1:3
	ds_read_b32 v148, v115
	ds_read_u16 v149, v114 offset:16882
	ds_read2_b32 v[114:115], v116 offset0:4 offset1:5
	ds_read2_b32 v[116:117], v116 offset0:6 offset1:7
	ds_read_b32 v150, v119
	ds_read_u16 v151, v118 offset:17906
	ds_read2_b32 v[118:119], v124 offset1:1
	ds_read2_b32 v[120:121], v124 offset0:2 offset1:3
	ds_read2_b32 v[122:123], v124 offset0:4 offset1:5
	;; [unrolled: 1-line block ×3, first 2 shown]
	ds_read2_b32 v[126:127], v132 offset1:1
	ds_read2_b32 v[128:129], v132 offset0:2 offset1:3
	ds_read_b32 v152, v131
	ds_read_u16 v153, v130 offset:18930
	ds_read2_b32 v[130:131], v132 offset0:4 offset1:5
	ds_read2_b32 v[132:133], v132 offset0:6 offset1:7
	ds_read_b32 v147, v147
	ds_read_u16 v146, v146 offset:19954
	s_sub_i32 s22, s3, 22
	s_waitcnt lgkmcnt(14)
	v_ashrrev_i32_e32 v154, s22, v102
	v_ashrrev_i32_e32 v156, s22, v104
	;; [unrolled: 1-line block ×4, first 2 shown]
	v_bfe_u32 v162, v149, 4, 4
	s_waitcnt lgkmcnt(12)
	v_bfe_u32 v164, v151, 4, 4
	v_cvt_f32_f16_e32 v102, v148
	v_cvt_f32_f16_sdwa v104, v148 dst_sel:DWORD dst_unused:UNUSED_PAD src0_sel:WORD_1
	s_waitcnt lgkmcnt(4)
	v_bfe_u32 v148, v153, 4, 4
	s_waitcnt lgkmcnt(0)
	v_bfe_u32 v168, v146, 4, 4
	v_mov_b32_e32 v138, 0
	v_mov_b32_e32 v139, 0
	;; [unrolled: 1-line block ×4, first 2 shown]
	v_ashrrev_i32_e32 v159, s22, v107
	v_ashrrev_i32_e32 v161, s22, v109
	v_cvt_f32_f16_e32 v107, v147
	v_cvt_f32_f16_sdwa v109, v147 dst_sel:DWORD dst_unused:UNUSED_PAD src0_sel:WORD_1
	v_and_b32_e32 v147, 0x3030303, v154
	v_and_b32_e32 v154, 0x3030303, v156
	;; [unrolled: 1-line block ×4, first 2 shown]
	v_mul_lo_u32 v160, v162, s17
	v_mul_lo_u32 v162, v164, s17
	;; [unrolled: 1-line block ×4, first 2 shown]
	v_ashrrev_i32_e32 v110, s22, v110
	v_dot4c_i32_i8_e32 v138, v160, v6
	v_dot4c_i32_i8_e32 v139, v162, v6
	;; [unrolled: 1-line block ×4, first 2 shown]
	v_mov_b32_e32 v134, 0
	v_mov_b32_e32 v136, 0
	v_ashrrev_i32_e32 v155, s22, v103
	v_ashrrev_i32_e32 v111, s22, v111
	;; [unrolled: 1-line block ×5, first 2 shown]
	v_and_b32_e32 v110, 0x3030303, v110
	v_dot4c_i32_i8_e32 v138, v160, v7
	v_dot4c_i32_i8_e32 v139, v162, v7
	;; [unrolled: 1-line block ×4, first 2 shown]
	v_mov_b32_e32 v135, 0
	v_mov_b32_e32 v137, 0
	v_mov_b32_e32 v140, 0
	v_mov_b32_e32 v142, 0
	v_ashrrev_i32_e32 v157, s22, v105
	v_ashrrev_i32_e32 v112, s22, v112
	;; [unrolled: 1-line block ×3, first 2 shown]
	v_lshrrev_b32_sdwa v163, v98, v149 dst_sel:DWORD dst_unused:UNUSED_PAD src0_sel:DWORD src1_sel:BYTE_1
	v_lshrrev_b32_sdwa v167, v98, v151 dst_sel:DWORD dst_unused:UNUSED_PAD src0_sel:DWORD src1_sel:BYTE_1
	v_cvt_f32_f16_e32 v103, v150
	v_cvt_f32_f16_sdwa v105, v150 dst_sel:DWORD dst_unused:UNUSED_PAD src0_sel:WORD_1
	v_ashrrev_i32_e32 v119, s22, v119
	v_ashrrev_i32_e32 v122, s22, v122
	;; [unrolled: 1-line block ×4, first 2 shown]
	v_lshrrev_b32_sdwa v150, v98, v153 dst_sel:DWORD dst_unused:UNUSED_PAD src0_sel:DWORD src1_sel:BYTE_1
	v_lshrrev_b32_sdwa v171, v98, v146 dst_sel:DWORD dst_unused:UNUSED_PAD src0_sel:DWORD src1_sel:BYTE_1
	v_cvt_f32_f16_e32 v106, v152
	v_cvt_f32_f16_sdwa v108, v152 dst_sel:DWORD dst_unused:UNUSED_PAD src0_sel:WORD_1
	v_and_b32_e32 v152, 0x3030303, v155
	v_and_b32_e32 v111, 0x3030303, v111
	;; [unrolled: 1-line block ×5, first 2 shown]
	v_dot4c_i32_i8_e32 v134, v147, v6
	v_dot4c_i32_i8_e32 v136, v110, v6
	;; [unrolled: 1-line block ×6, first 2 shown]
	v_mov_b32_e32 v141, 0
	v_mov_b32_e32 v143, 0
	v_ashrrev_i32_e32 v113, s22, v113
	v_ashrrev_i32_e32 v116, s22, v116
	;; [unrolled: 1-line block ×6, first 2 shown]
	v_and_b32_e32 v155, 0x3030303, v157
	v_and_b32_e32 v157, 0x3030303, v159
	;; [unrolled: 1-line block ×5, first 2 shown]
	v_mul_lo_u32 v161, v163, s17
	v_mul_lo_u32 v163, v167, s17
	v_and_b32_e32 v119, 0x3030303, v119
	v_and_b32_e32 v122, 0x3030303, v122
	;; [unrolled: 1-line block ×4, first 2 shown]
	v_mul_lo_u32 v150, v150, s17
	v_mul_lo_u32 v167, v171, s17
	v_dot4c_i32_i8_e32 v135, v156, v2
	v_dot4c_i32_i8_e32 v137, v114, v2
	;; [unrolled: 1-line block ×10, first 2 shown]
	v_ashrrev_i32_e32 v117, s22, v117
	v_ashrrev_i32_e32 v121, s22, v121
	;; [unrolled: 1-line block ×5, first 2 shown]
	v_and_b32_e32 v113, 0x3030303, v113
	v_and_b32_e32 v116, 0x3030303, v116
	;; [unrolled: 1-line block ×6, first 2 shown]
	v_dot4c_i32_i8_e32 v141, v122, v2
	v_dot4c_i32_i8_e32 v143, v130, v2
	v_dot4c_i32_i8_e32 v135, v157, v3
	v_dot4c_i32_i8_e32 v137, v115, v3
	v_dot4c_i32_i8_e32 v140, v119, v7
	v_dot4c_i32_i8_e32 v142, v127, v7
	v_dot4c_i32_i8_e32 v134, v154, v8
	v_dot4c_i32_i8_e32 v136, v112, v8
	v_dot4c_i32_i8_e32 v138, v161, v2
	v_dot4c_i32_i8_e32 v139, v163, v2
	v_dot4c_i32_i8_e32 v144, v150, v2
	v_dot4c_i32_i8_e32 v145, v167, v2
	v_and_b32_e32 v165, 15, v149
	v_and_b32_e32 v166, 15, v151
	v_ashrrev_i32_e32 v125, s22, v125
	v_ashrrev_i32_e32 v133, s22, v133
	v_and_b32_e32 v117, 0x3030303, v117
	v_and_b32_e32 v121, 0x3030303, v121
	;; [unrolled: 1-line block ×5, first 2 shown]
	v_dot4c_i32_i8_e32 v141, v123, v3
	v_dot4c_i32_i8_e32 v143, v131, v3
	;; [unrolled: 1-line block ×12, first 2 shown]
	s_add_i32 s2, s2, 2
	v_and_b32_sdwa v151, v151, v99 dst_sel:DWORD dst_unused:UNUSED_PAD src0_sel:BYTE_1 src1_sel:DWORD
	v_and_b32_sdwa v149, v149, v99 dst_sel:DWORD dst_unused:UNUSED_PAD src0_sel:BYTE_1 src1_sel:DWORD
	v_and_b32_e32 v169, 15, v153
	v_and_b32_e32 v170, 15, v146
	;; [unrolled: 1-line block ×4, first 2 shown]
	v_dot4c_i32_i8_e32 v141, v124, v4
	v_dot4c_i32_i8_e32 v143, v132, v4
	;; [unrolled: 1-line block ×6, first 2 shown]
	v_mul_lo_u32 v6, v166, v136
	v_mul_lo_u32 v8, v165, v134
	v_dot4c_i32_i8_e32 v138, v161, v4
	v_dot4c_i32_i8_e32 v139, v163, v4
	;; [unrolled: 1-line block ×4, first 2 shown]
	s_mov_b32 s3, s23
	s_cmp_lt_u32 s23, 30
	v_and_b32_sdwa v146, v146, v99 dst_sel:DWORD dst_unused:UNUSED_PAD src0_sel:BYTE_1 src1_sel:DWORD
	v_and_b32_sdwa v153, v153, v99 dst_sel:DWORD dst_unused:UNUSED_PAD src0_sel:BYTE_1 src1_sel:DWORD
	v_dot4c_i32_i8_e32 v141, v125, v5
	v_dot4c_i32_i8_e32 v143, v133, v5
	v_mul_lo_u32 v110, v170, v142
	v_mul_lo_u32 v112, v169, v140
	v_mad_u64_u32 v[8:9], s[22:23], v149, v135, v[8:9]
	v_mad_u64_u32 v[6:7], s[22:23], v151, v137, v[6:7]
	v_dot4c_i32_i8_e32 v138, v161, v5
	v_dot4c_i32_i8_e32 v139, v163, v5
	;; [unrolled: 1-line block ×4, first 2 shown]
	v_mad_u64_u32 v[2:3], s[22:23], v153, v141, v[112:113]
	v_mad_u64_u32 v[110:111], s[22:23], v146, v143, v[110:111]
	v_cvt_f32_i32_e32 v7, v6
	v_cvt_f32_i32_e32 v6, v8
	;; [unrolled: 1-line block ×8, first 2 shown]
	v_pk_mul_f32 v[4:5], v[104:105], v[4:5]
	v_pk_mul_f32 v[8:9], v[108:109], v[8:9]
	v_pk_fma_f32 v[4:5], v[102:103], v[6:7], v[4:5] neg_lo:[0,0,1] neg_hi:[0,0,1]
	v_pk_fma_f32 v[2:3], v[106:107], v[2:3], v[8:9] neg_lo:[0,0,1] neg_hi:[0,0,1]
	v_add_u32_e32 v101, 4, v101
	v_add_u32_e32 v100, 32, v100
	v_pk_fma_f32 v[66:67], v[70:71], v[4:5], v[66:67] op_sel_hi:[0,1,1]
	v_pk_fma_f32 v[64:65], v[70:71], v[2:3], v[64:65] op_sel_hi:[0,1,1]
	s_cbranch_scc1 .LBB227_36
; %bb.37:                               ;   in Loop: Header=BB227_5 Depth=1
	s_barrier
	s_branch .LBB227_4
.LBB227_38:
	s_mul_i32 s0, s7, s4
	s_waitcnt vmcnt(0)
	v_cmp_gt_i32_e32 vcc, s0, v1
	s_and_saveexec_b64 s[0:1], vcc
	s_cbranch_execz .LBB227_47
; %bb.39:
	v_and_b32_e32 v0, 0x3ff, v0
	v_add_u32_e32 v2, s24, v0
	v_mul_lo_u32 v0, v1, s6
	v_cmp_gt_u32_e32 vcc, s6, v2
	s_and_saveexec_b64 s[0:1], vcc
	s_cbranch_execz .LBB227_41
; %bb.40:
	v_bfe_u32 v1, v66, 16, 1
	s_movk_i32 s2, 0x7fff
	v_add3_u32 v1, v66, v1, s2
	v_lshrrev_b32_e32 v1, 16, v1
	v_mov_b32_e32 v3, 0x7fc0
	v_cmp_o_f32_e32 vcc, v66, v66
	v_add_u32_e32 v4, v0, v2
	v_mov_b32_e32 v5, 0
	v_cndmask_b32_e32 v1, v3, v1, vcc
	v_lshl_add_u64 v[4:5], v[4:5], 1, s[12:13]
	global_store_short v[4:5], v1, off
.LBB227_41:
	s_or_b64 exec, exec, s[0:1]
	v_add_u32_e32 v1, 32, v2
	v_cmp_gt_u32_e32 vcc, s6, v1
	s_and_saveexec_b64 s[0:1], vcc
	s_cbranch_execz .LBB227_43
; %bb.42:
	v_bfe_u32 v3, v67, 16, 1
	s_movk_i32 s2, 0x7fff
	v_add3_u32 v3, v67, v3, s2
	v_lshrrev_b32_e32 v3, 16, v3
	v_mov_b32_e32 v4, 0x7fc0
	v_cmp_o_f32_e32 vcc, v67, v67
	v_mov_b32_e32 v5, 0
	s_nop 0
	v_cndmask_b32_e32 v3, v4, v3, vcc
	v_add_u32_e32 v4, v0, v1
	v_lshl_add_u64 v[4:5], v[4:5], 1, s[12:13]
	global_store_short v[4:5], v3, off
.LBB227_43:
	s_or_b64 exec, exec, s[0:1]
	v_add_u32_e32 v1, 64, v2
	v_cmp_gt_u32_e32 vcc, s6, v1
	s_and_saveexec_b64 s[0:1], vcc
	s_cbranch_execz .LBB227_45
; %bb.44:
	v_bfe_u32 v3, v64, 16, 1
	s_movk_i32 s2, 0x7fff
	v_add3_u32 v3, v64, v3, s2
	v_lshrrev_b32_e32 v3, 16, v3
	v_mov_b32_e32 v4, 0x7fc0
	v_cmp_o_f32_e32 vcc, v64, v64
	v_mov_b32_e32 v5, 0
	s_nop 0
	v_cndmask_b32_e32 v3, v4, v3, vcc
	v_add_u32_e32 v4, v0, v1
	v_lshl_add_u64 v[4:5], v[4:5], 1, s[12:13]
	global_store_short v[4:5], v3, off
.LBB227_45:
	s_or_b64 exec, exec, s[0:1]
	v_add_u32_e32 v1, 0x60, v2
	v_cmp_gt_u32_e32 vcc, s6, v1
	s_and_b64 exec, exec, vcc
	s_cbranch_execz .LBB227_47
; %bb.46:
	v_bfe_u32 v2, v65, 16, 1
	s_movk_i32 s0, 0x7fff
	v_add3_u32 v2, v65, v2, s0
	v_lshrrev_b32_e32 v2, 16, v2
	v_mov_b32_e32 v3, 0x7fc0
	v_cmp_o_f32_e32 vcc, v65, v65
	v_add_u32_e32 v0, v0, v1
	v_mov_b32_e32 v1, 0
	v_cndmask_b32_e32 v2, v3, v2, vcc
	v_lshl_add_u64 v[0:1], v[0:1], 1, s[12:13]
	global_store_short v[0:1], v2, off
.LBB227_47:
	s_endpgm
	.section	.rodata,"a",@progbits
	.p2align	6, 0x0
	.amdhsa_kernel _ZL8moe_q2_KIN3c108BFloat16ELb0EEvPKvS3_PT_PKiS7_S7_iiiiiii
		.amdhsa_group_segment_fixed_size 23328
		.amdhsa_private_segment_fixed_size 0
		.amdhsa_kernarg_size 76
		.amdhsa_user_sgpr_count 2
		.amdhsa_user_sgpr_dispatch_ptr 0
		.amdhsa_user_sgpr_queue_ptr 0
		.amdhsa_user_sgpr_kernarg_segment_ptr 1
		.amdhsa_user_sgpr_dispatch_id 0
		.amdhsa_user_sgpr_kernarg_preload_length 0
		.amdhsa_user_sgpr_kernarg_preload_offset 0
		.amdhsa_user_sgpr_private_segment_size 0
		.amdhsa_uses_dynamic_stack 0
		.amdhsa_enable_private_segment 0
		.amdhsa_system_sgpr_workgroup_id_x 1
		.amdhsa_system_sgpr_workgroup_id_y 1
		.amdhsa_system_sgpr_workgroup_id_z 0
		.amdhsa_system_sgpr_workgroup_info 0
		.amdhsa_system_vgpr_workitem_id 1
		.amdhsa_next_free_vgpr 172
		.amdhsa_next_free_sgpr 34
		.amdhsa_accum_offset 172
		.amdhsa_reserve_vcc 1
		.amdhsa_float_round_mode_32 0
		.amdhsa_float_round_mode_16_64 0
		.amdhsa_float_denorm_mode_32 3
		.amdhsa_float_denorm_mode_16_64 3
		.amdhsa_dx10_clamp 1
		.amdhsa_ieee_mode 1
		.amdhsa_fp16_overflow 0
		.amdhsa_tg_split 0
		.amdhsa_exception_fp_ieee_invalid_op 0
		.amdhsa_exception_fp_denorm_src 0
		.amdhsa_exception_fp_ieee_div_zero 0
		.amdhsa_exception_fp_ieee_overflow 0
		.amdhsa_exception_fp_ieee_underflow 0
		.amdhsa_exception_fp_ieee_inexact 0
		.amdhsa_exception_int_div_zero 0
	.end_amdhsa_kernel
	.section	.text._ZL8moe_q2_KIN3c108BFloat16ELb0EEvPKvS3_PT_PKiS7_S7_iiiiiii,"axG",@progbits,_ZL8moe_q2_KIN3c108BFloat16ELb0EEvPKvS3_PT_PKiS7_S7_iiiiiii,comdat
.Lfunc_end227:
	.size	_ZL8moe_q2_KIN3c108BFloat16ELb0EEvPKvS3_PT_PKiS7_S7_iiiiiii, .Lfunc_end227-_ZL8moe_q2_KIN3c108BFloat16ELb0EEvPKvS3_PT_PKiS7_S7_iiiiiii
                                        ; -- End function
	.section	.AMDGPU.csdata,"",@progbits
; Kernel info:
; codeLenInByte = 8764
; NumSgprs: 40
; NumVgprs: 172
; NumAgprs: 0
; TotalNumVgprs: 172
; ScratchSize: 0
; MemoryBound: 0
; FloatMode: 240
; IeeeMode: 1
; LDSByteSize: 23328 bytes/workgroup (compile time only)
; SGPRBlocks: 4
; VGPRBlocks: 21
; NumSGPRsForWavesPerEU: 40
; NumVGPRsForWavesPerEU: 172
; AccumOffset: 172
; Occupancy: 2
; WaveLimiterHint : 1
; COMPUTE_PGM_RSRC2:SCRATCH_EN: 0
; COMPUTE_PGM_RSRC2:USER_SGPR: 2
; COMPUTE_PGM_RSRC2:TRAP_HANDLER: 0
; COMPUTE_PGM_RSRC2:TGID_X_EN: 1
; COMPUTE_PGM_RSRC2:TGID_Y_EN: 1
; COMPUTE_PGM_RSRC2:TGID_Z_EN: 0
; COMPUTE_PGM_RSRC2:TIDIG_COMP_CNT: 1
; COMPUTE_PGM_RSRC3_GFX90A:ACCUM_OFFSET: 42
; COMPUTE_PGM_RSRC3_GFX90A:TG_SPLIT: 0
	.section	.text._ZL8moe_q2_KIN3c108BFloat16ELb1EEvPKvS3_PT_PKiS7_S7_iiiiiii,"axG",@progbits,_ZL8moe_q2_KIN3c108BFloat16ELb1EEvPKvS3_PT_PKiS7_S7_iiiiiii,comdat
	.globl	_ZL8moe_q2_KIN3c108BFloat16ELb1EEvPKvS3_PT_PKiS7_S7_iiiiiii ; -- Begin function _ZL8moe_q2_KIN3c108BFloat16ELb1EEvPKvS3_PT_PKiS7_S7_iiiiiii
	.p2align	8
	.type	_ZL8moe_q2_KIN3c108BFloat16ELb1EEvPKvS3_PT_PKiS7_S7_iiiiiii,@function
_ZL8moe_q2_KIN3c108BFloat16ELb1EEvPKvS3_PT_PKiS7_S7_iiiiiii: ; @_ZL8moe_q2_KIN3c108BFloat16ELb1EEvPKvS3_PT_PKiS7_S7_iiiiiii
; %bb.0:
	s_load_dwordx4 s[4:7], s[0:1], 0x18
	s_mov_b32 s8, s3
	s_mov_b32 s9, 0
	s_lshl_b64 s[10:11], s[8:9], 2
	s_waitcnt lgkmcnt(0)
	s_add_u32 s6, s6, s10
	s_addc_u32 s7, s7, s11
	s_load_dword s3, s[6:7], 0x0
	s_waitcnt lgkmcnt(0)
	s_cmpk_gt_u32 s3, 0xff
	s_cbranch_scc1 .LBB228_47
; %bb.1:
	s_load_dwordx2 s[6:7], s[0:1], 0x28
	s_waitcnt lgkmcnt(0)
	s_load_dword s7, s[6:7], 0x0
	s_lshl_b32 s6, s8, 3
	s_waitcnt lgkmcnt(0)
	s_cmp_gt_u32 s6, s7
	s_cbranch_scc1 .LBB228_47
; %bb.2:
	v_bfe_u32 v2, v0, 10, 10
	v_mov_b32_e32 v4, s4
	v_mov_b32_e32 v5, s5
	v_add_u32_e32 v10, s6, v2
	v_mov_b32_e32 v11, 0
	v_lshl_add_u64 v[4:5], v[10:11], 2, v[4:5]
	global_load_dword v1, v[4:5], off
	s_load_dwordx8 s[4:11], s[0:1], 0x30
	s_load_dwordx2 s[16:17], s[0:1], 0x10
	s_mov_b32 s18, 0
	s_waitcnt lgkmcnt(0)
	s_lshl_b32 s11, s2, 7
	s_mov_b32 s19, s18
	s_cmpk_lt_i32 s5, 0x100
	v_mov_b64_e32 v[96:97], s[18:19]
	v_mov_b64_e32 v[98:99], s[18:19]
	s_cbranch_scc1 .LBB228_38
; %bb.3:
	s_load_dwordx4 s[12:15], s[0:1], 0x0
	s_ashr_i32 s0, s5, 31
	s_lshr_b32 s0, s0, 24
	s_add_i32 s0, s5, s0
	s_ashr_i32 s26, s0, 8
	s_ashr_i32 s0, s8, 31
	s_lshr_b32 s0, s0, 27
	s_add_i32 s0, s8, s0
	s_mul_i32 s3, s3, s4
	s_ashr_i32 s8, s0, 5
	s_ashr_i32 s0, s3, 31
	s_waitcnt lgkmcnt(0)
	s_add_u32 s1, s12, s3
	s_mul_i32 s2, s26, s11
	s_addc_u32 s0, s13, s0
	s_mul_hi_i32 s3, s2, 0x54
	s_mulk_i32 s2, 0x54
	s_add_u32 s27, s1, s2
	s_addc_u32 s28, s0, s3
	s_not_b32 s0, s11
	s_add_i32 s2, s0, s6
	v_and_b32_e32 v13, 0x3ff, v0
	v_lshlrev_b32_e32 v4, 2, v13
	v_min_i32_e32 v3, s2, v2
	s_movk_i32 s3, 0x84
	v_mul_lo_u32 v14, v3, s26
                                        ; kill: def $vgpr5 killed $sgpr0 killed $exec
	v_mad_u64_u32 v[16:17], s[0:1], v3, s3, v[4:5]
	v_add_u32_e32 v3, 8, v2
	v_min_i32_e32 v3, s2, v3
	v_mul_lo_u32 v18, v3, s26
	v_mad_u64_u32 v[20:21], s[0:1], v3, s3, v[4:5]
	v_add_u32_e32 v3, 16, v2
	v_min_i32_e32 v3, s2, v3
	v_mul_lo_u32 v22, v3, s26
	;; [unrolled: 4-line block ×15, first 2 shown]
	v_mad_u64_u32 v[76:77], s[0:1], v3, s3, v[4:5]
	v_lshlrev_b32_e32 v3, 4, v2
	v_lshrrev_b32_e32 v5, 1, v13
	v_add_u32_e32 v5, v5, v3
	v_and_b32_e32 v5, 0x7f, v5
	v_min_i32_e32 v5, s2, v5
	v_ashrrev_i32_e32 v6, 31, v5
	v_lshrrev_b32_e32 v6, 28, v6
	v_add_u32_e32 v6, v5, v6
	v_and_b32_e32 v78, 1, v13
	v_ashrrev_i32_e32 v6, 4, v6
	v_lshlrev_b32_e32 v6, 2, v6
	v_lshlrev_b32_e32 v7, 2, v78
	s_movk_i32 s0, 0x5280
	v_lshlrev_b32_e32 v8, 2, v2
	v_lshrrev_b32_e32 v15, 3, v13
	v_mul_lo_u32 v80, v5, s26
	v_add3_u32 v6, v6, v7, s0
	v_lshlrev_b32_e32 v7, 3, v5
	v_add_u32_e32 v5, v15, v8
	v_min_i32_e32 v17, s2, v5
	v_ashrrev_i32_e32 v19, 31, v17
	v_lshrrev_b32_e32 v19, 30, v19
	v_and_b32_e32 v9, 7, v13
	v_mul_lo_u32 v86, v17, s26
	v_add_u32_e32 v19, v17, v19
	v_lshlrev_b32_e32 v77, 5, v17
	v_add_u32_e32 v17, 32, v5
	v_cmp_lt_u32_e32 vcc, 3, v9
	v_and_b32_e32 v19, -4, v19
	v_lshlrev_b32_e32 v9, 2, v9
	s_movk_i32 s1, 0x4200
	v_min_i32_e32 v17, s2, v17
	v_add3_u32 v75, v19, v9, s1
	v_ashrrev_i32_e32 v19, 31, v17
	v_lshrrev_b32_e32 v19, 30, v19
	v_mul_lo_u32 v88, v17, s26
	v_add_u32_e32 v19, v17, v19
	v_lshlrev_b32_e32 v81, 5, v17
	v_add_u32_e32 v17, 64, v5
	v_and_b32_e32 v19, -4, v19
	v_min_i32_e32 v17, s2, v17
	v_add3_u32 v79, v19, v9, s1
	v_ashrrev_i32_e32 v19, 31, v17
	v_add_u32_e32 v5, 0x60, v5
	v_lshrrev_b32_e32 v19, 30, v19
	v_min_i32_e32 v5, s2, v5
	v_mul_lo_u32 v90, v17, s26
	v_add_u32_e32 v19, v17, v19
	v_lshlrev_b32_e32 v87, 5, v17
	v_ashrrev_i32_e32 v17, 31, v5
	v_lshrrev_b32_e32 v17, 30, v17
	v_add_u32_e32 v17, v5, v17
	v_and_b32_e32 v19, -4, v19
	v_and_b32_e32 v17, -4, v17
	v_and_b32_e32 v10, 60, v4
	v_and_b32_e32 v84, 12, v4
	v_add3_u32 v83, v19, v9, s1
	v_mul_lo_u32 v92, v5, s26
	v_add3_u32 v9, v17, v9, s1
	v_lshlrev_b32_e32 v89, 5, v5
	v_and_b32_e32 v17, 31, v13
	v_and_b32_e32 v4, 28, v4
	v_mov_b32_e32 v5, v11
	v_lshlrev_b32_e32 v2, 7, v2
	v_lshl_add_u64 v[94:95], s[14:15], 0, v[4:5]
	v_lshl_or_b32 v4, v17, 2, v2
	v_lshrrev_b32_e32 v12, 4, v13
	v_add_u32_e32 v17, 0x56a0, v4
	v_or_b32_e32 v4, v8, v13
	v_mov_b32_e32 v5, 0x5aa0
	v_lshl_add_u32 v19, v4, 2, v5
	v_lshlrev_b32_e32 v4, 3, v13
	v_lshlrev_b32_e32 v23, 2, v12
	v_add_u32_e32 v5, 32, v13
	v_add3_u32 v23, v23, v4, s0
	v_mov_b32_e32 v4, 0x1080
	v_mad_u32_u24 v25, v13, s3, v4
	v_lshrrev_b32_e32 v4, 2, v5
	v_lshlrev_b32_e32 v8, 3, v5
	v_and_b32_e32 v4, 0x7c, v4
	v_add_u32_e32 v47, 64, v13
	v_add3_u32 v27, v8, v4, s0
	v_mov_b32_e32 v4, 0x2100
	v_mad_u32_u24 v29, v13, s3, v4
	v_lshrrev_b32_e32 v4, 2, v47
	s_abs_i32 s2, s10
	v_lshlrev_b32_e32 v31, 3, v47
	v_and_b32_e32 v4, 0x7c, v4
	v_cvt_f32_u32_e32 v8, s2
	v_add_u32_e32 v43, 0x60, v13
	v_add3_u32 v31, v31, v4, s0
	v_mov_b32_e32 v4, 0x3180
	v_mad_u32_u24 v33, v13, s3, v4
	v_lshrrev_b32_e32 v4, 2, v43
	v_lshlrev_b32_e32 v35, 3, v43
	v_and_b32_e32 v4, 0x7c, v4
	v_add3_u32 v35, v35, v4, s0
	v_rcp_iflag_f32_e32 v4, v8
	s_sub_i32 s0, 0, s2
	s_waitcnt vmcnt(0)
	v_sub_u32_e32 v45, 0, v1
	v_max_i32_e32 v45, v1, v45
	v_mul_f32_e32 v4, 0x4f7ffffe, v4
	v_cvt_u32_f32_e32 v4, v4
	v_xor_b32_e32 v8, s10, v1
	s_add_u32 s12, s14, 0x90
	v_ashrrev_i32_e32 v8, 31, v8
	v_mul_lo_u32 v49, s0, v4
	v_mul_hi_u32 v49, v4, v49
	v_add_u32_e32 v4, v4, v49
	v_mul_hi_u32 v4, v45, v4
	v_mul_lo_u32 v49, v4, s2
	v_sub_u32_e32 v45, v45, v49
	v_add_u32_e32 v49, 1, v4
	v_cmp_le_u32_e64 s[0:1], s2, v45
	s_addc_u32 s13, s15, 0
	s_add_u32 s20, s14, 0x120
	v_cndmask_b32_e64 v4, v4, v49, s[0:1]
	v_subrev_u32_e32 v49, s2, v45
	v_cndmask_b32_e64 v45, v45, v49, s[0:1]
	v_add_u32_e32 v49, 1, v4
	v_cmp_le_u32_e64 s[0:1], s2, v45
	s_addc_u32 s21, s15, 0
	v_lshrrev_b32_e32 v39, 3, v47
	v_cndmask_b32_e64 v4, v4, v49, s[0:1]
	v_xor_b32_e32 v4, v4, v8
	v_sub_u32_e32 v4, v4, v8
	v_lshrrev_b32_e32 v41, 3, v43
	v_mul_lo_u32 v100, v4, s8
	s_add_u32 s22, s14, 0x1b0
	v_and_b32_e32 v43, 0x1fc, v43
	v_lshlrev_b32_e32 v45, 5, v13
	v_and_b32_e32 v47, 0x1fc, v47
	v_and_b32_e32 v49, 0x1fc, v5
	v_and_b32_e32 v51, 0xfc, v13
	s_movk_i32 s4, 0x54
	v_cndmask_b32_e64 v82, 0, 1, vcc
	v_mov_b32_e32 v85, v11
	v_cmp_gt_u32_e32 vcc, 4, v13
	v_mul_u32_u24_e32 v21, 0x84, v13
	v_lshrrev_b32_e32 v37, 3, v5
	v_cmp_gt_i32_e64 s[0:1], s7, v4
	v_ashrrev_i32_e32 v101, 31, v100
	s_addc_u32 s23, s15, 0
	v_add_u32_e32 v53, 0x56a0, v2
	v_add_u32_e32 v55, 0x5aa0, v3
	;; [unrolled: 1-line block ×10, first 2 shown]
	v_mov_b64_e32 v[98:99], s[18:19]
	v_add_u32_e32 v73, v6, v7
	v_add_u32_e32 v75, v75, v77
	;; [unrolled: 1-line block ×5, first 2 shown]
	s_mov_b32 s6, 0x1010101
	v_mov_b32_e32 v83, 4
	v_mov_b32_e32 v87, 15
	v_mov_b64_e32 v[96:97], s[18:19]
	s_branch .LBB228_5
.LBB228_4:                              ;   in Loop: Header=BB228_5 Depth=1
	s_add_i32 s18, s18, 2
	s_cmp_ge_i32 s18, s26
	s_cbranch_scc1 .LBB228_38
.LBB228_5:                              ; =>This Loop Header: Depth=1
                                        ;     Child Loop BB228_12 Depth 2
                                        ;     Child Loop BB228_20 Depth 2
	;; [unrolled: 1-line block ×4, first 2 shown]
	s_mul_i32 s2, s18, 0x54
	s_mul_hi_u32 s3, s18, 0x54
	s_add_u32 s2, s27, s2
	s_addc_u32 s3, s28, s3
	v_mov_b64_e32 v[2:3], s[2:3]
	v_mad_u64_u32 v[4:5], s[2:3], v12, s4, v[2:3]
	v_lshl_add_u64 v[4:5], v[4:5], 0, v[10:11]
	v_lshl_add_u64 v[4:5], v[4:5], 0, 16
	v_mad_i64_i32 v[6:7], s[2:3], v14, s4, v[4:5]
	v_mad_i64_i32 v[8:9], s[2:3], v18, s4, v[4:5]
	;; [unrolled: 1-line block ×8, first 2 shown]
	global_load_dword v89, v[6:7], off
	global_load_dword v91, v[8:9], off
	;; [unrolled: 1-line block ×8, first 2 shown]
	v_mad_i64_i32 v[6:7], s[2:3], v46, s4, v[4:5]
	v_mad_i64_i32 v[8:9], s[2:3], v50, s4, v[4:5]
	;; [unrolled: 1-line block ×8, first 2 shown]
	global_load_dword v112, v[6:7], off
	global_load_dword v113, v[8:9], off
	;; [unrolled: 1-line block ×8, first 2 shown]
	v_mad_i64_i32 v[4:5], s[2:3], v80, s4, v[2:3]
	v_mad_u64_u32 v[2:3], s[2:3], v82, s4, v[2:3]
	v_lshl_add_u64 v[2:3], v[2:3], 0, v[84:85]
	v_mad_u64_u32 v[4:5], s[2:3], v78, s4, v[4:5]
	v_mad_i64_i32 v[6:7], s[2:3], v86, s4, v[2:3]
	v_mad_i64_i32 v[8:9], s[2:3], v88, s4, v[2:3]
	;; [unrolled: 1-line block ×4, first 2 shown]
	global_load_dword v104, v[4:5], off offset:80
	global_load_dword v105, v[6:7], off
	global_load_dword v106, v[8:9], off
	;; [unrolled: 1-line block ×3, first 2 shown]
	s_lshl_b32 s29, s18, 8
	global_load_dword v2, v[2:3], off
	s_cmp_lt_i32 s29, s5
	s_waitcnt vmcnt(20)
	ds_write_b32 v16, v89
	s_waitcnt vmcnt(19)
	ds_write_b32 v20, v91
	;; [unrolled: 2-line block ×21, first 2 shown]
	s_cbranch_scc0 .LBB228_4
; %bb.6:                                ;   in Loop: Header=BB228_5 Depth=1
	s_lshl_b32 s19, s18, 3
	v_add_u32_e32 v2, s19, v15
	v_cmp_gt_i32_e64 s[2:3], s8, v2
	s_and_b64 s[24:25], s[0:1], s[2:3]
	s_and_saveexec_b64 s[2:3], s[24:25]
	s_cbranch_execz .LBB228_8
; %bb.7:                                ;   in Loop: Header=BB228_5 Depth=1
	v_add_u32_e32 v2, v100, v2
	v_mad_i64_i32 v[2:3], s[24:25], v2, 36, v[94:95]
	global_load_dword v2, v[2:3], off offset:4
	s_waitcnt vmcnt(0)
	ds_write_b32 v17, v2
.LBB228_8:                              ;   in Loop: Header=BB228_5 Depth=1
	s_or_b64 exec, exec, s[2:3]
	s_and_saveexec_b64 s[24:25], vcc
	s_cbranch_execz .LBB228_11
; %bb.9:                                ;   in Loop: Header=BB228_5 Depth=1
	v_or_b32_e32 v2, s19, v13
	v_cmp_gt_i32_e64 s[2:3], s8, v2
	s_and_b64 s[2:3], s[0:1], s[2:3]
	s_and_b64 exec, exec, s[2:3]
	s_cbranch_execz .LBB228_11
; %bb.10:                               ;   in Loop: Header=BB228_5 Depth=1
	v_add_u32_e32 v2, v100, v2
	v_mad_i64_i32 v[2:3], s[2:3], v2, 36, s[14:15]
	global_load_dword v2, v[2:3], off
	s_waitcnt vmcnt(0)
	v_cvt_f32_f16_e32 v2, v2
	ds_write_b32 v19, v2
.LBB228_11:                             ;   in Loop: Header=BB228_5 Depth=1
	s_or_b64 exec, exec, s[24:25]
	s_mov_b32 s2, 0
	s_mov_b32 s3, -2
	v_mov_b32_e32 v89, v55
	v_mov_b32_e32 v91, v53
	s_waitcnt lgkmcnt(0)
	s_barrier
.LBB228_12:                             ;   Parent Loop BB228_5 Depth=1
                                        ; =>  This Inner Loop Header: Depth=2
	s_and_b32 s25, s2, -16
	s_add_i32 s24, s3, 2
	v_add_u32_e32 v104, s25, v45
	s_and_b32 s25, s24, 0x3ffffff8
	s_lshr_b32 s30, s24, 2
	s_lshl_b32 s25, s25, 2
	s_and_b32 s30, s30, 0x3ffffffc
	v_add3_u32 v116, v51, s3, v104
	v_add3_u32 v120, v49, s3, v104
	;; [unrolled: 1-line block ×4, first 2 shown]
	v_add_u32_e32 v110, s25, v21
	v_add_u32_e32 v117, s30, v23
	;; [unrolled: 1-line block ×8, first 2 shown]
	ds_read_b32 v102, v89
	ds_read_b128 v[6:9], v91
	ds_read_b128 v[2:5], v91 offset:16
	ds_read2_b32 v[104:105], v110 offset1:1
	ds_read2_b32 v[106:107], v110 offset0:2 offset1:3
	ds_read2_b32 v[108:109], v110 offset0:4 offset1:5
	;; [unrolled: 1-line block ×3, first 2 shown]
	ds_read2_b32 v[112:113], v118 offset1:1
	ds_read2_b32 v[114:115], v118 offset0:2 offset1:3
	ds_read_b32 v148, v117
	ds_read_u16 v149, v116 offset:16898
	ds_read2_b32 v[116:117], v118 offset0:4 offset1:5
	ds_read2_b32 v[118:119], v118 offset0:6 offset1:7
	ds_read_b32 v150, v121
	ds_read_u16 v151, v120 offset:17922
	ds_read2_b32 v[120:121], v126 offset1:1
	ds_read2_b32 v[122:123], v126 offset0:2 offset1:3
	ds_read2_b32 v[124:125], v126 offset0:4 offset1:5
	;; [unrolled: 1-line block ×3, first 2 shown]
	ds_read2_b32 v[128:129], v134 offset1:1
	ds_read2_b32 v[130:131], v134 offset0:2 offset1:3
	ds_read_b32 v152, v133
	ds_read_u16 v153, v132 offset:18946
	ds_read2_b32 v[132:133], v134 offset0:4 offset1:5
	ds_read2_b32 v[134:135], v134 offset0:6 offset1:7
	ds_read_b32 v147, v147
	ds_read_u16 v146, v146 offset:19970
	s_waitcnt lgkmcnt(14)
	v_ashrrev_i32_e32 v154, s24, v104
	v_ashrrev_i32_e32 v155, s24, v105
	;; [unrolled: 1-line block ×8, first 2 shown]
	v_bfe_u32 v162, v149, 4, 4
	v_lshrrev_b32_sdwa v164, v83, v149 dst_sel:DWORD dst_unused:UNUSED_PAD src0_sel:DWORD src1_sel:BYTE_1
	s_waitcnt lgkmcnt(12)
	v_bfe_u32 v165, v151, 4, 4
	v_lshrrev_b32_sdwa v167, v83, v151 dst_sel:DWORD dst_unused:UNUSED_PAD src0_sel:DWORD src1_sel:BYTE_1
	v_cvt_f32_f16_e32 v104, v148
	v_cvt_f32_f16_sdwa v106, v148 dst_sel:DWORD dst_unused:UNUSED_PAD src0_sel:WORD_1
	s_waitcnt lgkmcnt(4)
	v_bfe_u32 v148, v153, 4, 4
	s_waitcnt lgkmcnt(0)
	v_bfe_u32 v169, v146, 4, 4
	v_mov_b32_e32 v103, 0
	v_mov_b32_e32 v138, 0
	;; [unrolled: 1-line block ×4, first 2 shown]
	v_cvt_f32_f16_e32 v109, v147
	v_cvt_f32_f16_e32 v108, v152
	v_cvt_f32_f16_sdwa v111, v147 dst_sel:DWORD dst_unused:UNUSED_PAD src0_sel:WORD_1
	v_cvt_f32_f16_sdwa v110, v152 dst_sel:DWORD dst_unused:UNUSED_PAD src0_sel:WORD_1
	v_and_b32_e32 v147, 0x3030303, v154
	v_and_b32_e32 v152, 0x3030303, v155
	;; [unrolled: 1-line block ×8, first 2 shown]
	v_mul_lo_u32 v160, v162, s6
	v_mul_lo_u32 v161, v164, s6
	v_mul_lo_u32 v162, v165, s6
	v_mul_lo_u32 v164, v167, s6
	v_mul_lo_u32 v148, v148, s6
	v_mul_lo_u32 v167, v169, s6
	v_ashrrev_i32_e32 v112, s24, v112
	v_ashrrev_i32_e32 v128, s24, v128
	v_dot4c_i32_i8_e32 v103, v160, v6
	v_dot4c_i32_i8_e32 v138, v162, v6
	;; [unrolled: 1-line block ×4, first 2 shown]
	v_mov_b32_e32 v137, 0
	v_mov_b32_e32 v143, 0
	v_ashrrev_i32_e32 v113, s24, v113
	v_ashrrev_i32_e32 v116, s24, v116
	;; [unrolled: 1-line block ×5, first 2 shown]
	v_and_b32_e32 v112, 0x3030303, v112
	v_and_b32_e32 v128, 0x3030303, v128
	v_dot4c_i32_i8_e32 v103, v160, v7
	v_dot4c_i32_i8_e32 v138, v162, v7
	;; [unrolled: 1-line block ×4, first 2 shown]
	v_mov_b32_e32 v93, 0
	v_mov_b32_e32 v139, 0
	;; [unrolled: 1-line block ×4, first 2 shown]
	v_ashrrev_i32_e32 v114, s24, v114
	v_ashrrev_i32_e32 v117, s24, v117
	;; [unrolled: 1-line block ×4, first 2 shown]
	v_lshrrev_b32_sdwa v168, v83, v153 dst_sel:DWORD dst_unused:UNUSED_PAD src0_sel:DWORD src1_sel:BYTE_1
	v_ashrrev_i32_e32 v130, s24, v130
	v_ashrrev_i32_e32 v133, s24, v133
	v_lshrrev_b32_sdwa v171, v83, v146 dst_sel:DWORD dst_unused:UNUSED_PAD src0_sel:DWORD src1_sel:BYTE_1
	v_and_b32_e32 v113, 0x3030303, v113
	v_and_b32_e32 v116, 0x3030303, v116
	;; [unrolled: 1-line block ×5, first 2 shown]
	v_dot4c_i32_i8_e32 v137, v112, v6
	v_dot4c_i32_i8_e32 v143, v128, v6
	;; [unrolled: 1-line block ×6, first 2 shown]
	v_mov_b32_e32 v136, 0
	v_mov_b32_e32 v142, 0
	v_ashrrev_i32_e32 v115, s24, v115
	v_ashrrev_i32_e32 v118, s24, v118
	;; [unrolled: 1-line block ×6, first 2 shown]
	v_and_b32_e32 v114, 0x3030303, v114
	v_and_b32_e32 v117, 0x3030303, v117
	;; [unrolled: 1-line block ×4, first 2 shown]
	v_mul_lo_u32 v165, v168, s6
	v_and_b32_e32 v130, 0x3030303, v130
	v_and_b32_e32 v133, 0x3030303, v133
	v_mul_lo_u32 v168, v171, s6
	v_dot4c_i32_i8_e32 v93, v147, v6
	v_dot4c_i32_i8_e32 v139, v116, v2
	;; [unrolled: 1-line block ×10, first 2 shown]
	v_ashrrev_i32_e32 v119, s24, v119
	v_ashrrev_i32_e32 v123, s24, v123
	;; [unrolled: 1-line block ×4, first 2 shown]
	v_and_b32_e32 v115, 0x3030303, v115
	v_and_b32_e32 v118, 0x3030303, v118
	;; [unrolled: 1-line block ×6, first 2 shown]
	v_dot4c_i32_i8_e32 v136, v156, v2
	v_dot4c_i32_i8_e32 v142, v124, v2
	;; [unrolled: 1-line block ×12, first 2 shown]
	v_and_b32_e32 v166, 15, v151
	v_ashrrev_i32_e32 v127, s24, v127
	v_and_b32_e32 v170, 15, v146
	v_and_b32_e32 v119, 0x3030303, v119
	;; [unrolled: 1-line block ×5, first 2 shown]
	v_dot4c_i32_i8_e32 v136, v157, v3
	v_dot4c_i32_i8_e32 v142, v125, v3
	;; [unrolled: 1-line block ×12, first 2 shown]
	s_add_i32 s2, s2, 2
	v_and_b32_e32 v163, 15, v149
	v_and_b32_sdwa v151, v151, v87 dst_sel:DWORD dst_unused:UNUSED_PAD src0_sel:BYTE_1 src1_sel:DWORD
	v_cvt_f32_f16_e32 v105, v150
	v_cvt_f32_f16_sdwa v107, v150 dst_sel:DWORD dst_unused:UNUSED_PAD src0_sel:WORD_1
	v_and_b32_e32 v150, 15, v153
	v_and_b32_sdwa v146, v146, v87 dst_sel:DWORD dst_unused:UNUSED_PAD src0_sel:BYTE_1 src1_sel:DWORD
	v_and_b32_e32 v127, 0x3030303, v127
	v_dot4c_i32_i8_e32 v136, v158, v4
	v_dot4c_i32_i8_e32 v142, v126, v4
	v_dot4c_i32_i8_e32 v93, v155, v9
	v_dot4c_i32_i8_e32 v139, v119, v5
	v_dot4c_i32_i8_e32 v140, v123, v9
	v_dot4c_i32_i8_e32 v145, v135, v5
	v_mul_lo_u32 v8, v166, v137
	v_mul_lo_u32 v114, v170, v143
	v_dot4c_i32_i8_e32 v103, v161, v4
	v_dot4c_i32_i8_e32 v138, v164, v4
	;; [unrolled: 1-line block ×4, first 2 shown]
	s_mov_b32 s3, s24
	s_cmp_lt_u32 s24, 6
	v_and_b32_sdwa v149, v149, v87 dst_sel:DWORD dst_unused:UNUSED_PAD src0_sel:BYTE_1 src1_sel:DWORD
	v_and_b32_sdwa v153, v153, v87 dst_sel:DWORD dst_unused:UNUSED_PAD src0_sel:BYTE_1 src1_sel:DWORD
	v_dot4c_i32_i8_e32 v136, v159, v5
	v_dot4c_i32_i8_e32 v142, v127, v5
	v_mul_lo_u32 v6, v163, v93
	v_mul_lo_u32 v112, v150, v140
	v_mad_u64_u32 v[8:9], s[24:25], v151, v139, v[8:9]
	v_mad_u64_u32 v[2:3], s[24:25], v146, v145, v[114:115]
	v_dot4c_i32_i8_e32 v103, v161, v5
	v_dot4c_i32_i8_e32 v138, v164, v5
	;; [unrolled: 1-line block ×4, first 2 shown]
	v_mad_u64_u32 v[6:7], s[24:25], v149, v136, v[6:7]
	v_mad_u64_u32 v[112:113], s[24:25], v153, v142, v[112:113]
	v_cvt_f32_i32_e32 v9, v2
	v_cvt_f32_i32_e32 v3, v138
	;; [unrolled: 1-line block ×8, first 2 shown]
	v_pk_mul_f32 v[2:3], v[106:107], v[2:3]
	v_pk_mul_f32 v[4:5], v[110:111], v[4:5]
	v_pk_fma_f32 v[2:3], v[6:7], v[104:105], v[2:3] neg_lo:[0,0,1] neg_hi:[0,0,1]
	v_pk_fma_f32 v[4:5], v[8:9], v[108:109], v[4:5] neg_lo:[0,0,1] neg_hi:[0,0,1]
	v_add_u32_e32 v91, 32, v91
	v_add_u32_e32 v89, 4, v89
	v_pk_fma_f32 v[98:99], v[102:103], v[2:3], v[98:99] op_sel_hi:[0,1,1]
	v_pk_fma_f32 v[96:97], v[102:103], v[4:5], v[96:97] op_sel_hi:[0,1,1]
	s_cbranch_scc1 .LBB228_12
; %bb.13:                               ;   in Loop: Header=BB228_5 Depth=1
	s_or_b32 s2, s29, 0x80
	s_cmp_ge_i32 s2, s5
	s_barrier
	s_cbranch_scc1 .LBB228_4
; %bb.14:                               ;   in Loop: Header=BB228_5 Depth=1
	v_add_u32_e32 v2, s19, v37
	v_cmp_gt_i32_e64 s[2:3], s8, v2
	s_and_b64 s[24:25], s[0:1], s[2:3]
	s_and_saveexec_b64 s[2:3], s[24:25]
	s_cbranch_execz .LBB228_16
; %bb.15:                               ;   in Loop: Header=BB228_5 Depth=1
	v_add_u32_e32 v2, v100, v2
	v_mad_i64_i32 v[2:3], s[24:25], v2, 36, v[94:95]
	global_load_dword v2, v[2:3], off offset:4
	s_waitcnt vmcnt(0)
	ds_write_b32 v17, v2
.LBB228_16:                             ;   in Loop: Header=BB228_5 Depth=1
	s_or_b64 exec, exec, s[2:3]
	s_and_saveexec_b64 s[24:25], vcc
	s_cbranch_execz .LBB228_19
; %bb.17:                               ;   in Loop: Header=BB228_5 Depth=1
	v_or_b32_e32 v2, s19, v13
	v_or_b32_e32 v3, 4, v2
	v_cmp_gt_i32_e64 s[2:3], s8, v3
	s_and_b64 s[2:3], s[0:1], s[2:3]
	s_and_b64 exec, exec, s[2:3]
	s_cbranch_execz .LBB228_19
; %bb.18:                               ;   in Loop: Header=BB228_5 Depth=1
	v_ashrrev_i32_e32 v3, 31, v2
	v_lshl_add_u64 v[2:3], v[100:101], 0, v[2:3]
	v_mad_u64_u32 v[4:5], s[2:3], v2, 36, s[12:13]
	v_mad_i32_i24 v5, v3, 36, v5
	global_load_dword v2, v[4:5], off
	s_waitcnt vmcnt(0)
	v_cvt_f32_f16_e32 v2, v2
	ds_write_b32 v19, v2
.LBB228_19:                             ;   in Loop: Header=BB228_5 Depth=1
	s_or_b64 exec, exec, s[24:25]
	s_mov_b32 s2, 8
	s_mov_b32 s3, 0
	v_mov_b32_e32 v89, v53
	v_mov_b32_e32 v91, v55
	s_waitcnt lgkmcnt(0)
	s_barrier
.LBB228_20:                             ;   Parent Loop BB228_5 Depth=1
                                        ; =>  This Inner Loop Header: Depth=2
	s_add_i32 s24, s3, 8
	s_and_b32 s25, s2, -16
	v_add_u32_e32 v93, s3, v45
	s_and_b32 s30, s24, 0x3ffffff8
	s_lshr_b32 s31, s24, 2
	v_add3_u32 v116, v63, s25, v93
	v_add3_u32 v120, v61, s25, v93
	v_add3_u32 v132, v59, s25, v93
	v_add3_u32 v93, v57, s25, v93
	s_lshl_b32 s25, s30, 2
	s_and_b32 s30, s31, 0x3ffffffc
	v_add_u32_e32 v110, s25, v21
	v_add_u32_e32 v117, s30, v23
	;; [unrolled: 1-line block ×8, first 2 shown]
	ds_read_b32 v102, v91
	ds_read_b128 v[6:9], v89
	ds_read_b128 v[2:5], v89 offset:16
	ds_read2_b32 v[104:105], v110 offset1:1
	ds_read2_b32 v[106:107], v110 offset0:2 offset1:3
	ds_read2_b32 v[108:109], v110 offset0:4 offset1:5
	;; [unrolled: 1-line block ×3, first 2 shown]
	ds_read2_b32 v[112:113], v118 offset1:1
	ds_read2_b32 v[114:115], v118 offset0:2 offset1:3
	ds_read_b32 v148, v117
	ds_read_u16 v149, v116
	ds_read2_b32 v[116:117], v118 offset0:4 offset1:5
	ds_read2_b32 v[118:119], v118 offset0:6 offset1:7
	ds_read_b32 v150, v121
	ds_read_u16 v151, v120
	ds_read2_b32 v[120:121], v126 offset1:1
	ds_read2_b32 v[122:123], v126 offset0:2 offset1:3
	ds_read2_b32 v[124:125], v126 offset0:4 offset1:5
	;; [unrolled: 1-line block ×3, first 2 shown]
	ds_read2_b32 v[128:129], v134 offset1:1
	ds_read2_b32 v[130:131], v134 offset0:2 offset1:3
	ds_read_b32 v152, v133
	ds_read_u16 v153, v132
	ds_read2_b32 v[132:133], v134 offset0:4 offset1:5
	ds_read2_b32 v[134:135], v134 offset0:6 offset1:7
	ds_read_b32 v147, v147
	ds_read_u16 v93, v93
	s_waitcnt lgkmcnt(14)
	v_ashrrev_i32_e32 v154, s3, v104
	v_ashrrev_i32_e32 v155, s3, v105
	;; [unrolled: 1-line block ×8, first 2 shown]
	v_bfe_u32 v162, v149, 4, 4
	v_lshrrev_b32_sdwa v164, v83, v149 dst_sel:DWORD dst_unused:UNUSED_PAD src0_sel:DWORD src1_sel:BYTE_1
	s_waitcnt lgkmcnt(12)
	v_bfe_u32 v165, v151, 4, 4
	v_lshrrev_b32_sdwa v167, v83, v151 dst_sel:DWORD dst_unused:UNUSED_PAD src0_sel:DWORD src1_sel:BYTE_1
	v_cvt_f32_f16_e32 v104, v148
	v_cvt_f32_f16_sdwa v106, v148 dst_sel:DWORD dst_unused:UNUSED_PAD src0_sel:WORD_1
	s_waitcnt lgkmcnt(4)
	v_bfe_u32 v148, v153, 4, 4
	s_waitcnt lgkmcnt(0)
	v_bfe_u32 v169, v93, 4, 4
	v_mov_b32_e32 v136, 0
	v_mov_b32_e32 v139, 0
	;; [unrolled: 1-line block ×4, first 2 shown]
	v_cvt_f32_f16_e32 v109, v147
	v_cvt_f32_f16_e32 v108, v152
	v_cvt_f32_f16_sdwa v111, v147 dst_sel:DWORD dst_unused:UNUSED_PAD src0_sel:WORD_1
	v_cvt_f32_f16_sdwa v110, v152 dst_sel:DWORD dst_unused:UNUSED_PAD src0_sel:WORD_1
	v_and_b32_e32 v147, 0x3030303, v154
	v_and_b32_e32 v152, 0x3030303, v155
	;; [unrolled: 1-line block ×8, first 2 shown]
	v_mul_lo_u32 v160, v162, s6
	v_mul_lo_u32 v161, v164, s6
	;; [unrolled: 1-line block ×6, first 2 shown]
	v_ashrrev_i32_e32 v112, s3, v112
	v_dot4c_i32_i8_e32 v136, v160, v6
	v_dot4c_i32_i8_e32 v139, v162, v6
	;; [unrolled: 1-line block ×4, first 2 shown]
	v_mov_b32_e32 v103, 0
	v_mov_b32_e32 v138, 0
	v_ashrrev_i32_e32 v113, s3, v113
	v_ashrrev_i32_e32 v116, s3, v116
	;; [unrolled: 1-line block ×4, first 2 shown]
	v_and_b32_e32 v112, 0x3030303, v112
	v_dot4c_i32_i8_e32 v136, v160, v7
	v_dot4c_i32_i8_e32 v139, v162, v7
	;; [unrolled: 1-line block ×4, first 2 shown]
	v_mov_b32_e32 v137, 0
	v_mov_b32_e32 v140, 0
	;; [unrolled: 1-line block ×4, first 2 shown]
	v_ashrrev_i32_e32 v114, s3, v114
	v_ashrrev_i32_e32 v117, s3, v117
	;; [unrolled: 1-line block ×4, first 2 shown]
	v_lshrrev_b32_sdwa v168, v83, v153 dst_sel:DWORD dst_unused:UNUSED_PAD src0_sel:DWORD src1_sel:BYTE_1
	v_ashrrev_i32_e32 v129, s3, v129
	v_ashrrev_i32_e32 v132, s3, v132
	v_lshrrev_b32_sdwa v171, v83, v93 dst_sel:DWORD dst_unused:UNUSED_PAD src0_sel:DWORD src1_sel:BYTE_1
	v_and_b32_e32 v113, 0x3030303, v113
	v_and_b32_e32 v116, 0x3030303, v116
	;; [unrolled: 1-line block ×4, first 2 shown]
	v_dot4c_i32_i8_e32 v103, v147, v6
	v_dot4c_i32_i8_e32 v138, v112, v6
	;; [unrolled: 1-line block ×6, first 2 shown]
	v_mov_b32_e32 v143, 0
	v_mov_b32_e32 v146, 0
	v_ashrrev_i32_e32 v115, s3, v115
	v_ashrrev_i32_e32 v118, s3, v118
	;; [unrolled: 1-line block ×6, first 2 shown]
	v_and_b32_e32 v114, 0x3030303, v114
	v_and_b32_e32 v117, 0x3030303, v117
	;; [unrolled: 1-line block ×4, first 2 shown]
	v_mul_lo_u32 v165, v168, s6
	v_and_b32_e32 v129, 0x3030303, v129
	v_and_b32_e32 v132, 0x3030303, v132
	v_mul_lo_u32 v168, v171, s6
	v_dot4c_i32_i8_e32 v137, v156, v2
	v_dot4c_i32_i8_e32 v140, v116, v2
	;; [unrolled: 1-line block ×10, first 2 shown]
	v_ashrrev_i32_e32 v119, s3, v119
	v_ashrrev_i32_e32 v123, s3, v123
	;; [unrolled: 1-line block ×5, first 2 shown]
	v_and_b32_e32 v115, 0x3030303, v115
	v_and_b32_e32 v118, 0x3030303, v118
	;; [unrolled: 1-line block ×6, first 2 shown]
	v_dot4c_i32_i8_e32 v143, v124, v2
	v_dot4c_i32_i8_e32 v146, v132, v2
	v_dot4c_i32_i8_e32 v137, v157, v3
	v_dot4c_i32_i8_e32 v140, v117, v3
	v_dot4c_i32_i8_e32 v141, v121, v7
	v_dot4c_i32_i8_e32 v144, v129, v7
	v_dot4c_i32_i8_e32 v103, v154, v8
	v_dot4c_i32_i8_e32 v138, v114, v8
	v_dot4c_i32_i8_e32 v136, v161, v2
	v_dot4c_i32_i8_e32 v139, v164, v2
	v_dot4c_i32_i8_e32 v142, v165, v2
	v_dot4c_i32_i8_e32 v145, v168, v2
	v_and_b32_e32 v163, 15, v149
	v_and_b32_e32 v166, 15, v151
	v_ashrrev_i32_e32 v127, s3, v127
	v_ashrrev_i32_e32 v135, s3, v135
	v_and_b32_e32 v119, 0x3030303, v119
	v_and_b32_e32 v123, 0x3030303, v123
	;; [unrolled: 1-line block ×5, first 2 shown]
	v_dot4c_i32_i8_e32 v143, v125, v3
	v_dot4c_i32_i8_e32 v146, v133, v3
	;; [unrolled: 1-line block ×12, first 2 shown]
	s_add_i32 s2, s2, 2
	v_and_b32_sdwa v149, v149, v87 dst_sel:DWORD dst_unused:UNUSED_PAD src0_sel:BYTE_1 src1_sel:DWORD
	v_and_b32_sdwa v151, v151, v87 dst_sel:DWORD dst_unused:UNUSED_PAD src0_sel:BYTE_1 src1_sel:DWORD
	v_cvt_f32_f16_e32 v105, v150
	v_cvt_f32_f16_sdwa v107, v150 dst_sel:DWORD dst_unused:UNUSED_PAD src0_sel:WORD_1
	v_and_b32_e32 v150, 15, v153
	v_and_b32_e32 v170, 15, v93
	s_add_i32 s3, s3, 2
	v_and_b32_e32 v127, 0x3030303, v127
	v_and_b32_e32 v135, 0x3030303, v135
	v_dot4c_i32_i8_e32 v143, v126, v4
	v_dot4c_i32_i8_e32 v146, v134, v4
	;; [unrolled: 1-line block ×6, first 2 shown]
	v_mul_lo_u32 v6, v163, v103
	v_mul_lo_u32 v8, v166, v138
	v_dot4c_i32_i8_e32 v136, v161, v4
	v_dot4c_i32_i8_e32 v139, v164, v4
	;; [unrolled: 1-line block ×4, first 2 shown]
	v_and_b32_sdwa v153, v153, v87 dst_sel:DWORD dst_unused:UNUSED_PAD src0_sel:BYTE_1 src1_sel:DWORD
	v_and_b32_sdwa v93, v93, v87 dst_sel:DWORD dst_unused:UNUSED_PAD src0_sel:BYTE_1 src1_sel:DWORD
	s_cmp_lt_u32 s24, 14
	v_dot4c_i32_i8_e32 v143, v127, v5
	v_dot4c_i32_i8_e32 v146, v135, v5
	v_mul_lo_u32 v112, v150, v141
	v_mul_lo_u32 v114, v170, v144
	v_mad_u64_u32 v[6:7], s[24:25], v149, v137, v[6:7]
	v_mad_u64_u32 v[8:9], s[24:25], v151, v140, v[8:9]
	v_dot4c_i32_i8_e32 v136, v161, v5
	v_dot4c_i32_i8_e32 v139, v164, v5
	;; [unrolled: 1-line block ×4, first 2 shown]
	v_mad_u64_u32 v[2:3], s[24:25], v153, v143, v[112:113]
	v_mad_u64_u32 v[112:113], s[24:25], v93, v146, v[114:115]
	v_cvt_f32_i32_e32 v7, v8
	v_cvt_f32_i32_e32 v5, v139
	;; [unrolled: 1-line block ×8, first 2 shown]
	v_pk_mul_f32 v[4:5], v[106:107], v[4:5]
	v_pk_mul_f32 v[8:9], v[110:111], v[8:9]
	v_pk_fma_f32 v[4:5], v[104:105], v[6:7], v[4:5] neg_lo:[0,0,1] neg_hi:[0,0,1]
	v_pk_fma_f32 v[2:3], v[108:109], v[2:3], v[8:9] neg_lo:[0,0,1] neg_hi:[0,0,1]
	v_add_u32_e32 v91, 4, v91
	v_add_u32_e32 v89, 32, v89
	v_pk_fma_f32 v[98:99], v[102:103], v[4:5], v[98:99] op_sel_hi:[0,1,1]
	v_pk_fma_f32 v[96:97], v[102:103], v[2:3], v[96:97] op_sel_hi:[0,1,1]
	s_cbranch_scc1 .LBB228_20
; %bb.21:                               ;   in Loop: Header=BB228_5 Depth=1
	s_or_b32 s2, s29, 0x100
	s_cmp_ge_i32 s2, s5
	s_barrier
	s_cbranch_scc1 .LBB228_4
; %bb.22:                               ;   in Loop: Header=BB228_5 Depth=1
	v_add_u32_e32 v2, s19, v39
	v_cmp_gt_i32_e64 s[2:3], s8, v2
	s_and_b64 s[24:25], s[0:1], s[2:3]
	s_and_saveexec_b64 s[2:3], s[24:25]
	s_cbranch_execz .LBB228_24
; %bb.23:                               ;   in Loop: Header=BB228_5 Depth=1
	v_add_u32_e32 v2, v100, v2
	v_mad_i64_i32 v[2:3], s[24:25], v2, 36, v[94:95]
	global_load_dword v2, v[2:3], off offset:4
	s_waitcnt vmcnt(0)
	ds_write_b32 v17, v2
.LBB228_24:                             ;   in Loop: Header=BB228_5 Depth=1
	s_or_b64 exec, exec, s[2:3]
	s_and_saveexec_b64 s[24:25], vcc
	s_cbranch_execz .LBB228_27
; %bb.25:                               ;   in Loop: Header=BB228_5 Depth=1
	v_or_b32_e32 v2, s19, v13
	v_or_b32_e32 v3, 8, v2
	v_cmp_gt_i32_e64 s[2:3], s8, v3
	s_and_b64 s[2:3], s[0:1], s[2:3]
	s_and_b64 exec, exec, s[2:3]
	s_cbranch_execz .LBB228_27
; %bb.26:                               ;   in Loop: Header=BB228_5 Depth=1
	v_ashrrev_i32_e32 v3, 31, v2
	v_lshl_add_u64 v[2:3], v[100:101], 0, v[2:3]
	v_mad_u64_u32 v[4:5], s[2:3], v2, 36, s[20:21]
	v_mad_i32_i24 v5, v3, 36, v5
	global_load_dword v2, v[4:5], off
	s_waitcnt vmcnt(0)
	v_cvt_f32_f16_e32 v2, v2
	ds_write_b32 v19, v2
.LBB228_27:                             ;   in Loop: Header=BB228_5 Depth=1
	s_or_b64 exec, exec, s[24:25]
	s_mov_b32 s2, 16
	s_mov_b32 s3, 14
	v_mov_b32_e32 v89, v53
	v_mov_b32_e32 v91, v55
	s_waitcnt lgkmcnt(0)
	s_barrier
.LBB228_28:                             ;   Parent Loop BB228_5 Depth=1
                                        ; =>  This Inner Loop Header: Depth=2
	s_add_i32 s25, s3, 2
	s_and_b32 s30, s2, -16
	s_and_b32 s31, s25, 0x3ffffff8
	s_lshr_b32 s33, s25, 2
	s_add_i32 s30, s3, s30
	s_lshl_b32 s31, s31, 2
	s_and_b32 s33, s33, 0x3ffffffc
	v_add_u32_e32 v116, s30, v71
	v_add_u32_e32 v120, s30, v69
	;; [unrolled: 1-line block ×12, first 2 shown]
	ds_read_b32 v102, v91
	ds_read_b128 v[6:9], v89
	ds_read_b128 v[2:5], v89 offset:16
	ds_read2_b32 v[104:105], v110 offset1:1
	ds_read2_b32 v[106:107], v110 offset0:2 offset1:3
	ds_read2_b32 v[108:109], v110 offset0:4 offset1:5
	;; [unrolled: 1-line block ×3, first 2 shown]
	ds_read2_b32 v[112:113], v118 offset1:1
	ds_read2_b32 v[114:115], v118 offset0:2 offset1:3
	ds_read_b32 v148, v117
	ds_read_u16 v149, v116 offset:16882
	ds_read2_b32 v[116:117], v118 offset0:4 offset1:5
	ds_read2_b32 v[118:119], v118 offset0:6 offset1:7
	ds_read_b32 v150, v121
	ds_read_u16 v151, v120 offset:17906
	ds_read2_b32 v[120:121], v126 offset1:1
	ds_read2_b32 v[122:123], v126 offset0:2 offset1:3
	ds_read2_b32 v[124:125], v126 offset0:4 offset1:5
	ds_read2_b32 v[126:127], v126 offset0:6 offset1:7
	ds_read2_b32 v[128:129], v134 offset1:1
	ds_read2_b32 v[130:131], v134 offset0:2 offset1:3
	ds_read_b32 v152, v133
	ds_read_u16 v153, v132 offset:18930
	ds_read2_b32 v[132:133], v134 offset0:4 offset1:5
	ds_read2_b32 v[134:135], v134 offset0:6 offset1:7
	ds_read_b32 v147, v147
	ds_read_u16 v146, v146 offset:19954
	s_add_i32 s24, s3, -14
	s_waitcnt lgkmcnt(14)
	v_ashrrev_i32_e32 v154, s24, v104
	v_ashrrev_i32_e32 v156, s24, v106
	;; [unrolled: 1-line block ×4, first 2 shown]
	v_bfe_u32 v162, v149, 4, 4
	s_waitcnt lgkmcnt(12)
	v_bfe_u32 v164, v151, 4, 4
	v_cvt_f32_f16_e32 v104, v148
	v_cvt_f32_f16_sdwa v106, v148 dst_sel:DWORD dst_unused:UNUSED_PAD src0_sel:WORD_1
	s_waitcnt lgkmcnt(4)
	v_bfe_u32 v148, v153, 4, 4
	s_waitcnt lgkmcnt(0)
	v_bfe_u32 v168, v146, 4, 4
	v_mov_b32_e32 v103, 0
	v_mov_b32_e32 v138, 0
	;; [unrolled: 1-line block ×4, first 2 shown]
	v_ashrrev_i32_e32 v159, s24, v109
	v_ashrrev_i32_e32 v161, s24, v111
	v_cvt_f32_f16_e32 v109, v147
	v_cvt_f32_f16_sdwa v111, v147 dst_sel:DWORD dst_unused:UNUSED_PAD src0_sel:WORD_1
	v_and_b32_e32 v147, 0x3030303, v154
	v_and_b32_e32 v154, 0x3030303, v156
	;; [unrolled: 1-line block ×4, first 2 shown]
	v_mul_lo_u32 v160, v162, s6
	v_mul_lo_u32 v162, v164, s6
	;; [unrolled: 1-line block ×4, first 2 shown]
	v_ashrrev_i32_e32 v112, s24, v112
	v_dot4c_i32_i8_e32 v103, v160, v6
	v_dot4c_i32_i8_e32 v138, v162, v6
	;; [unrolled: 1-line block ×4, first 2 shown]
	v_mov_b32_e32 v93, 0
	v_mov_b32_e32 v137, 0
	v_ashrrev_i32_e32 v155, s24, v105
	v_ashrrev_i32_e32 v113, s24, v113
	;; [unrolled: 1-line block ×5, first 2 shown]
	v_and_b32_e32 v112, 0x3030303, v112
	v_dot4c_i32_i8_e32 v103, v160, v7
	v_dot4c_i32_i8_e32 v138, v162, v7
	;; [unrolled: 1-line block ×4, first 2 shown]
	v_mov_b32_e32 v136, 0
	v_mov_b32_e32 v139, 0
	;; [unrolled: 1-line block ×4, first 2 shown]
	v_ashrrev_i32_e32 v157, s24, v107
	v_lshrrev_b32_sdwa v163, v83, v149 dst_sel:DWORD dst_unused:UNUSED_PAD src0_sel:DWORD src1_sel:BYTE_1
	v_ashrrev_i32_e32 v114, s24, v114
	v_ashrrev_i32_e32 v117, s24, v117
	v_lshrrev_b32_sdwa v165, v83, v151 dst_sel:DWORD dst_unused:UNUSED_PAD src0_sel:DWORD src1_sel:BYTE_1
	v_cvt_f32_f16_e32 v105, v150
	v_cvt_f32_f16_sdwa v107, v150 dst_sel:DWORD dst_unused:UNUSED_PAD src0_sel:WORD_1
	v_ashrrev_i32_e32 v121, s24, v121
	v_ashrrev_i32_e32 v124, s24, v124
	v_lshrrev_b32_sdwa v150, v83, v153 dst_sel:DWORD dst_unused:UNUSED_PAD src0_sel:DWORD src1_sel:BYTE_1
	v_ashrrev_i32_e32 v129, s24, v129
	v_ashrrev_i32_e32 v132, s24, v132
	v_lshrrev_b32_sdwa v169, v83, v146 dst_sel:DWORD dst_unused:UNUSED_PAD src0_sel:DWORD src1_sel:BYTE_1
	v_cvt_f32_f16_e32 v108, v152
	v_cvt_f32_f16_sdwa v110, v152 dst_sel:DWORD dst_unused:UNUSED_PAD src0_sel:WORD_1
	v_and_b32_e32 v152, 0x3030303, v155
	v_and_b32_e32 v113, 0x3030303, v113
	;; [unrolled: 1-line block ×5, first 2 shown]
	v_dot4c_i32_i8_e32 v93, v147, v6
	v_dot4c_i32_i8_e32 v137, v112, v6
	;; [unrolled: 1-line block ×6, first 2 shown]
	v_mov_b32_e32 v142, 0
	v_mov_b32_e32 v145, 0
	v_ashrrev_i32_e32 v115, s24, v115
	v_ashrrev_i32_e32 v118, s24, v118
	;; [unrolled: 1-line block ×6, first 2 shown]
	v_and_b32_e32 v155, 0x3030303, v157
	v_and_b32_e32 v157, 0x3030303, v159
	v_and_b32_e32 v159, 0x3030303, v161
	v_mul_lo_u32 v161, v163, s6
	v_and_b32_e32 v114, 0x3030303, v114
	v_and_b32_e32 v117, 0x3030303, v117
	v_mul_lo_u32 v163, v165, s6
	v_and_b32_e32 v121, 0x3030303, v121
	v_and_b32_e32 v124, 0x3030303, v124
	v_mul_lo_u32 v150, v150, s6
	v_and_b32_e32 v129, 0x3030303, v129
	v_and_b32_e32 v132, 0x3030303, v132
	v_mul_lo_u32 v165, v169, s6
	v_dot4c_i32_i8_e32 v136, v156, v2
	v_dot4c_i32_i8_e32 v139, v116, v2
	;; [unrolled: 1-line block ×10, first 2 shown]
	v_ashrrev_i32_e32 v119, s24, v119
	v_ashrrev_i32_e32 v123, s24, v123
	;; [unrolled: 1-line block ×5, first 2 shown]
	v_and_b32_e32 v115, 0x3030303, v115
	v_and_b32_e32 v118, 0x3030303, v118
	;; [unrolled: 1-line block ×6, first 2 shown]
	v_dot4c_i32_i8_e32 v142, v124, v2
	v_dot4c_i32_i8_e32 v145, v132, v2
	;; [unrolled: 1-line block ×12, first 2 shown]
	v_and_b32_e32 v166, 15, v149
	v_and_b32_e32 v167, 15, v151
	v_ashrrev_i32_e32 v127, s24, v127
	v_ashrrev_i32_e32 v135, s24, v135
	v_and_b32_e32 v119, 0x3030303, v119
	v_and_b32_e32 v123, 0x3030303, v123
	;; [unrolled: 1-line block ×5, first 2 shown]
	v_dot4c_i32_i8_e32 v142, v125, v3
	v_dot4c_i32_i8_e32 v145, v133, v3
	;; [unrolled: 1-line block ×12, first 2 shown]
	s_add_i32 s2, s2, 2
	v_and_b32_sdwa v151, v151, v87 dst_sel:DWORD dst_unused:UNUSED_PAD src0_sel:BYTE_1 src1_sel:DWORD
	v_and_b32_sdwa v149, v149, v87 dst_sel:DWORD dst_unused:UNUSED_PAD src0_sel:BYTE_1 src1_sel:DWORD
	v_and_b32_e32 v170, 15, v153
	v_and_b32_e32 v171, 15, v146
	;; [unrolled: 1-line block ×4, first 2 shown]
	v_dot4c_i32_i8_e32 v142, v126, v4
	v_dot4c_i32_i8_e32 v145, v134, v4
	;; [unrolled: 1-line block ×6, first 2 shown]
	v_mul_lo_u32 v6, v167, v137
	v_mul_lo_u32 v8, v166, v93
	v_dot4c_i32_i8_e32 v103, v161, v4
	v_dot4c_i32_i8_e32 v138, v163, v4
	;; [unrolled: 1-line block ×4, first 2 shown]
	s_mov_b32 s3, s25
	s_cmp_lt_u32 s25, 22
	v_and_b32_sdwa v146, v146, v87 dst_sel:DWORD dst_unused:UNUSED_PAD src0_sel:BYTE_1 src1_sel:DWORD
	v_and_b32_sdwa v153, v153, v87 dst_sel:DWORD dst_unused:UNUSED_PAD src0_sel:BYTE_1 src1_sel:DWORD
	v_dot4c_i32_i8_e32 v142, v127, v5
	v_dot4c_i32_i8_e32 v145, v135, v5
	v_mul_lo_u32 v2, v171, v143
	v_mul_lo_u32 v112, v170, v140
	v_mad_u64_u32 v[8:9], s[24:25], v149, v136, v[8:9]
	v_mad_u64_u32 v[6:7], s[24:25], v151, v139, v[6:7]
	v_dot4c_i32_i8_e32 v103, v161, v5
	v_dot4c_i32_i8_e32 v138, v163, v5
	;; [unrolled: 1-line block ×4, first 2 shown]
	v_mad_u64_u32 v[112:113], s[24:25], v153, v142, v[112:113]
	v_mad_u64_u32 v[2:3], s[24:25], v146, v145, v[2:3]
	v_cvt_f32_i32_e32 v7, v6
	v_cvt_f32_i32_e32 v6, v8
	;; [unrolled: 1-line block ×8, first 2 shown]
	v_pk_mul_f32 v[4:5], v[106:107], v[4:5]
	v_pk_mul_f32 v[8:9], v[110:111], v[8:9]
	v_pk_fma_f32 v[4:5], v[104:105], v[6:7], v[4:5] neg_lo:[0,0,1] neg_hi:[0,0,1]
	v_pk_fma_f32 v[2:3], v[108:109], v[2:3], v[8:9] neg_lo:[0,0,1] neg_hi:[0,0,1]
	v_add_u32_e32 v91, 4, v91
	v_add_u32_e32 v89, 32, v89
	v_pk_fma_f32 v[98:99], v[102:103], v[4:5], v[98:99] op_sel_hi:[0,1,1]
	v_pk_fma_f32 v[96:97], v[102:103], v[2:3], v[96:97] op_sel_hi:[0,1,1]
	s_cbranch_scc1 .LBB228_28
; %bb.29:                               ;   in Loop: Header=BB228_5 Depth=1
	s_or_b32 s2, s29, 0x180
	s_cmp_ge_i32 s2, s5
	s_barrier
	s_cbranch_scc1 .LBB228_4
; %bb.30:                               ;   in Loop: Header=BB228_5 Depth=1
	v_add_u32_e32 v2, s19, v41
	v_cmp_gt_i32_e64 s[2:3], s8, v2
	s_and_b64 s[24:25], s[0:1], s[2:3]
	s_and_saveexec_b64 s[2:3], s[24:25]
	s_cbranch_execz .LBB228_32
; %bb.31:                               ;   in Loop: Header=BB228_5 Depth=1
	v_add_u32_e32 v2, v100, v2
	v_mad_i64_i32 v[2:3], s[24:25], v2, 36, v[94:95]
	global_load_dword v2, v[2:3], off offset:4
	s_waitcnt vmcnt(0)
	ds_write_b32 v17, v2
.LBB228_32:                             ;   in Loop: Header=BB228_5 Depth=1
	s_or_b64 exec, exec, s[2:3]
	s_and_saveexec_b64 s[24:25], vcc
	s_cbranch_execz .LBB228_35
; %bb.33:                               ;   in Loop: Header=BB228_5 Depth=1
	v_or_b32_e32 v2, s19, v13
	v_or_b32_e32 v3, 12, v2
	v_cmp_gt_i32_e64 s[2:3], s8, v3
	s_and_b64 s[2:3], s[0:1], s[2:3]
	s_and_b64 exec, exec, s[2:3]
	s_cbranch_execz .LBB228_35
; %bb.34:                               ;   in Loop: Header=BB228_5 Depth=1
	v_ashrrev_i32_e32 v3, 31, v2
	v_lshl_add_u64 v[2:3], v[100:101], 0, v[2:3]
	v_mad_u64_u32 v[4:5], s[2:3], v2, 36, s[22:23]
	v_mad_i32_i24 v5, v3, 36, v5
	global_load_dword v2, v[4:5], off
	s_waitcnt vmcnt(0)
	v_cvt_f32_f16_e32 v2, v2
	ds_write_b32 v19, v2
.LBB228_35:                             ;   in Loop: Header=BB228_5 Depth=1
	s_or_b64 exec, exec, s[24:25]
	s_mov_b32 s2, 24
	s_mov_b32 s3, 22
	v_mov_b32_e32 v89, v53
	v_mov_b32_e32 v91, v55
	s_waitcnt lgkmcnt(0)
	s_barrier
.LBB228_36:                             ;   Parent Loop BB228_5 Depth=1
                                        ; =>  This Inner Loop Header: Depth=2
	s_add_i32 s24, s3, 2
	s_and_b32 s25, s2, -16
	s_and_b32 s29, s24, 0x3ffffff8
	s_lshr_b32 s30, s24, 2
	s_add_i32 s25, s3, s25
	s_lshl_b32 s29, s29, 2
	s_and_b32 s30, s30, 0x3ffffffc
	v_add_u32_e32 v116, s25, v71
	v_add_u32_e32 v120, s25, v69
	;; [unrolled: 1-line block ×12, first 2 shown]
	ds_read_b32 v102, v91
	ds_read_b128 v[6:9], v89
	ds_read_b128 v[2:5], v89 offset:16
	ds_read2_b32 v[104:105], v110 offset1:1
	ds_read2_b32 v[106:107], v110 offset0:2 offset1:3
	ds_read2_b32 v[108:109], v110 offset0:4 offset1:5
	;; [unrolled: 1-line block ×3, first 2 shown]
	ds_read2_b32 v[112:113], v118 offset1:1
	ds_read2_b32 v[114:115], v118 offset0:2 offset1:3
	ds_read_b32 v148, v117
	ds_read_u16 v149, v116 offset:16882
	ds_read2_b32 v[116:117], v118 offset0:4 offset1:5
	ds_read2_b32 v[118:119], v118 offset0:6 offset1:7
	ds_read_b32 v150, v121
	ds_read_u16 v151, v120 offset:17906
	ds_read2_b32 v[120:121], v126 offset1:1
	ds_read2_b32 v[122:123], v126 offset0:2 offset1:3
	ds_read2_b32 v[124:125], v126 offset0:4 offset1:5
	;; [unrolled: 1-line block ×3, first 2 shown]
	ds_read2_b32 v[128:129], v134 offset1:1
	ds_read2_b32 v[130:131], v134 offset0:2 offset1:3
	ds_read_b32 v152, v133
	ds_read_u16 v153, v132 offset:18930
	ds_read2_b32 v[132:133], v134 offset0:4 offset1:5
	ds_read2_b32 v[134:135], v134 offset0:6 offset1:7
	ds_read_b32 v147, v147
	ds_read_u16 v146, v146 offset:19954
	s_sub_i32 s19, s3, 22
	s_waitcnt lgkmcnt(14)
	v_ashrrev_i32_e32 v154, s19, v104
	v_ashrrev_i32_e32 v156, s19, v106
	;; [unrolled: 1-line block ×4, first 2 shown]
	v_bfe_u32 v162, v149, 4, 4
	s_waitcnt lgkmcnt(12)
	v_bfe_u32 v164, v151, 4, 4
	v_cvt_f32_f16_e32 v104, v148
	v_cvt_f32_f16_sdwa v106, v148 dst_sel:DWORD dst_unused:UNUSED_PAD src0_sel:WORD_1
	s_waitcnt lgkmcnt(4)
	v_bfe_u32 v148, v153, 4, 4
	s_waitcnt lgkmcnt(0)
	v_bfe_u32 v168, v146, 4, 4
	v_mov_b32_e32 v138, 0
	v_mov_b32_e32 v139, 0
	;; [unrolled: 1-line block ×4, first 2 shown]
	v_ashrrev_i32_e32 v159, s19, v109
	v_ashrrev_i32_e32 v161, s19, v111
	v_cvt_f32_f16_e32 v109, v147
	v_cvt_f32_f16_sdwa v111, v147 dst_sel:DWORD dst_unused:UNUSED_PAD src0_sel:WORD_1
	v_and_b32_e32 v147, 0x3030303, v154
	v_and_b32_e32 v154, 0x3030303, v156
	;; [unrolled: 1-line block ×4, first 2 shown]
	v_mul_lo_u32 v160, v162, s6
	v_mul_lo_u32 v162, v164, s6
	v_mul_lo_u32 v148, v148, s6
	v_mul_lo_u32 v164, v168, s6
	v_ashrrev_i32_e32 v112, s19, v112
	v_dot4c_i32_i8_e32 v138, v160, v6
	v_dot4c_i32_i8_e32 v139, v162, v6
	;; [unrolled: 1-line block ×4, first 2 shown]
	v_mov_b32_e32 v93, 0
	v_mov_b32_e32 v136, 0
	v_ashrrev_i32_e32 v155, s19, v105
	v_ashrrev_i32_e32 v113, s19, v113
	;; [unrolled: 1-line block ×5, first 2 shown]
	v_and_b32_e32 v112, 0x3030303, v112
	v_dot4c_i32_i8_e32 v138, v160, v7
	v_dot4c_i32_i8_e32 v139, v162, v7
	;; [unrolled: 1-line block ×4, first 2 shown]
	v_mov_b32_e32 v103, 0
	v_mov_b32_e32 v137, 0
	;; [unrolled: 1-line block ×4, first 2 shown]
	v_ashrrev_i32_e32 v157, s19, v107
	v_ashrrev_i32_e32 v114, s19, v114
	;; [unrolled: 1-line block ×3, first 2 shown]
	v_lshrrev_b32_sdwa v163, v83, v149 dst_sel:DWORD dst_unused:UNUSED_PAD src0_sel:DWORD src1_sel:BYTE_1
	v_lshrrev_b32_sdwa v167, v83, v151 dst_sel:DWORD dst_unused:UNUSED_PAD src0_sel:DWORD src1_sel:BYTE_1
	v_cvt_f32_f16_e32 v105, v150
	v_cvt_f32_f16_sdwa v107, v150 dst_sel:DWORD dst_unused:UNUSED_PAD src0_sel:WORD_1
	v_ashrrev_i32_e32 v121, s19, v121
	v_ashrrev_i32_e32 v124, s19, v124
	;; [unrolled: 1-line block ×4, first 2 shown]
	v_lshrrev_b32_sdwa v150, v83, v153 dst_sel:DWORD dst_unused:UNUSED_PAD src0_sel:DWORD src1_sel:BYTE_1
	v_lshrrev_b32_sdwa v171, v83, v146 dst_sel:DWORD dst_unused:UNUSED_PAD src0_sel:DWORD src1_sel:BYTE_1
	v_cvt_f32_f16_e32 v108, v152
	v_cvt_f32_f16_sdwa v110, v152 dst_sel:DWORD dst_unused:UNUSED_PAD src0_sel:WORD_1
	v_and_b32_e32 v152, 0x3030303, v155
	v_and_b32_e32 v113, 0x3030303, v113
	;; [unrolled: 1-line block ×5, first 2 shown]
	v_dot4c_i32_i8_e32 v93, v147, v6
	v_dot4c_i32_i8_e32 v136, v112, v6
	;; [unrolled: 1-line block ×6, first 2 shown]
	v_mov_b32_e32 v141, 0
	v_mov_b32_e32 v143, 0
	v_ashrrev_i32_e32 v115, s19, v115
	v_ashrrev_i32_e32 v118, s19, v118
	;; [unrolled: 1-line block ×6, first 2 shown]
	v_and_b32_e32 v155, 0x3030303, v157
	v_and_b32_e32 v157, 0x3030303, v159
	;; [unrolled: 1-line block ×5, first 2 shown]
	v_mul_lo_u32 v161, v163, s6
	v_mul_lo_u32 v163, v167, s6
	v_and_b32_e32 v121, 0x3030303, v121
	v_and_b32_e32 v124, 0x3030303, v124
	v_and_b32_e32 v129, 0x3030303, v129
	v_and_b32_e32 v132, 0x3030303, v132
	v_mul_lo_u32 v150, v150, s6
	v_mul_lo_u32 v167, v171, s6
	v_dot4c_i32_i8_e32 v103, v156, v2
	v_dot4c_i32_i8_e32 v137, v116, v2
	;; [unrolled: 1-line block ×10, first 2 shown]
	v_ashrrev_i32_e32 v119, s19, v119
	v_ashrrev_i32_e32 v123, s19, v123
	;; [unrolled: 1-line block ×5, first 2 shown]
	v_and_b32_e32 v115, 0x3030303, v115
	v_and_b32_e32 v118, 0x3030303, v118
	v_and_b32_e32 v122, 0x3030303, v122
	v_and_b32_e32 v125, 0x3030303, v125
	v_and_b32_e32 v130, 0x3030303, v130
	v_and_b32_e32 v133, 0x3030303, v133
	v_dot4c_i32_i8_e32 v141, v124, v2
	v_dot4c_i32_i8_e32 v143, v132, v2
	;; [unrolled: 1-line block ×12, first 2 shown]
	v_and_b32_e32 v165, 15, v149
	v_and_b32_e32 v166, 15, v151
	v_ashrrev_i32_e32 v127, s19, v127
	v_ashrrev_i32_e32 v135, s19, v135
	v_and_b32_e32 v119, 0x3030303, v119
	v_and_b32_e32 v123, 0x3030303, v123
	;; [unrolled: 1-line block ×5, first 2 shown]
	v_dot4c_i32_i8_e32 v141, v125, v3
	v_dot4c_i32_i8_e32 v143, v133, v3
	;; [unrolled: 1-line block ×12, first 2 shown]
	s_add_i32 s2, s2, 2
	v_and_b32_sdwa v151, v151, v87 dst_sel:DWORD dst_unused:UNUSED_PAD src0_sel:BYTE_1 src1_sel:DWORD
	v_and_b32_sdwa v149, v149, v87 dst_sel:DWORD dst_unused:UNUSED_PAD src0_sel:BYTE_1 src1_sel:DWORD
	v_and_b32_e32 v169, 15, v153
	v_and_b32_e32 v170, 15, v146
	;; [unrolled: 1-line block ×4, first 2 shown]
	v_dot4c_i32_i8_e32 v141, v126, v4
	v_dot4c_i32_i8_e32 v143, v134, v4
	v_dot4c_i32_i8_e32 v103, v159, v5
	v_dot4c_i32_i8_e32 v137, v119, v5
	v_dot4c_i32_i8_e32 v140, v123, v9
	v_dot4c_i32_i8_e32 v142, v131, v9
	v_mul_lo_u32 v6, v166, v136
	v_mul_lo_u32 v8, v165, v93
	v_dot4c_i32_i8_e32 v138, v161, v4
	v_dot4c_i32_i8_e32 v139, v163, v4
	;; [unrolled: 1-line block ×4, first 2 shown]
	s_mov_b32 s3, s24
	s_cmp_lt_u32 s24, 30
	v_and_b32_sdwa v146, v146, v87 dst_sel:DWORD dst_unused:UNUSED_PAD src0_sel:BYTE_1 src1_sel:DWORD
	v_and_b32_sdwa v153, v153, v87 dst_sel:DWORD dst_unused:UNUSED_PAD src0_sel:BYTE_1 src1_sel:DWORD
	v_dot4c_i32_i8_e32 v141, v127, v5
	v_dot4c_i32_i8_e32 v143, v135, v5
	v_mul_lo_u32 v112, v170, v142
	v_mul_lo_u32 v114, v169, v140
	v_mad_u64_u32 v[8:9], s[24:25], v149, v103, v[8:9]
	v_mad_u64_u32 v[6:7], s[24:25], v151, v137, v[6:7]
	v_dot4c_i32_i8_e32 v138, v161, v5
	v_dot4c_i32_i8_e32 v139, v163, v5
	;; [unrolled: 1-line block ×4, first 2 shown]
	v_mad_u64_u32 v[2:3], s[24:25], v153, v141, v[114:115]
	v_mad_u64_u32 v[112:113], s[24:25], v146, v143, v[112:113]
	v_cvt_f32_i32_e32 v7, v6
	v_cvt_f32_i32_e32 v6, v8
	;; [unrolled: 1-line block ×8, first 2 shown]
	v_pk_mul_f32 v[4:5], v[106:107], v[4:5]
	v_pk_mul_f32 v[8:9], v[110:111], v[8:9]
	v_pk_fma_f32 v[4:5], v[104:105], v[6:7], v[4:5] neg_lo:[0,0,1] neg_hi:[0,0,1]
	v_pk_fma_f32 v[2:3], v[108:109], v[2:3], v[8:9] neg_lo:[0,0,1] neg_hi:[0,0,1]
	v_add_u32_e32 v91, 4, v91
	v_add_u32_e32 v89, 32, v89
	v_pk_fma_f32 v[98:99], v[102:103], v[4:5], v[98:99] op_sel_hi:[0,1,1]
	v_pk_fma_f32 v[96:97], v[102:103], v[2:3], v[96:97] op_sel_hi:[0,1,1]
	s_cbranch_scc1 .LBB228_36
; %bb.37:                               ;   in Loop: Header=BB228_5 Depth=1
	s_barrier
	s_branch .LBB228_4
.LBB228_38:
	s_mul_i32 s0, s10, s7
	s_waitcnt vmcnt(0)
	v_cmp_gt_i32_e32 vcc, s0, v1
	s_and_saveexec_b64 s[0:1], vcc
	s_cbranch_execz .LBB228_47
; %bb.39:
	v_and_b32_e32 v0, 0x3ff, v0
	v_add_u32_e32 v2, s11, v0
	v_mul_lo_u32 v0, v1, s9
	v_cmp_gt_u32_e32 vcc, s9, v2
	s_and_saveexec_b64 s[0:1], vcc
	s_cbranch_execz .LBB228_41
; %bb.40:
	v_bfe_u32 v1, v98, 16, 1
	s_movk_i32 s2, 0x7fff
	v_add3_u32 v1, v98, v1, s2
	v_lshrrev_b32_e32 v1, 16, v1
	v_mov_b32_e32 v3, 0x7fc0
	v_cmp_o_f32_e32 vcc, v98, v98
	v_add_u32_e32 v4, v0, v2
	v_mov_b32_e32 v5, 0
	v_cndmask_b32_e32 v1, v3, v1, vcc
	v_lshl_add_u64 v[4:5], v[4:5], 1, s[16:17]
	global_store_short v[4:5], v1, off
.LBB228_41:
	s_or_b64 exec, exec, s[0:1]
	v_add_u32_e32 v1, 32, v2
	v_cmp_gt_u32_e32 vcc, s9, v1
	s_and_saveexec_b64 s[0:1], vcc
	s_cbranch_execz .LBB228_43
; %bb.42:
	v_bfe_u32 v3, v99, 16, 1
	s_movk_i32 s2, 0x7fff
	v_add3_u32 v3, v99, v3, s2
	v_lshrrev_b32_e32 v3, 16, v3
	v_mov_b32_e32 v4, 0x7fc0
	v_cmp_o_f32_e32 vcc, v99, v99
	v_mov_b32_e32 v5, 0
	s_nop 0
	v_cndmask_b32_e32 v3, v4, v3, vcc
	v_add_u32_e32 v4, v0, v1
	v_lshl_add_u64 v[4:5], v[4:5], 1, s[16:17]
	global_store_short v[4:5], v3, off
.LBB228_43:
	s_or_b64 exec, exec, s[0:1]
	v_add_u32_e32 v1, 64, v2
	v_cmp_gt_u32_e32 vcc, s9, v1
	s_and_saveexec_b64 s[0:1], vcc
	s_cbranch_execz .LBB228_45
; %bb.44:
	v_bfe_u32 v3, v96, 16, 1
	s_movk_i32 s2, 0x7fff
	v_add3_u32 v3, v96, v3, s2
	v_lshrrev_b32_e32 v3, 16, v3
	v_mov_b32_e32 v4, 0x7fc0
	v_cmp_o_f32_e32 vcc, v96, v96
	v_mov_b32_e32 v5, 0
	s_nop 0
	v_cndmask_b32_e32 v3, v4, v3, vcc
	v_add_u32_e32 v4, v0, v1
	v_lshl_add_u64 v[4:5], v[4:5], 1, s[16:17]
	global_store_short v[4:5], v3, off
.LBB228_45:
	s_or_b64 exec, exec, s[0:1]
	v_add_u32_e32 v1, 0x60, v2
	v_cmp_gt_u32_e32 vcc, s9, v1
	s_and_b64 exec, exec, vcc
	s_cbranch_execz .LBB228_47
; %bb.46:
	v_bfe_u32 v2, v97, 16, 1
	s_movk_i32 s0, 0x7fff
	v_add3_u32 v2, v97, v2, s0
	v_lshrrev_b32_e32 v2, 16, v2
	v_mov_b32_e32 v3, 0x7fc0
	v_cmp_o_f32_e32 vcc, v97, v97
	v_add_u32_e32 v0, v0, v1
	v_mov_b32_e32 v1, 0
	v_cndmask_b32_e32 v2, v3, v2, vcc
	v_lshl_add_u64 v[0:1], v[0:1], 1, s[16:17]
	global_store_short v[0:1], v2, off
.LBB228_47:
	s_endpgm
	.section	.rodata,"a",@progbits
	.p2align	6, 0x0
	.amdhsa_kernel _ZL8moe_q2_KIN3c108BFloat16ELb1EEvPKvS3_PT_PKiS7_S7_iiiiiii
		.amdhsa_group_segment_fixed_size 23328
		.amdhsa_private_segment_fixed_size 0
		.amdhsa_kernarg_size 76
		.amdhsa_user_sgpr_count 2
		.amdhsa_user_sgpr_dispatch_ptr 0
		.amdhsa_user_sgpr_queue_ptr 0
		.amdhsa_user_sgpr_kernarg_segment_ptr 1
		.amdhsa_user_sgpr_dispatch_id 0
		.amdhsa_user_sgpr_kernarg_preload_length 0
		.amdhsa_user_sgpr_kernarg_preload_offset 0
		.amdhsa_user_sgpr_private_segment_size 0
		.amdhsa_uses_dynamic_stack 0
		.amdhsa_enable_private_segment 0
		.amdhsa_system_sgpr_workgroup_id_x 1
		.amdhsa_system_sgpr_workgroup_id_y 1
		.amdhsa_system_sgpr_workgroup_id_z 0
		.amdhsa_system_sgpr_workgroup_info 0
		.amdhsa_system_vgpr_workitem_id 1
		.amdhsa_next_free_vgpr 172
		.amdhsa_next_free_sgpr 34
		.amdhsa_accum_offset 172
		.amdhsa_reserve_vcc 1
		.amdhsa_float_round_mode_32 0
		.amdhsa_float_round_mode_16_64 0
		.amdhsa_float_denorm_mode_32 3
		.amdhsa_float_denorm_mode_16_64 3
		.amdhsa_dx10_clamp 1
		.amdhsa_ieee_mode 1
		.amdhsa_fp16_overflow 0
		.amdhsa_tg_split 0
		.amdhsa_exception_fp_ieee_invalid_op 0
		.amdhsa_exception_fp_denorm_src 0
		.amdhsa_exception_fp_ieee_div_zero 0
		.amdhsa_exception_fp_ieee_overflow 0
		.amdhsa_exception_fp_ieee_underflow 0
		.amdhsa_exception_fp_ieee_inexact 0
		.amdhsa_exception_int_div_zero 0
	.end_amdhsa_kernel
	.section	.text._ZL8moe_q2_KIN3c108BFloat16ELb1EEvPKvS3_PT_PKiS7_S7_iiiiiii,"axG",@progbits,_ZL8moe_q2_KIN3c108BFloat16ELb1EEvPKvS3_PT_PKiS7_S7_iiiiiii,comdat
.Lfunc_end228:
	.size	_ZL8moe_q2_KIN3c108BFloat16ELb1EEvPKvS3_PT_PKiS7_S7_iiiiiii, .Lfunc_end228-_ZL8moe_q2_KIN3c108BFloat16ELb1EEvPKvS3_PT_PKiS7_S7_iiiiiii
                                        ; -- End function
	.section	.AMDGPU.csdata,"",@progbits
; Kernel info:
; codeLenInByte = 9040
; NumSgprs: 40
; NumVgprs: 172
; NumAgprs: 0
; TotalNumVgprs: 172
; ScratchSize: 0
; MemoryBound: 0
; FloatMode: 240
; IeeeMode: 1
; LDSByteSize: 23328 bytes/workgroup (compile time only)
; SGPRBlocks: 4
; VGPRBlocks: 21
; NumSGPRsForWavesPerEU: 40
; NumVGPRsForWavesPerEU: 172
; AccumOffset: 172
; Occupancy: 2
; WaveLimiterHint : 1
; COMPUTE_PGM_RSRC2:SCRATCH_EN: 0
; COMPUTE_PGM_RSRC2:USER_SGPR: 2
; COMPUTE_PGM_RSRC2:TRAP_HANDLER: 0
; COMPUTE_PGM_RSRC2:TGID_X_EN: 1
; COMPUTE_PGM_RSRC2:TGID_Y_EN: 1
; COMPUTE_PGM_RSRC2:TGID_Z_EN: 0
; COMPUTE_PGM_RSRC2:TIDIG_COMP_CNT: 1
; COMPUTE_PGM_RSRC3_GFX90A:ACCUM_OFFSET: 42
; COMPUTE_PGM_RSRC3_GFX90A:TG_SPLIT: 0
	.section	.text._ZL8moe_q3_KIN3c108BFloat16ELb0EEvPKvS3_PT_PKiS7_S7_iiiiiii,"axG",@progbits,_ZL8moe_q3_KIN3c108BFloat16ELb0EEvPKvS3_PT_PKiS7_S7_iiiiiii,comdat
	.globl	_ZL8moe_q3_KIN3c108BFloat16ELb0EEvPKvS3_PT_PKiS7_S7_iiiiiii ; -- Begin function _ZL8moe_q3_KIN3c108BFloat16ELb0EEvPKvS3_PT_PKiS7_S7_iiiiiii
	.p2align	8
	.type	_ZL8moe_q3_KIN3c108BFloat16ELb0EEvPKvS3_PT_PKiS7_S7_iiiiiii,@function
_ZL8moe_q3_KIN3c108BFloat16ELb0EEvPKvS3_PT_PKiS7_S7_iiiiiii: ; @_ZL8moe_q3_KIN3c108BFloat16ELb0EEvPKvS3_PT_PKiS7_S7_iiiiiii
; %bb.0:
	s_load_dwordx4 s[4:7], s[0:1], 0x18
	s_mov_b32 s8, s3
	s_mov_b32 s9, 0
	s_lshl_b64 s[10:11], s[8:9], 2
	s_waitcnt lgkmcnt(0)
	s_add_u32 s6, s6, s10
	s_addc_u32 s7, s7, s11
	s_load_dword s3, s[6:7], 0x0
	s_waitcnt lgkmcnt(0)
	s_cmpk_gt_u32 s3, 0xff
	s_cbranch_scc1 .LBB229_48
; %bb.1:
	s_load_dwordx2 s[6:7], s[0:1], 0x28
	s_waitcnt lgkmcnt(0)
	s_load_dword s7, s[6:7], 0x0
	s_lshl_b32 s6, s8, 3
	s_waitcnt lgkmcnt(0)
	s_cmp_gt_u32 s6, s7
	s_cbranch_scc1 .LBB229_48
; %bb.2:
	v_bfe_u32 v2, v0, 10, 10
	v_mov_b32_e32 v4, s4
	v_mov_b32_e32 v5, s5
	v_add_u32_e32 v10, s6, v2
	v_mov_b32_e32 v11, 0
	v_lshl_add_u64 v[4:5], v[10:11], 2, v[4:5]
	global_load_dword v1, v[4:5], off
	s_load_dwordx2 s[14:15], s[0:1], 0x30
	s_load_dwordx2 s[12:13], s[0:1], 0x10
	s_load_dwordx4 s[4:7], s[0:1], 0x3c
	s_lshl_b32 s24, s2, 7
	s_mov_b32 s25, 0
	s_waitcnt lgkmcnt(0)
	s_cmpk_lt_i32 s15, 0x100
	s_cbranch_scc1 .LBB229_38
; %bb.3:
	s_load_dwordx4 s[8:11], s[0:1], 0x0
	s_ashr_i32 s0, s15, 31
	s_lshr_b32 s0, s0, 24
	s_add_i32 s0, s15, s0
	s_ashr_i32 s26, s0, 8
	s_ashr_i32 s0, s5, 31
	s_lshr_b32 s0, s0, 27
	s_add_i32 s0, s5, s0
	s_mul_i32 s3, s3, s14
	s_ashr_i32 s5, s0, 5
	s_ashr_i32 s0, s3, 31
	s_waitcnt lgkmcnt(0)
	s_add_u32 s1, s8, s3
	s_mul_i32 s2, s26, s24
	s_addc_u32 s0, s9, s0
	s_mul_hi_i32 s3, s2, 0x6e
	s_mulk_i32 s2, 0x6e
	s_add_u32 s27, s1, s2
	s_addc_u32 s28, s0, s3
	s_lshl_b32 s1, s26, 3
	v_mov_b32_e32 v5, s1
	v_mad_i32_i24 v16, s26, v2, v5
	v_add_u32_e32 v18, s1, v16
	v_add_u32_e32 v20, s1, v18
	;; [unrolled: 1-line block ×9, first 2 shown]
	v_and_b32_e32 v15, 0x3ff, v0
	v_add_u32_e32 v36, s1, v34
	v_add_u32_e32 v38, s1, v36
	v_lshlrev_b32_e32 v6, 4, v2
	v_lshrrev_b32_e32 v7, 1, v15
	v_add_u32_e32 v40, s1, v38
	v_and_b32_e32 v46, 1, v15
	v_add_u32_e32 v5, v7, v6
	v_add_u32_e32 v42, s1, v40
	v_and_b32_e32 v8, 0x7f, v5
	v_lshlrev_b32_e32 v9, 2, v46
	v_lshrrev_b32_e32 v5, 2, v5
	v_add_u32_e32 v44, s1, v42
	v_mul_i32_i24_e32 v48, s26, v8
	v_lshl_or_b32 v8, v8, 3, v9
	v_and_b32_e32 v5, 28, v5
	s_movk_i32 s1, 0x7380
	v_lshrrev_b32_e32 v10, 4, v15
	v_add3_u32 v49, v8, v5, s1
	v_lshlrev_b32_e32 v5, 1, v2
	v_add_u32_e32 v8, v10, v5
	v_add_u16_e32 v5, v10, v5
	v_and_b32_e32 v3, 15, v15
	v_lshrrev_b16_e32 v5, 1, v5
	v_lshlrev_b32_e32 v12, 2, v3
	v_lshlrev_b32_e32 v5, 2, v5
	s_movk_i32 s2, 0x4200
	s_lshl_b32 s3, s26, 4
	v_add3_u32 v9, v5, v12, s2
	v_add_u32_e32 v5, 16, v8
	v_mov_b32_e32 v51, s3
	v_mad_i32_i24 v56, s26, v8, v51
	v_lshlrev_b32_e32 v51, 1, v5
	v_and_b32_e32 v51, 0x3ffc, v51
	v_lshlrev_b32_e32 v94, 6, v5
	v_add_u32_e32 v5, 32, v8
	v_add3_u32 v89, v51, v12, s2
	v_lshlrev_b32_e32 v51, 1, v5
	v_and_b32_e32 v51, 0x3ffc, v51
	v_lshlrev_b32_e32 v112, 6, v5
	v_add_u32_e32 v5, 48, v8
	v_add3_u32 v95, v51, v12, s2
	;; [unrolled: 5-line block ×3, first 2 shown]
	v_lshlrev_b32_e32 v51, 1, v5
	v_and_b32_e32 v51, 0x3ffc, v51
	v_lshlrev_b32_e32 v116, 6, v5
	v_add_u32_e32 v5, 0x50, v8
	v_add_u32_e32 v58, s3, v56
	v_add3_u32 v115, v51, v12, s2
	v_lshlrev_b32_e32 v51, 1, v5
	v_add_u32_e32 v60, s3, v58
	v_and_b32_e32 v51, 0x3ffc, v51
	v_lshlrev_b32_e32 v118, 6, v5
	v_add_u32_e32 v5, 0x60, v8
	v_cmp_lt_u32_e32 vcc, 7, v3
	v_and_b32_e32 v3, 7, v15
	v_add_u32_e32 v62, s3, v60
	v_add3_u32 v117, v51, v12, s2
	v_lshlrev_b32_e32 v51, 1, v5
	v_cndmask_b32_e64 v50, 0, 1, vcc
	v_lshlrev_b32_e32 v52, 2, v3
	v_add_u32_e32 v64, s3, v62
	v_and_b32_e32 v51, 0x3ffc, v51
	v_cmp_lt_u32_e32 vcc, 3, v3
	v_and_b32_e32 v3, 3, v15
	v_add_u32_e32 v66, s3, v64
	v_add3_u32 v119, v51, v12, s2
	v_lshlrev_b32_e32 v120, 6, v5
	v_add_u32_e32 v5, 0x70, v8
	v_lshlrev_b32_e32 v61, 2, v2
	v_lshrrev_b32_e32 v51, 3, v15
	v_cndmask_b32_e64 v70, 0, 1, vcc
	v_add_u16_e32 v55, -2, v3
	v_cmp_gt_u32_e32 vcc, 2, v3
	v_mul_i32_i24_e32 v54, s26, v8
	v_lshlrev_b32_e32 v11, 6, v8
	v_add_u32_e32 v68, s3, v66
	v_lshlrev_b32_e32 v8, 1, v5
	v_lshlrev_b32_e32 v121, 6, v5
	v_add_u32_e32 v5, v51, v61
	v_cndmask_b32_e32 v57, v55, v3, vcc
	v_mov_b32_e32 v59, 2
	s_lshl_b32 s3, s26, 5
	v_and_b32_e32 v8, 0x3ffc, v8
	v_lshlrev_b32_sdwa v72, v59, v57 dst_sel:DWORD dst_unused:UNUSED_PAD src0_sel:DWORD src1_sel:BYTE_0
	v_add_u32_e32 v59, 32, v5
	v_mov_b32_e32 v63, s3
	v_add3_u32 v8, v8, v12, s2
	v_cmp_lt_u32_e32 vcc, 1, v3
	v_lshlrev_b32_e32 v57, 1, v3
	v_mul_i32_i24_e32 v74, s26, v5
	v_and_b32_e32 v3, 0x1ffc, v5
	s_movk_i32 s2, 0x6300
	v_lshlrev_b32_e32 v122, 5, v5
	v_mad_i32_i24 v76, s26, v5, v63
	v_and_b32_e32 v63, 0x3ffc, v59
	v_lshlrev_b32_e32 v124, 5, v59
	v_add_u32_e32 v59, 64, v5
	v_add_u32_e32 v5, 0x60, v5
	v_mov_b32_e32 v13, 0
	v_lshlrev_b32_e32 v4, 2, v15
	s_movk_i32 s0, 0x84
	v_add3_u32 v123, v63, v52, s2
	v_and_b32_e32 v63, 0x3ffc, v59
	v_lshlrev_b32_e32 v126, 5, v59
	v_and_b32_e32 v59, 0x3ffc, v5
	v_mul_i32_i24_e32 v14, s26, v2
	v_mad_u32_u24 v17, v2, s0, v4
	v_add3_u32 v127, v59, v52, s2
	v_lshlrev_b32_e32 v128, 5, v5
	v_and_b32_e32 v59, 31, v15
	v_and_b32_e32 v4, 28, v4
	v_mov_b32_e32 v5, v13
	v_lshlrev_b32_e32 v2, 7, v2
	v_lshl_add_u64 v[82:83], s[10:11], 0, v[4:5]
	v_lshl_or_b32 v4, v59, 2, v2
	v_add_u32_e32 v59, 0x77a0, v4
	v_or_b32_e32 v4, v61, v15
	v_mov_b32_e32 v5, 0x7ba0
	v_lshl_add_u32 v61, v4, 2, v5
	v_add_u32_e32 v4, 32, v15
	v_lshrrev_b32_e32 v5, 1, v4
	v_lshl_add_u32 v71, v4, 4, v5
	v_mov_b32_e32 v5, 0x1080
	v_lshl_add_u32 v65, v15, 4, v7
	v_lshlrev_b32_e32 v7, 2, v10
	v_lshlrev_b32_e32 v69, 3, v15
	v_mad_u32_u24 v75, v15, s0, v5
	v_lshrrev_b32_e32 v5, 2, v4
	v_add3_u32 v69, v7, v69, s1
	v_and_b32_e32 v5, 0x7c, v5
	v_lshlrev_b32_e32 v7, 3, v4
	v_add_u32_e32 v97, 64, v15
	v_add_u32_e32 v96, 0x60, v15
	v_add3_u32 v77, v7, v5, s1
	v_mov_b32_e32 v5, 0x2100
	v_add3_u32 v3, v3, v52, s2
	v_add3_u32 v125, v63, v52, s2
	v_lshrrev_b32_e32 v84, 1, v96
	v_mad_u32_u24 v81, v15, s0, v5
	v_lshrrev_b32_e32 v5, 2, v97
	s_abs_i32 s2, s7
	v_and_b32_e32 v5, 0x7c, v5
	v_lshlrev_b32_e32 v7, 3, v97
	v_lshl_add_u32 v87, v96, 4, v84
	v_cvt_f32_u32_e32 v84, s2
	v_add3_u32 v86, v7, v5, s1
	v_mov_b32_e32 v5, 0x3180
	v_mad_u32_u24 v88, v15, s0, v5
	v_lshrrev_b32_e32 v5, 2, v96
	v_and_b32_e32 v5, 0x7c, v5
	v_lshlrev_b32_e32 v7, 3, v96
	v_add3_u32 v90, v7, v5, s1
	v_rcp_iflag_f32_e32 v5, v84
	s_sub_i32 s0, 0, s2
	s_waitcnt vmcnt(0)
	v_sub_u32_e32 v84, 0, v1
	v_max_i32_e32 v84, v1, v84
	v_mul_f32_e32 v5, 0x4f7ffffe, v5
	v_cvt_u32_f32_e32 v5, v5
	v_xor_b32_e32 v7, s7, v1
	s_add_u32 s8, s10, 0x90
	v_ashrrev_i32_e32 v7, 31, v7
	v_mul_lo_u32 v85, s0, v5
	v_mul_hi_u32 v85, v5, v85
	v_add_u32_e32 v5, v5, v85
	v_mul_hi_u32 v5, v84, v5
	v_mul_lo_u32 v85, v5, s2
	v_sub_u32_e32 v84, v84, v85
	v_add_u32_e32 v85, 1, v5
	v_cmp_le_u32_e64 s[0:1], s2, v84
	s_addc_u32 s9, s11, 0
	s_add_u32 s16, s10, 0x120
	v_cndmask_b32_e64 v5, v5, v85, s[0:1]
	v_subrev_u32_e32 v85, s2, v84
	v_cndmask_b32_e64 v84, v84, v85, s[0:1]
	v_add_u32_e32 v85, 1, v5
	v_cmp_le_u32_e64 s[0:1], s2, v84
	v_lshrrev_b32_e32 v79, 1, v97
	s_addc_u32 s17, s11, 0
	v_cndmask_b32_e64 v5, v5, v85, s[0:1]
	v_xor_b32_e32 v5, v5, v7
	v_sub_u32_e32 v5, v5, v7
	v_cndmask_b32_e64 v55, 0, 1, vcc
	v_add_u32_e32 v78, s3, v76
	v_lshlrev_b32_e32 v63, 5, v15
	v_lshl_add_u32 v79, v97, 4, v79
	v_lshrrev_b32_e32 v92, 3, v97
	v_lshrrev_b32_e32 v93, 3, v96
	v_mul_lo_u32 v84, v5, s5
	s_add_u32 s18, s10, 0x1b0
	v_and_b32_e32 v96, 0x1fc, v96
	v_and_b32_e32 v97, 0x1fc, v97
	v_and_b32_e32 v98, 0x1fc, v4
	v_and_b32_e32 v99, 0xfc, v15
	s_movk_i32 s14, 0x6e
	v_add_u32_e32 v19, 0x420, v17
	v_add_u32_e32 v21, 0x840, v17
	;; [unrolled: 1-line block ×15, first 2 shown]
	v_mov_b32_e32 v53, v13
	v_lshlrev_b32_e32 v55, 2, v55
	v_mov_b32_e32 v73, v13
	v_add_u32_e32 v80, s3, v78
	v_cmp_gt_u32_e32 vcc, 4, v15
	v_mul_u32_u24_e32 v67, 0x84, v15
	v_lshrrev_b32_e32 v91, 3, v4
	v_cmp_gt_i32_e64 s[0:1], s4, v5
	v_ashrrev_i32_e32 v85, 31, v84
	s_addc_u32 s19, s11, 0
	v_add_u32_e32 v100, 0x77a0, v2
	v_add_u32_e32 v101, 0x7ba0, v6
	;; [unrolled: 1-line block ×18, first 2 shown]
	s_mov_b64 s[20:21], 0x60
	s_mov_b32 s29, 0x30303030
	s_movk_i32 s30, 0x3f00
	s_movk_i32 s31, 0xe000
	v_add_u32_e32 v118, v3, v122
	v_add_u32_e32 v119, v123, v124
	;; [unrolled: 1-line block ×4, first 2 shown]
	v_mov_b32_e32 v122, 8
	v_mov_b32_e32 v95, v13
	;; [unrolled: 1-line block ×5, first 2 shown]
	s_branch .LBB229_5
.LBB229_4:                              ;   in Loop: Header=BB229_5 Depth=1
	s_add_i32 s25, s25, 2
	s_cmp_ge_i32 s25, s26
	s_cbranch_scc1 .LBB229_39
.LBB229_5:                              ; =>This Loop Header: Depth=1
                                        ;     Child Loop BB229_12 Depth 2
                                        ;     Child Loop BB229_20 Depth 2
                                        ;     Child Loop BB229_28 Depth 2
                                        ;     Child Loop BB229_36 Depth 2
	s_mul_i32 s2, s25, 0x6e
	s_mul_hi_u32 s3, s25, 0x6e
	s_add_u32 s2, s27, s2
	s_addc_u32 s3, s28, s3
	v_mov_b64_e32 v[2:3], s[2:3]
	v_mad_u64_u32 v[4:5], s[2:3], v10, s14, v[2:3]
	v_lshl_add_u64 v[4:5], v[4:5], 0, v[12:13]
	v_lshl_add_u64 v[4:5], v[4:5], 0, 32
	v_mad_u64_u32 v[6:7], s[2:3], v14, s14, v[4:5]
	v_mad_u64_u32 v[8:9], s[2:3], v16, s14, v[4:5]
	v_mad_u64_u32 v[124:125], s[2:3], v18, s14, v[4:5]
	v_mad_u64_u32 v[126:127], s[2:3], v20, s14, v[4:5]
	v_mad_u64_u32 v[128:129], s[2:3], v22, s14, v[4:5]
	v_mad_u64_u32 v[130:131], s[2:3], v24, s14, v[4:5]
	v_mad_u64_u32 v[132:133], s[2:3], v26, s14, v[4:5]
	v_mad_u64_u32 v[134:135], s[2:3], v28, s14, v[4:5]
	global_load_dword v123, v[6:7], off
	global_load_dword v136, v[8:9], off
	global_load_dword v137, v[124:125], off
	global_load_dword v138, v[126:127], off
	global_load_dword v139, v[128:129], off
	global_load_dword v140, v[130:131], off
	global_load_dword v141, v[132:133], off
	global_load_dword v142, v[134:135], off
	v_mad_u64_u32 v[6:7], s[2:3], v30, s14, v[4:5]
	v_mad_u64_u32 v[8:9], s[2:3], v32, s14, v[4:5]
	;; [unrolled: 1-line block ×8, first 2 shown]
	global_load_dword v143, v[6:7], off
	global_load_dword v144, v[8:9], off
	;; [unrolled: 1-line block ×8, first 2 shown]
	v_mad_u64_u32 v[6:7], s[2:3], v50, s14, v[2:3]
	v_mad_u64_u32 v[4:5], s[2:3], v48, s14, v[2:3]
	v_lshl_add_u64 v[6:7], v[6:7], 0, v[52:53]
	v_mad_u64_u32 v[4:5], s[2:3], v46, s14, v[4:5]
	v_mad_u64_u32 v[124:125], s[2:3], v56, s14, v[6:7]
	;; [unrolled: 1-line block ×9, first 2 shown]
	global_load_ushort v151, v[4:5], off offset:108
	global_load_dword v152, v[8:9], off
	s_nop 0
	global_load_dword v124, v[124:125], off
	s_nop 0
	;; [unrolled: 2-line block ×3, first 2 shown]
	global_load_dword v126, v[128:129], off
	global_load_dword v127, v[130:131], off
	s_nop 0
	global_load_dword v128, v[132:133], off
	global_load_dword v129, v[134:135], off
	v_mad_u64_u32 v[4:5], s[2:3], v68, s14, v[6:7]
	v_lshl_add_u64 v[2:3], v[2:3], 0, s[20:21]
	global_load_dword v130, v[4:5], off
	v_mad_u64_u32 v[4:5], s[2:3], v74, s14, v[2:3]
	v_lshl_add_u64 v[6:7], v[4:5], 0, v[72:73]
	global_load_dword v131, v[6:7], off
	v_mad_u64_u32 v[6:7], s[2:3], v76, s14, v[2:3]
	v_mad_u64_u32 v[8:9], s[2:3], v78, s14, v[2:3]
	;; [unrolled: 1-line block ×3, first 2 shown]
	global_load_dword v132, v[2:3], off offset:8
	global_load_dword v133, v[8:9], off offset:8
	;; [unrolled: 1-line block ×4, first 2 shown]
	v_lshl_add_u64 v[4:5], v[6:7], 0, v[72:73]
	global_load_dword v6, v[4:5], off
	v_lshl_add_u64 v[4:5], v[8:9], 0, v[72:73]
	global_load_dword v4, v[4:5], off
	s_waitcnt vmcnt(31)
	ds_write_b32 v17, v123
	s_waitcnt vmcnt(30)
	ds_write_b32 v19, v136
	;; [unrolled: 2-line block ×6, first 2 shown]
	v_lshl_add_u64 v[2:3], v[2:3], 0, v[72:73]
	global_load_dword v2, v[2:3], off
	s_waitcnt vmcnt(26)
	ds_write_b32 v29, v141
	s_waitcnt vmcnt(25)
	ds_write_b32 v31, v142
	;; [unrolled: 2-line block ×7, first 2 shown]
	s_lshl_b32 s34, s25, 8
	s_cmp_lt_i32 s34, s15
	s_waitcnt vmcnt(16)
	v_cvt_f32_f16_e32 v3, v151
	ds_write_b32 v43, v148
	ds_write_b32 v45, v149
	;; [unrolled: 1-line block ×4, first 2 shown]
	s_waitcnt vmcnt(15)
	v_not_b32_e32 v3, v152
	ds_write_b32 v110, v3
	s_waitcnt vmcnt(14)
	v_not_b32_e32 v3, v124
	ds_write_b32 v111, v3
	;; [unrolled: 3-line block ×8, first 2 shown]
	s_waitcnt vmcnt(7)
	v_ashrrev_i32_e32 v3, v55, v131
	v_and_b32_e32 v3, 0xf0f0f0f, v3
	s_waitcnt vmcnt(3)
	v_ashrrev_i32_e32 v5, v57, v135
	v_lshlrev_b32_e32 v5, 4, v5
	v_and_or_b32 v3, v5, s29, v3
	v_lshlrev_b16_e32 v7, 8, v3
	v_and_b32_e32 v5, 0x3f00, v3
	v_add_u16_e32 v7, 0xe000, v7
	v_or_b32_sdwa v5, v5, v7 dst_sel:DWORD dst_unused:UNUSED_PAD src0_sel:DWORD src1_sel:BYTE_1
	v_and_b32_sdwa v7, v3, s30 dst_sel:DWORD dst_unused:UNUSED_PAD src0_sel:WORD_1 src1_sel:DWORD
	v_lshlrev_b16_sdwa v3, v122, v3 dst_sel:DWORD dst_unused:UNUSED_PAD src0_sel:DWORD src1_sel:WORD_1
	v_add_u16_e32 v3, 0xe000, v3
	v_or_b32_sdwa v3, v7, v3 dst_sel:DWORD dst_unused:UNUSED_PAD src0_sel:DWORD src1_sel:BYTE_1
	v_add_u16_e32 v5, 0xe000, v5
	v_add_u16_sdwa v3, v3, s31 dst_sel:WORD_1 dst_unused:UNUSED_PAD src0_sel:DWORD src1_sel:DWORD
	s_waitcnt vmcnt(0)
	v_ashrrev_i32_e32 v2, v55, v2
	v_or_b32_e32 v3, v5, v3
	ds_write_b32 v118, v3
	v_ashrrev_i32_e32 v3, v55, v6
	v_ashrrev_i32_e32 v5, v57, v134
	v_and_b32_e32 v3, 0xf0f0f0f, v3
	v_lshlrev_b32_e32 v5, 4, v5
	v_and_or_b32 v3, v5, s29, v3
	v_lshlrev_b16_e32 v6, 8, v3
	v_and_b32_e32 v5, 0x3f00, v3
	v_add_u16_e32 v6, 0xe000, v6
	v_or_b32_sdwa v5, v5, v6 dst_sel:DWORD dst_unused:UNUSED_PAD src0_sel:DWORD src1_sel:BYTE_1
	v_and_b32_sdwa v6, v3, s30 dst_sel:DWORD dst_unused:UNUSED_PAD src0_sel:WORD_1 src1_sel:DWORD
	v_lshlrev_b16_sdwa v3, v122, v3 dst_sel:DWORD dst_unused:UNUSED_PAD src0_sel:DWORD src1_sel:WORD_1
	v_add_u16_e32 v3, 0xe000, v3
	v_or_b32_sdwa v3, v6, v3 dst_sel:DWORD dst_unused:UNUSED_PAD src0_sel:DWORD src1_sel:BYTE_1
	v_add_u16_e32 v5, 0xe000, v5
	v_add_u16_sdwa v3, v3, s31 dst_sel:WORD_1 dst_unused:UNUSED_PAD src0_sel:DWORD src1_sel:DWORD
	v_and_b32_e32 v2, 0xf0f0f0f, v2
	v_or_b32_e32 v3, v5, v3
	ds_write_b32 v119, v3
	v_ashrrev_i32_e32 v3, v55, v4
	v_ashrrev_i32_e32 v4, v57, v133
	v_and_b32_e32 v3, 0xf0f0f0f, v3
	v_lshlrev_b32_e32 v4, 4, v4
	v_and_or_b32 v3, v4, s29, v3
	v_lshlrev_b16_e32 v5, 8, v3
	v_and_b32_e32 v4, 0x3f00, v3
	v_add_u16_e32 v5, 0xe000, v5
	v_or_b32_sdwa v4, v4, v5 dst_sel:DWORD dst_unused:UNUSED_PAD src0_sel:DWORD src1_sel:BYTE_1
	v_and_b32_sdwa v5, v3, s30 dst_sel:DWORD dst_unused:UNUSED_PAD src0_sel:WORD_1 src1_sel:DWORD
	v_lshlrev_b16_sdwa v3, v122, v3 dst_sel:DWORD dst_unused:UNUSED_PAD src0_sel:DWORD src1_sel:WORD_1
	v_add_u16_e32 v3, 0xe000, v3
	v_or_b32_sdwa v3, v5, v3 dst_sel:DWORD dst_unused:UNUSED_PAD src0_sel:DWORD src1_sel:BYTE_1
	v_add_u16_e32 v4, 0xe000, v4
	v_add_u16_sdwa v3, v3, s31 dst_sel:WORD_1 dst_unused:UNUSED_PAD src0_sel:DWORD src1_sel:DWORD
	s_nop 0
	v_or_b32_e32 v3, v4, v3
	ds_write_b32 v120, v3
	v_ashrrev_i32_e32 v3, v57, v132
	v_lshlrev_b32_e32 v3, 4, v3
	v_and_or_b32 v2, v3, s29, v2
	v_lshlrev_b16_e32 v4, 8, v2
	v_and_b32_e32 v3, 0x3f00, v2
	v_add_u16_e32 v4, 0xe000, v4
	v_or_b32_sdwa v3, v3, v4 dst_sel:DWORD dst_unused:UNUSED_PAD src0_sel:DWORD src1_sel:BYTE_1
	v_and_b32_sdwa v4, v2, s30 dst_sel:DWORD dst_unused:UNUSED_PAD src0_sel:WORD_1 src1_sel:DWORD
	v_lshlrev_b16_sdwa v2, v122, v2 dst_sel:DWORD dst_unused:UNUSED_PAD src0_sel:DWORD src1_sel:WORD_1
	v_add_u16_e32 v2, 0xe000, v2
	v_or_b32_sdwa v2, v4, v2 dst_sel:DWORD dst_unused:UNUSED_PAD src0_sel:DWORD src1_sel:BYTE_1
	v_add_u16_e32 v3, 0xe000, v3
	v_add_u16_sdwa v2, v2, s31 dst_sel:WORD_1 dst_unused:UNUSED_PAD src0_sel:DWORD src1_sel:DWORD
	s_nop 0
	v_or_b32_e32 v2, v3, v2
	ds_write_b32 v121, v2
	s_cbranch_scc0 .LBB229_4
; %bb.6:                                ;   in Loop: Header=BB229_5 Depth=1
	s_lshl_b32 s33, s25, 3
	v_add_u32_e32 v2, s33, v51
	v_cmp_gt_i32_e64 s[2:3], s5, v2
	s_and_b64 s[22:23], s[0:1], s[2:3]
	s_and_saveexec_b64 s[2:3], s[22:23]
	s_cbranch_execz .LBB229_8
; %bb.7:                                ;   in Loop: Header=BB229_5 Depth=1
	v_add_u32_e32 v2, v84, v2
	v_mad_i64_i32 v[2:3], s[22:23], v2, 36, v[82:83]
	global_load_dword v2, v[2:3], off offset:4
	s_waitcnt vmcnt(0)
	ds_write_b32 v59, v2
.LBB229_8:                              ;   in Loop: Header=BB229_5 Depth=1
	s_or_b64 exec, exec, s[2:3]
	s_and_saveexec_b64 s[22:23], vcc
	s_cbranch_execz .LBB229_11
; %bb.9:                                ;   in Loop: Header=BB229_5 Depth=1
	v_or_b32_e32 v2, s33, v15
	v_cmp_gt_i32_e64 s[2:3], s5, v2
	s_and_b64 s[2:3], s[0:1], s[2:3]
	s_and_b64 exec, exec, s[2:3]
	s_cbranch_execz .LBB229_11
; %bb.10:                               ;   in Loop: Header=BB229_5 Depth=1
	v_add_u32_e32 v2, v84, v2
	v_mad_i64_i32 v[2:3], s[2:3], v2, 36, s[10:11]
	global_load_dword v2, v[2:3], off
	s_waitcnt vmcnt(0)
	v_cvt_f32_f16_e32 v2, v2
	ds_write_b32 v61, v2
.LBB229_11:                             ;   in Loop: Header=BB229_5 Depth=1
	s_or_b64 exec, exec, s[22:23]
	s_mov_b32 s22, -2
	s_mov_b32 s2, 0
	v_mov_b32_e32 v123, v101
	v_mov_b32_e32 v124, v100
	s_mov_b32 s3, 0
	s_waitcnt lgkmcnt(0)
	s_barrier
.LBB229_12:                             ;   Parent Loop BB229_5 Depth=1
                                        ; =>  This Inner Loop Header: Depth=2
	s_and_b32 s23, s3, -16
	v_add_u32_e32 v126, s23, v63
	s_add_i32 s23, s22, 2
	s_lshr_b32 s37, s23, 4
	s_and_b32 s36, s23, 0x3ffffff8
	s_lshl_b32 s35, s37, 3
	s_lshl_b32 s36, s36, 2
	v_add_lshl_u32 v133, v65, s35, 2
	v_add_u32_e32 v127, s36, v67
	v_add_u32_e32 v130, 0x4200, v133
	ds_read_b32 v125, v123
	ds_read_b128 v[6:9], v124
	ds_read_b128 v[2:5], v124 offset:16
	ds_read2_b32 v[128:129], v127 offset1:1
	ds_read2_b32 v[130:131], v130 offset1:1
	s_lshl_b32 s37, s37, 2
	s_add_i32 s3, s3, 2
	v_add_u32_e32 v124, 32, v124
	s_waitcnt lgkmcnt(1)
	v_ashrrev_i32_e32 v128, s23, v128
	s_waitcnt lgkmcnt(0)
	v_ashrrev_i32_e32 v130, s2, v130
	v_lshlrev_b32_e32 v130, 2, v130
	v_and_b32_e32 v132, 0x3030303, v128
	v_bfe_u32 v128, v128, 24, 2
	v_and_b32_e32 v130, 0x4040404, v130
	v_sub_u16_e32 v134, v132, v130
	v_sub_u16_sdwa v135, v132, v130 dst_sel:BYTE_1 dst_unused:UNUSED_PAD src0_sel:BYTE_1 src1_sel:BYTE_1
	v_sub_u16_sdwa v128, v128, v130 dst_sel:BYTE_1 dst_unused:UNUSED_PAD src0_sel:DWORD src1_sel:BYTE_3
	v_sub_u16_sdwa v130, v132, v130 dst_sel:DWORD dst_unused:UNUSED_PAD src0_sel:WORD_1 src1_sel:WORD_1
	v_or_b32_sdwa v134, v134, v135 dst_sel:DWORD dst_unused:UNUSED_PAD src0_sel:BYTE_0 src1_sel:DWORD
	v_or_b32_sdwa v128, v130, v128 dst_sel:WORD_1 dst_unused:UNUSED_PAD src0_sel:BYTE_0 src1_sel:DWORD
	v_ashrrev_i32_e32 v130, s2, v131
	v_or_b32_sdwa v132, v134, v128 dst_sel:DWORD dst_unused:UNUSED_PAD src0_sel:WORD_0 src1_sel:DWORD
	v_ashrrev_i32_e32 v128, s23, v129
	v_lshlrev_b32_e32 v130, 2, v130
	v_and_b32_e32 v129, 0x3030303, v128
	v_bfe_u32 v128, v128, 24, 2
	v_and_b32_e32 v130, 0x4040404, v130
	v_sub_u16_e32 v131, v129, v130
	v_sub_u16_sdwa v134, v129, v130 dst_sel:BYTE_1 dst_unused:UNUSED_PAD src0_sel:BYTE_1 src1_sel:BYTE_1
	v_sub_u16_sdwa v128, v128, v130 dst_sel:BYTE_1 dst_unused:UNUSED_PAD src0_sel:DWORD src1_sel:BYTE_3
	v_sub_u16_sdwa v129, v129, v130 dst_sel:DWORD dst_unused:UNUSED_PAD src0_sel:WORD_1 src1_sel:WORD_1
	v_or_b32_sdwa v131, v131, v134 dst_sel:DWORD dst_unused:UNUSED_PAD src0_sel:BYTE_0 src1_sel:DWORD
	v_or_b32_sdwa v128, v129, v128 dst_sel:WORD_1 dst_unused:UNUSED_PAD src0_sel:BYTE_0 src1_sel:DWORD
	v_add_u32_e32 v130, 0x4208, v133
	v_or_b32_sdwa v134, v131, v128 dst_sel:DWORD dst_unused:UNUSED_PAD src0_sel:WORD_0 src1_sel:DWORD
	ds_read2_b32 v[128:129], v127 offset0:2 offset1:3
	ds_read2_b32 v[130:131], v130 offset1:1
	v_add_u32_e32 v123, 4, v123
	s_waitcnt lgkmcnt(1)
	v_ashrrev_i32_e32 v128, s23, v128
	s_waitcnt lgkmcnt(0)
	v_ashrrev_i32_e32 v130, s2, v130
	v_lshlrev_b32_e32 v130, 2, v130
	v_and_b32_e32 v135, 0x3030303, v128
	v_bfe_u32 v128, v128, 24, 2
	v_and_b32_e32 v130, 0x4040404, v130
	v_sub_u16_e32 v136, v135, v130
	v_sub_u16_sdwa v137, v135, v130 dst_sel:BYTE_1 dst_unused:UNUSED_PAD src0_sel:BYTE_1 src1_sel:BYTE_1
	v_sub_u16_sdwa v128, v128, v130 dst_sel:BYTE_1 dst_unused:UNUSED_PAD src0_sel:DWORD src1_sel:BYTE_3
	v_sub_u16_sdwa v130, v135, v130 dst_sel:DWORD dst_unused:UNUSED_PAD src0_sel:WORD_1 src1_sel:WORD_1
	v_or_b32_sdwa v136, v136, v137 dst_sel:DWORD dst_unused:UNUSED_PAD src0_sel:BYTE_0 src1_sel:DWORD
	v_or_b32_sdwa v128, v130, v128 dst_sel:WORD_1 dst_unused:UNUSED_PAD src0_sel:BYTE_0 src1_sel:DWORD
	v_ashrrev_i32_e32 v130, s2, v131
	v_or_b32_sdwa v135, v136, v128 dst_sel:DWORD dst_unused:UNUSED_PAD src0_sel:WORD_0 src1_sel:DWORD
	v_ashrrev_i32_e32 v128, s23, v129
	v_lshlrev_b32_e32 v130, 2, v130
	v_and_b32_e32 v129, 0x3030303, v128
	v_bfe_u32 v128, v128, 24, 2
	v_and_b32_e32 v130, 0x4040404, v130
	v_sub_u16_e32 v131, v129, v130
	v_sub_u16_sdwa v136, v129, v130 dst_sel:BYTE_1 dst_unused:UNUSED_PAD src0_sel:BYTE_1 src1_sel:BYTE_1
	v_sub_u16_sdwa v128, v128, v130 dst_sel:BYTE_1 dst_unused:UNUSED_PAD src0_sel:DWORD src1_sel:BYTE_3
	v_sub_u16_sdwa v129, v129, v130 dst_sel:DWORD dst_unused:UNUSED_PAD src0_sel:WORD_1 src1_sel:WORD_1
	v_or_b32_sdwa v131, v131, v136 dst_sel:DWORD dst_unused:UNUSED_PAD src0_sel:BYTE_0 src1_sel:DWORD
	v_or_b32_sdwa v128, v129, v128 dst_sel:WORD_1 dst_unused:UNUSED_PAD src0_sel:BYTE_0 src1_sel:DWORD
	v_add_u32_e32 v130, 0x4210, v133
	v_or_b32_sdwa v136, v131, v128 dst_sel:DWORD dst_unused:UNUSED_PAD src0_sel:WORD_0 src1_sel:DWORD
	ds_read2_b32 v[128:129], v127 offset0:4 offset1:5
	ds_read2_b32 v[130:131], v130 offset1:1
	s_waitcnt lgkmcnt(1)
	v_ashrrev_i32_e32 v128, s23, v128
	s_waitcnt lgkmcnt(0)
	v_ashrrev_i32_e32 v130, s2, v130
	v_lshlrev_b32_e32 v130, 2, v130
	v_and_b32_e32 v137, 0x3030303, v128
	v_bfe_u32 v128, v128, 24, 2
	v_and_b32_e32 v130, 0x4040404, v130
	v_sub_u16_e32 v138, v137, v130
	v_sub_u16_sdwa v139, v137, v130 dst_sel:BYTE_1 dst_unused:UNUSED_PAD src0_sel:BYTE_1 src1_sel:BYTE_1
	v_sub_u16_sdwa v128, v128, v130 dst_sel:BYTE_1 dst_unused:UNUSED_PAD src0_sel:DWORD src1_sel:BYTE_3
	v_sub_u16_sdwa v130, v137, v130 dst_sel:DWORD dst_unused:UNUSED_PAD src0_sel:WORD_1 src1_sel:WORD_1
	v_or_b32_sdwa v138, v138, v139 dst_sel:DWORD dst_unused:UNUSED_PAD src0_sel:BYTE_0 src1_sel:DWORD
	v_or_b32_sdwa v128, v130, v128 dst_sel:WORD_1 dst_unused:UNUSED_PAD src0_sel:BYTE_0 src1_sel:DWORD
	v_ashrrev_i32_e32 v130, s2, v131
	v_or_b32_sdwa v137, v138, v128 dst_sel:DWORD dst_unused:UNUSED_PAD src0_sel:WORD_0 src1_sel:DWORD
	v_ashrrev_i32_e32 v128, s23, v129
	v_lshlrev_b32_e32 v130, 2, v130
	v_and_b32_e32 v129, 0x3030303, v128
	v_bfe_u32 v128, v128, 24, 2
	v_and_b32_e32 v130, 0x4040404, v130
	v_sub_u16_e32 v131, v129, v130
	v_sub_u16_sdwa v138, v129, v130 dst_sel:BYTE_1 dst_unused:UNUSED_PAD src0_sel:BYTE_1 src1_sel:BYTE_1
	v_sub_u16_sdwa v128, v128, v130 dst_sel:BYTE_1 dst_unused:UNUSED_PAD src0_sel:DWORD src1_sel:BYTE_3
	v_sub_u16_sdwa v129, v129, v130 dst_sel:DWORD dst_unused:UNUSED_PAD src0_sel:WORD_1 src1_sel:WORD_1
	v_or_b32_sdwa v131, v131, v138 dst_sel:DWORD dst_unused:UNUSED_PAD src0_sel:BYTE_0 src1_sel:DWORD
	v_or_b32_sdwa v128, v129, v128 dst_sel:WORD_1 dst_unused:UNUSED_PAD src0_sel:BYTE_0 src1_sel:DWORD
	v_add_u32_e32 v130, 0x4218, v133
	v_or_b32_sdwa v138, v131, v128 dst_sel:DWORD dst_unused:UNUSED_PAD src0_sel:WORD_0 src1_sel:DWORD
	ds_read2_b32 v[128:129], v127 offset0:6 offset1:7
	ds_read2_b32 v[130:131], v130 offset1:1
	s_waitcnt lgkmcnt(1)
	v_ashrrev_i32_e32 v127, s23, v128
	s_waitcnt lgkmcnt(0)
	v_ashrrev_i32_e32 v130, s2, v130
	v_lshlrev_b32_e32 v130, 2, v130
	v_and_b32_e32 v128, 0x3030303, v127
	v_bfe_u32 v127, v127, 24, 2
	v_and_b32_e32 v130, 0x4040404, v130
	v_sub_u16_e32 v133, v128, v130
	v_sub_u16_sdwa v139, v128, v130 dst_sel:BYTE_1 dst_unused:UNUSED_PAD src0_sel:BYTE_1 src1_sel:BYTE_1
	v_sub_u16_sdwa v127, v127, v130 dst_sel:BYTE_1 dst_unused:UNUSED_PAD src0_sel:DWORD src1_sel:BYTE_3
	v_sub_u16_sdwa v128, v128, v130 dst_sel:DWORD dst_unused:UNUSED_PAD src0_sel:WORD_1 src1_sel:WORD_1
	v_ashrrev_i32_e32 v130, s2, v131
	v_or_b32_sdwa v127, v128, v127 dst_sel:WORD_1 dst_unused:UNUSED_PAD src0_sel:BYTE_0 src1_sel:DWORD
	v_ashrrev_i32_e32 v128, s23, v129
	v_lshlrev_b32_e32 v130, 2, v130
	v_or_b32_sdwa v133, v133, v139 dst_sel:DWORD dst_unused:UNUSED_PAD src0_sel:BYTE_0 src1_sel:DWORD
	v_and_b32_e32 v129, 0x3030303, v128
	v_bfe_u32 v128, v128, 24, 2
	v_and_b32_e32 v130, 0x4040404, v130
	v_or_b32_sdwa v127, v133, v127 dst_sel:DWORD dst_unused:UNUSED_PAD src0_sel:WORD_0 src1_sel:DWORD
	v_sub_u16_e32 v131, v129, v130
	v_sub_u16_sdwa v133, v129, v130 dst_sel:BYTE_1 dst_unused:UNUSED_PAD src0_sel:BYTE_1 src1_sel:BYTE_1
	v_sub_u16_sdwa v128, v128, v130 dst_sel:BYTE_1 dst_unused:UNUSED_PAD src0_sel:DWORD src1_sel:BYTE_3
	v_sub_u16_sdwa v129, v129, v130 dst_sel:DWORD dst_unused:UNUSED_PAD src0_sel:WORD_1 src1_sel:WORD_1
	v_or_b32_sdwa v131, v131, v133 dst_sel:DWORD dst_unused:UNUSED_PAD src0_sel:BYTE_0 src1_sel:DWORD
	v_or_b32_sdwa v128, v129, v128 dst_sel:WORD_1 dst_unused:UNUSED_PAD src0_sel:BYTE_0 src1_sel:DWORD
	v_add_u32_e32 v130, s37, v69
	v_or_b32_sdwa v129, v131, v128 dst_sel:DWORD dst_unused:UNUSED_PAD src0_sel:WORD_0 src1_sel:DWORD
	v_add3_u32 v128, v99, s22, v126
	ds_read_b32 v130, v130
	ds_read_u16 v128, v128 offset:25346
	v_mov_b32_e32 v131, 0
	v_dot4c_i32_i8_e32 v131, v132, v6
	v_dot4c_i32_i8_e32 v131, v134, v7
	;; [unrolled: 1-line block ×4, first 2 shown]
	s_waitcnt lgkmcnt(0)
	v_lshrrev_b16_e32 v132, 8, v128
	v_bfe_i32 v128, v128, 0, 8
	v_add_lshl_u32 v133, v71, s35, 2
	v_mul_lo_u32 v128, v131, v128
	v_mov_b32_e32 v131, 0
	v_dot4c_i32_i8_e32 v131, v137, v2
	v_dot4c_i32_i8_e32 v131, v138, v3
	;; [unrolled: 1-line block ×4, first 2 shown]
	v_bfe_i32 v127, v132, 0, 8
	s_nop 1
	v_mad_u64_u32 v[128:129], s[38:39], v131, v127, v[128:129]
	v_cvt_f32_i32_e32 v128, v128
	v_mul_f32_e32 v127, v125, v130
	v_add_u32_e32 v130, 0x4200, v133
	ds_read2_b32 v[130:131], v130 offset1:1
	v_fmac_f32_e32 v95, v127, v128
	v_add_u32_e32 v127, s36, v75
	ds_read2_b32 v[128:129], v127 offset1:1
	s_waitcnt lgkmcnt(1)
	v_ashrrev_i32_e32 v130, s2, v130
	v_lshlrev_b32_e32 v130, 2, v130
	v_and_b32_e32 v130, 0x4040404, v130
	s_waitcnt lgkmcnt(0)
	v_ashrrev_i32_e32 v128, s23, v128
	v_and_b32_e32 v132, 0x3030303, v128
	v_bfe_u32 v128, v128, 24, 2
	v_sub_u16_e32 v134, v132, v130
	v_sub_u16_sdwa v135, v132, v130 dst_sel:BYTE_1 dst_unused:UNUSED_PAD src0_sel:BYTE_1 src1_sel:BYTE_1
	v_sub_u16_sdwa v128, v128, v130 dst_sel:BYTE_1 dst_unused:UNUSED_PAD src0_sel:DWORD src1_sel:BYTE_3
	v_sub_u16_sdwa v130, v132, v130 dst_sel:DWORD dst_unused:UNUSED_PAD src0_sel:WORD_1 src1_sel:WORD_1
	v_or_b32_sdwa v134, v134, v135 dst_sel:DWORD dst_unused:UNUSED_PAD src0_sel:BYTE_0 src1_sel:DWORD
	v_or_b32_sdwa v128, v130, v128 dst_sel:WORD_1 dst_unused:UNUSED_PAD src0_sel:BYTE_0 src1_sel:DWORD
	v_ashrrev_i32_e32 v130, s2, v131
	v_or_b32_sdwa v132, v134, v128 dst_sel:DWORD dst_unused:UNUSED_PAD src0_sel:WORD_0 src1_sel:DWORD
	v_ashrrev_i32_e32 v128, s23, v129
	v_lshlrev_b32_e32 v130, 2, v130
	v_and_b32_e32 v129, 0x3030303, v128
	v_bfe_u32 v128, v128, 24, 2
	v_and_b32_e32 v130, 0x4040404, v130
	v_sub_u16_e32 v131, v129, v130
	v_sub_u16_sdwa v134, v129, v130 dst_sel:BYTE_1 dst_unused:UNUSED_PAD src0_sel:BYTE_1 src1_sel:BYTE_1
	v_sub_u16_sdwa v128, v128, v130 dst_sel:BYTE_1 dst_unused:UNUSED_PAD src0_sel:DWORD src1_sel:BYTE_3
	v_sub_u16_sdwa v129, v129, v130 dst_sel:DWORD dst_unused:UNUSED_PAD src0_sel:WORD_1 src1_sel:WORD_1
	v_or_b32_sdwa v131, v131, v134 dst_sel:DWORD dst_unused:UNUSED_PAD src0_sel:BYTE_0 src1_sel:DWORD
	v_or_b32_sdwa v128, v129, v128 dst_sel:WORD_1 dst_unused:UNUSED_PAD src0_sel:BYTE_0 src1_sel:DWORD
	v_add_u32_e32 v130, 0x4208, v133
	v_or_b32_sdwa v134, v131, v128 dst_sel:DWORD dst_unused:UNUSED_PAD src0_sel:WORD_0 src1_sel:DWORD
	ds_read2_b32 v[128:129], v127 offset0:2 offset1:3
	ds_read2_b32 v[130:131], v130 offset1:1
	s_waitcnt lgkmcnt(1)
	v_ashrrev_i32_e32 v128, s23, v128
	s_waitcnt lgkmcnt(0)
	v_ashrrev_i32_e32 v130, s2, v130
	v_lshlrev_b32_e32 v130, 2, v130
	v_and_b32_e32 v135, 0x3030303, v128
	v_bfe_u32 v128, v128, 24, 2
	v_and_b32_e32 v130, 0x4040404, v130
	v_sub_u16_e32 v136, v135, v130
	v_sub_u16_sdwa v137, v135, v130 dst_sel:BYTE_1 dst_unused:UNUSED_PAD src0_sel:BYTE_1 src1_sel:BYTE_1
	v_sub_u16_sdwa v128, v128, v130 dst_sel:BYTE_1 dst_unused:UNUSED_PAD src0_sel:DWORD src1_sel:BYTE_3
	v_sub_u16_sdwa v130, v135, v130 dst_sel:DWORD dst_unused:UNUSED_PAD src0_sel:WORD_1 src1_sel:WORD_1
	v_or_b32_sdwa v136, v136, v137 dst_sel:DWORD dst_unused:UNUSED_PAD src0_sel:BYTE_0 src1_sel:DWORD
	v_or_b32_sdwa v128, v130, v128 dst_sel:WORD_1 dst_unused:UNUSED_PAD src0_sel:BYTE_0 src1_sel:DWORD
	v_ashrrev_i32_e32 v130, s2, v131
	v_or_b32_sdwa v135, v136, v128 dst_sel:DWORD dst_unused:UNUSED_PAD src0_sel:WORD_0 src1_sel:DWORD
	v_ashrrev_i32_e32 v128, s23, v129
	v_lshlrev_b32_e32 v130, 2, v130
	v_and_b32_e32 v129, 0x3030303, v128
	v_bfe_u32 v128, v128, 24, 2
	v_and_b32_e32 v130, 0x4040404, v130
	v_sub_u16_e32 v131, v129, v130
	v_sub_u16_sdwa v136, v129, v130 dst_sel:BYTE_1 dst_unused:UNUSED_PAD src0_sel:BYTE_1 src1_sel:BYTE_1
	v_sub_u16_sdwa v128, v128, v130 dst_sel:BYTE_1 dst_unused:UNUSED_PAD src0_sel:DWORD src1_sel:BYTE_3
	v_sub_u16_sdwa v129, v129, v130 dst_sel:DWORD dst_unused:UNUSED_PAD src0_sel:WORD_1 src1_sel:WORD_1
	v_or_b32_sdwa v131, v131, v136 dst_sel:DWORD dst_unused:UNUSED_PAD src0_sel:BYTE_0 src1_sel:DWORD
	v_or_b32_sdwa v128, v129, v128 dst_sel:WORD_1 dst_unused:UNUSED_PAD src0_sel:BYTE_0 src1_sel:DWORD
	v_add_u32_e32 v130, 0x4210, v133
	v_or_b32_sdwa v136, v131, v128 dst_sel:DWORD dst_unused:UNUSED_PAD src0_sel:WORD_0 src1_sel:DWORD
	ds_read2_b32 v[128:129], v127 offset0:4 offset1:5
	ds_read2_b32 v[130:131], v130 offset1:1
	s_waitcnt lgkmcnt(1)
	v_ashrrev_i32_e32 v128, s23, v128
	s_waitcnt lgkmcnt(0)
	v_ashrrev_i32_e32 v130, s2, v130
	v_lshlrev_b32_e32 v130, 2, v130
	v_and_b32_e32 v137, 0x3030303, v128
	v_bfe_u32 v128, v128, 24, 2
	v_and_b32_e32 v130, 0x4040404, v130
	v_sub_u16_e32 v138, v137, v130
	v_sub_u16_sdwa v139, v137, v130 dst_sel:BYTE_1 dst_unused:UNUSED_PAD src0_sel:BYTE_1 src1_sel:BYTE_1
	v_sub_u16_sdwa v128, v128, v130 dst_sel:BYTE_1 dst_unused:UNUSED_PAD src0_sel:DWORD src1_sel:BYTE_3
	v_sub_u16_sdwa v130, v137, v130 dst_sel:DWORD dst_unused:UNUSED_PAD src0_sel:WORD_1 src1_sel:WORD_1
	v_or_b32_sdwa v138, v138, v139 dst_sel:DWORD dst_unused:UNUSED_PAD src0_sel:BYTE_0 src1_sel:DWORD
	v_or_b32_sdwa v128, v130, v128 dst_sel:WORD_1 dst_unused:UNUSED_PAD src0_sel:BYTE_0 src1_sel:DWORD
	v_ashrrev_i32_e32 v130, s2, v131
	v_or_b32_sdwa v137, v138, v128 dst_sel:DWORD dst_unused:UNUSED_PAD src0_sel:WORD_0 src1_sel:DWORD
	v_ashrrev_i32_e32 v128, s23, v129
	v_lshlrev_b32_e32 v130, 2, v130
	v_and_b32_e32 v129, 0x3030303, v128
	v_bfe_u32 v128, v128, 24, 2
	v_and_b32_e32 v130, 0x4040404, v130
	v_sub_u16_e32 v131, v129, v130
	v_sub_u16_sdwa v138, v129, v130 dst_sel:BYTE_1 dst_unused:UNUSED_PAD src0_sel:BYTE_1 src1_sel:BYTE_1
	v_sub_u16_sdwa v128, v128, v130 dst_sel:BYTE_1 dst_unused:UNUSED_PAD src0_sel:DWORD src1_sel:BYTE_3
	v_sub_u16_sdwa v129, v129, v130 dst_sel:DWORD dst_unused:UNUSED_PAD src0_sel:WORD_1 src1_sel:WORD_1
	v_or_b32_sdwa v131, v131, v138 dst_sel:DWORD dst_unused:UNUSED_PAD src0_sel:BYTE_0 src1_sel:DWORD
	v_or_b32_sdwa v128, v129, v128 dst_sel:WORD_1 dst_unused:UNUSED_PAD src0_sel:BYTE_0 src1_sel:DWORD
	v_add_u32_e32 v130, 0x4218, v133
	v_or_b32_sdwa v138, v131, v128 dst_sel:DWORD dst_unused:UNUSED_PAD src0_sel:WORD_0 src1_sel:DWORD
	ds_read2_b32 v[128:129], v127 offset0:6 offset1:7
	ds_read2_b32 v[130:131], v130 offset1:1
	s_waitcnt lgkmcnt(1)
	v_ashrrev_i32_e32 v127, s23, v128
	s_waitcnt lgkmcnt(0)
	v_ashrrev_i32_e32 v130, s2, v130
	v_lshlrev_b32_e32 v130, 2, v130
	v_and_b32_e32 v128, 0x3030303, v127
	v_bfe_u32 v127, v127, 24, 2
	v_and_b32_e32 v130, 0x4040404, v130
	v_sub_u16_e32 v133, v128, v130
	v_sub_u16_sdwa v139, v128, v130 dst_sel:BYTE_1 dst_unused:UNUSED_PAD src0_sel:BYTE_1 src1_sel:BYTE_1
	v_sub_u16_sdwa v127, v127, v130 dst_sel:BYTE_1 dst_unused:UNUSED_PAD src0_sel:DWORD src1_sel:BYTE_3
	v_sub_u16_sdwa v128, v128, v130 dst_sel:DWORD dst_unused:UNUSED_PAD src0_sel:WORD_1 src1_sel:WORD_1
	v_ashrrev_i32_e32 v130, s2, v131
	v_or_b32_sdwa v127, v128, v127 dst_sel:WORD_1 dst_unused:UNUSED_PAD src0_sel:BYTE_0 src1_sel:DWORD
	v_ashrrev_i32_e32 v128, s23, v129
	v_lshlrev_b32_e32 v130, 2, v130
	v_or_b32_sdwa v133, v133, v139 dst_sel:DWORD dst_unused:UNUSED_PAD src0_sel:BYTE_0 src1_sel:DWORD
	v_and_b32_e32 v129, 0x3030303, v128
	v_bfe_u32 v128, v128, 24, 2
	v_and_b32_e32 v130, 0x4040404, v130
	v_or_b32_sdwa v127, v133, v127 dst_sel:DWORD dst_unused:UNUSED_PAD src0_sel:WORD_0 src1_sel:DWORD
	v_sub_u16_e32 v131, v129, v130
	v_sub_u16_sdwa v133, v129, v130 dst_sel:BYTE_1 dst_unused:UNUSED_PAD src0_sel:BYTE_1 src1_sel:BYTE_1
	v_sub_u16_sdwa v128, v128, v130 dst_sel:BYTE_1 dst_unused:UNUSED_PAD src0_sel:DWORD src1_sel:BYTE_3
	v_sub_u16_sdwa v129, v129, v130 dst_sel:DWORD dst_unused:UNUSED_PAD src0_sel:WORD_1 src1_sel:WORD_1
	v_or_b32_sdwa v131, v131, v133 dst_sel:DWORD dst_unused:UNUSED_PAD src0_sel:BYTE_0 src1_sel:DWORD
	v_or_b32_sdwa v128, v129, v128 dst_sel:WORD_1 dst_unused:UNUSED_PAD src0_sel:BYTE_0 src1_sel:DWORD
	v_add_u32_e32 v130, s37, v77
	v_or_b32_sdwa v129, v131, v128 dst_sel:DWORD dst_unused:UNUSED_PAD src0_sel:WORD_0 src1_sel:DWORD
	v_add3_u32 v128, v98, s22, v126
	ds_read_b32 v130, v130
	ds_read_u16 v128, v128 offset:26370
	v_mov_b32_e32 v131, 0
	v_dot4c_i32_i8_e32 v131, v132, v6
	v_dot4c_i32_i8_e32 v131, v134, v7
	;; [unrolled: 1-line block ×4, first 2 shown]
	s_waitcnt lgkmcnt(0)
	v_lshrrev_b16_e32 v132, 8, v128
	v_bfe_i32 v128, v128, 0, 8
	v_add_lshl_u32 v133, v79, s35, 2
	v_mul_lo_u32 v128, v131, v128
	v_mov_b32_e32 v131, 0
	v_dot4c_i32_i8_e32 v131, v137, v2
	v_dot4c_i32_i8_e32 v131, v138, v3
	;; [unrolled: 1-line block ×4, first 2 shown]
	v_bfe_i32 v127, v132, 0, 8
	s_nop 1
	v_mad_u64_u32 v[128:129], s[38:39], v131, v127, v[128:129]
	v_cvt_f32_i32_e32 v128, v128
	v_mul_f32_e32 v127, v125, v130
	v_add_u32_e32 v130, 0x4200, v133
	ds_read2_b32 v[130:131], v130 offset1:1
	v_fmac_f32_e32 v94, v127, v128
	v_add_u32_e32 v127, s36, v81
	ds_read2_b32 v[128:129], v127 offset1:1
	s_waitcnt lgkmcnt(1)
	v_ashrrev_i32_e32 v130, s2, v130
	v_lshlrev_b32_e32 v130, 2, v130
	v_and_b32_e32 v130, 0x4040404, v130
	s_waitcnt lgkmcnt(0)
	v_ashrrev_i32_e32 v128, s23, v128
	v_and_b32_e32 v132, 0x3030303, v128
	v_bfe_u32 v128, v128, 24, 2
	v_sub_u16_e32 v134, v132, v130
	v_sub_u16_sdwa v135, v132, v130 dst_sel:BYTE_1 dst_unused:UNUSED_PAD src0_sel:BYTE_1 src1_sel:BYTE_1
	v_sub_u16_sdwa v128, v128, v130 dst_sel:BYTE_1 dst_unused:UNUSED_PAD src0_sel:DWORD src1_sel:BYTE_3
	v_sub_u16_sdwa v130, v132, v130 dst_sel:DWORD dst_unused:UNUSED_PAD src0_sel:WORD_1 src1_sel:WORD_1
	v_or_b32_sdwa v134, v134, v135 dst_sel:DWORD dst_unused:UNUSED_PAD src0_sel:BYTE_0 src1_sel:DWORD
	v_or_b32_sdwa v128, v130, v128 dst_sel:WORD_1 dst_unused:UNUSED_PAD src0_sel:BYTE_0 src1_sel:DWORD
	v_ashrrev_i32_e32 v130, s2, v131
	v_or_b32_sdwa v132, v134, v128 dst_sel:DWORD dst_unused:UNUSED_PAD src0_sel:WORD_0 src1_sel:DWORD
	v_ashrrev_i32_e32 v128, s23, v129
	v_lshlrev_b32_e32 v130, 2, v130
	v_and_b32_e32 v129, 0x3030303, v128
	v_bfe_u32 v128, v128, 24, 2
	v_and_b32_e32 v130, 0x4040404, v130
	v_sub_u16_e32 v131, v129, v130
	v_sub_u16_sdwa v134, v129, v130 dst_sel:BYTE_1 dst_unused:UNUSED_PAD src0_sel:BYTE_1 src1_sel:BYTE_1
	v_sub_u16_sdwa v128, v128, v130 dst_sel:BYTE_1 dst_unused:UNUSED_PAD src0_sel:DWORD src1_sel:BYTE_3
	v_sub_u16_sdwa v129, v129, v130 dst_sel:DWORD dst_unused:UNUSED_PAD src0_sel:WORD_1 src1_sel:WORD_1
	v_or_b32_sdwa v131, v131, v134 dst_sel:DWORD dst_unused:UNUSED_PAD src0_sel:BYTE_0 src1_sel:DWORD
	v_or_b32_sdwa v128, v129, v128 dst_sel:WORD_1 dst_unused:UNUSED_PAD src0_sel:BYTE_0 src1_sel:DWORD
	v_add_u32_e32 v130, 0x4208, v133
	v_or_b32_sdwa v134, v131, v128 dst_sel:DWORD dst_unused:UNUSED_PAD src0_sel:WORD_0 src1_sel:DWORD
	ds_read2_b32 v[128:129], v127 offset0:2 offset1:3
	ds_read2_b32 v[130:131], v130 offset1:1
	s_waitcnt lgkmcnt(1)
	v_ashrrev_i32_e32 v128, s23, v128
	s_waitcnt lgkmcnt(0)
	v_ashrrev_i32_e32 v130, s2, v130
	v_lshlrev_b32_e32 v130, 2, v130
	v_and_b32_e32 v135, 0x3030303, v128
	v_bfe_u32 v128, v128, 24, 2
	v_and_b32_e32 v130, 0x4040404, v130
	v_sub_u16_e32 v136, v135, v130
	v_sub_u16_sdwa v137, v135, v130 dst_sel:BYTE_1 dst_unused:UNUSED_PAD src0_sel:BYTE_1 src1_sel:BYTE_1
	v_sub_u16_sdwa v128, v128, v130 dst_sel:BYTE_1 dst_unused:UNUSED_PAD src0_sel:DWORD src1_sel:BYTE_3
	v_sub_u16_sdwa v130, v135, v130 dst_sel:DWORD dst_unused:UNUSED_PAD src0_sel:WORD_1 src1_sel:WORD_1
	v_or_b32_sdwa v136, v136, v137 dst_sel:DWORD dst_unused:UNUSED_PAD src0_sel:BYTE_0 src1_sel:DWORD
	v_or_b32_sdwa v128, v130, v128 dst_sel:WORD_1 dst_unused:UNUSED_PAD src0_sel:BYTE_0 src1_sel:DWORD
	v_ashrrev_i32_e32 v130, s2, v131
	v_or_b32_sdwa v135, v136, v128 dst_sel:DWORD dst_unused:UNUSED_PAD src0_sel:WORD_0 src1_sel:DWORD
	v_ashrrev_i32_e32 v128, s23, v129
	v_lshlrev_b32_e32 v130, 2, v130
	v_and_b32_e32 v129, 0x3030303, v128
	v_bfe_u32 v128, v128, 24, 2
	v_and_b32_e32 v130, 0x4040404, v130
	v_sub_u16_e32 v131, v129, v130
	v_sub_u16_sdwa v136, v129, v130 dst_sel:BYTE_1 dst_unused:UNUSED_PAD src0_sel:BYTE_1 src1_sel:BYTE_1
	v_sub_u16_sdwa v128, v128, v130 dst_sel:BYTE_1 dst_unused:UNUSED_PAD src0_sel:DWORD src1_sel:BYTE_3
	v_sub_u16_sdwa v129, v129, v130 dst_sel:DWORD dst_unused:UNUSED_PAD src0_sel:WORD_1 src1_sel:WORD_1
	v_or_b32_sdwa v131, v131, v136 dst_sel:DWORD dst_unused:UNUSED_PAD src0_sel:BYTE_0 src1_sel:DWORD
	v_or_b32_sdwa v128, v129, v128 dst_sel:WORD_1 dst_unused:UNUSED_PAD src0_sel:BYTE_0 src1_sel:DWORD
	v_add_u32_e32 v130, 0x4210, v133
	v_or_b32_sdwa v136, v131, v128 dst_sel:DWORD dst_unused:UNUSED_PAD src0_sel:WORD_0 src1_sel:DWORD
	ds_read2_b32 v[128:129], v127 offset0:4 offset1:5
	ds_read2_b32 v[130:131], v130 offset1:1
	s_waitcnt lgkmcnt(1)
	v_ashrrev_i32_e32 v128, s23, v128
	s_waitcnt lgkmcnt(0)
	v_ashrrev_i32_e32 v130, s2, v130
	v_lshlrev_b32_e32 v130, 2, v130
	v_and_b32_e32 v137, 0x3030303, v128
	v_bfe_u32 v128, v128, 24, 2
	v_and_b32_e32 v130, 0x4040404, v130
	;; [unrolled: 31-line block ×3, first 2 shown]
	v_sub_u16_e32 v133, v128, v130
	v_sub_u16_sdwa v139, v128, v130 dst_sel:BYTE_1 dst_unused:UNUSED_PAD src0_sel:BYTE_1 src1_sel:BYTE_1
	v_sub_u16_sdwa v127, v127, v130 dst_sel:BYTE_1 dst_unused:UNUSED_PAD src0_sel:DWORD src1_sel:BYTE_3
	v_sub_u16_sdwa v128, v128, v130 dst_sel:DWORD dst_unused:UNUSED_PAD src0_sel:WORD_1 src1_sel:WORD_1
	v_ashrrev_i32_e32 v130, s2, v131
	v_or_b32_sdwa v127, v128, v127 dst_sel:WORD_1 dst_unused:UNUSED_PAD src0_sel:BYTE_0 src1_sel:DWORD
	v_ashrrev_i32_e32 v128, s23, v129
	v_lshlrev_b32_e32 v130, 2, v130
	v_or_b32_sdwa v133, v133, v139 dst_sel:DWORD dst_unused:UNUSED_PAD src0_sel:BYTE_0 src1_sel:DWORD
	v_and_b32_e32 v129, 0x3030303, v128
	v_bfe_u32 v128, v128, 24, 2
	v_and_b32_e32 v130, 0x4040404, v130
	v_or_b32_sdwa v127, v133, v127 dst_sel:DWORD dst_unused:UNUSED_PAD src0_sel:WORD_0 src1_sel:DWORD
	v_sub_u16_e32 v131, v129, v130
	v_sub_u16_sdwa v133, v129, v130 dst_sel:BYTE_1 dst_unused:UNUSED_PAD src0_sel:BYTE_1 src1_sel:BYTE_1
	v_sub_u16_sdwa v128, v128, v130 dst_sel:BYTE_1 dst_unused:UNUSED_PAD src0_sel:DWORD src1_sel:BYTE_3
	v_sub_u16_sdwa v129, v129, v130 dst_sel:DWORD dst_unused:UNUSED_PAD src0_sel:WORD_1 src1_sel:WORD_1
	v_or_b32_sdwa v131, v131, v133 dst_sel:DWORD dst_unused:UNUSED_PAD src0_sel:BYTE_0 src1_sel:DWORD
	v_or_b32_sdwa v128, v129, v128 dst_sel:WORD_1 dst_unused:UNUSED_PAD src0_sel:BYTE_0 src1_sel:DWORD
	v_add_u32_e32 v130, s37, v86
	v_or_b32_sdwa v129, v131, v128 dst_sel:DWORD dst_unused:UNUSED_PAD src0_sel:WORD_0 src1_sel:DWORD
	v_add3_u32 v128, v97, s22, v126
	ds_read_b32 v130, v130
	ds_read_u16 v128, v128 offset:27394
	v_mov_b32_e32 v131, 0
	v_dot4c_i32_i8_e32 v131, v132, v6
	v_dot4c_i32_i8_e32 v131, v134, v7
	v_dot4c_i32_i8_e32 v131, v135, v8
	v_dot4c_i32_i8_e32 v131, v136, v9
	s_waitcnt lgkmcnt(0)
	v_lshrrev_b16_e32 v132, 8, v128
	v_bfe_i32 v128, v128, 0, 8
	v_add_lshl_u32 v133, v87, s35, 2
	v_mul_lo_u32 v128, v131, v128
	v_mov_b32_e32 v131, 0
	v_dot4c_i32_i8_e32 v131, v137, v2
	v_dot4c_i32_i8_e32 v131, v138, v3
	;; [unrolled: 1-line block ×4, first 2 shown]
	v_bfe_i32 v127, v132, 0, 8
	v_add3_u32 v126, v96, s22, v126
	s_mov_b32 s22, s23
	v_mad_u64_u32 v[128:129], s[38:39], v131, v127, v[128:129]
	v_cvt_f32_i32_e32 v128, v128
	v_mul_f32_e32 v127, v125, v130
	v_add_u32_e32 v130, 0x4200, v133
	ds_read2_b32 v[130:131], v130 offset1:1
	v_fmac_f32_e32 v89, v127, v128
	v_add_u32_e32 v127, s36, v88
	ds_read2_b32 v[128:129], v127 offset1:1
	s_waitcnt lgkmcnt(1)
	v_ashrrev_i32_e32 v130, s2, v130
	v_lshlrev_b32_e32 v130, 2, v130
	v_and_b32_e32 v130, 0x4040404, v130
	s_waitcnt lgkmcnt(0)
	v_ashrrev_i32_e32 v128, s23, v128
	v_and_b32_e32 v132, 0x3030303, v128
	v_bfe_u32 v128, v128, 24, 2
	v_sub_u16_e32 v134, v132, v130
	v_sub_u16_sdwa v135, v132, v130 dst_sel:BYTE_1 dst_unused:UNUSED_PAD src0_sel:BYTE_1 src1_sel:BYTE_1
	v_sub_u16_sdwa v128, v128, v130 dst_sel:BYTE_1 dst_unused:UNUSED_PAD src0_sel:DWORD src1_sel:BYTE_3
	v_sub_u16_sdwa v130, v132, v130 dst_sel:DWORD dst_unused:UNUSED_PAD src0_sel:WORD_1 src1_sel:WORD_1
	v_or_b32_sdwa v134, v134, v135 dst_sel:DWORD dst_unused:UNUSED_PAD src0_sel:BYTE_0 src1_sel:DWORD
	v_or_b32_sdwa v128, v130, v128 dst_sel:WORD_1 dst_unused:UNUSED_PAD src0_sel:BYTE_0 src1_sel:DWORD
	v_ashrrev_i32_e32 v130, s2, v131
	v_or_b32_sdwa v132, v134, v128 dst_sel:DWORD dst_unused:UNUSED_PAD src0_sel:WORD_0 src1_sel:DWORD
	v_ashrrev_i32_e32 v128, s23, v129
	v_lshlrev_b32_e32 v130, 2, v130
	v_and_b32_e32 v129, 0x3030303, v128
	v_bfe_u32 v128, v128, 24, 2
	v_and_b32_e32 v130, 0x4040404, v130
	v_sub_u16_e32 v131, v129, v130
	v_sub_u16_sdwa v134, v129, v130 dst_sel:BYTE_1 dst_unused:UNUSED_PAD src0_sel:BYTE_1 src1_sel:BYTE_1
	v_sub_u16_sdwa v128, v128, v130 dst_sel:BYTE_1 dst_unused:UNUSED_PAD src0_sel:DWORD src1_sel:BYTE_3
	v_sub_u16_sdwa v129, v129, v130 dst_sel:DWORD dst_unused:UNUSED_PAD src0_sel:WORD_1 src1_sel:WORD_1
	v_or_b32_sdwa v131, v131, v134 dst_sel:DWORD dst_unused:UNUSED_PAD src0_sel:BYTE_0 src1_sel:DWORD
	v_or_b32_sdwa v128, v129, v128 dst_sel:WORD_1 dst_unused:UNUSED_PAD src0_sel:BYTE_0 src1_sel:DWORD
	v_add_u32_e32 v130, 0x4208, v133
	v_or_b32_sdwa v134, v131, v128 dst_sel:DWORD dst_unused:UNUSED_PAD src0_sel:WORD_0 src1_sel:DWORD
	ds_read2_b32 v[128:129], v127 offset0:2 offset1:3
	ds_read2_b32 v[130:131], v130 offset1:1
	s_waitcnt lgkmcnt(1)
	v_ashrrev_i32_e32 v128, s23, v128
	s_waitcnt lgkmcnt(0)
	v_ashrrev_i32_e32 v130, s2, v130
	v_lshlrev_b32_e32 v130, 2, v130
	v_and_b32_e32 v135, 0x3030303, v128
	v_bfe_u32 v128, v128, 24, 2
	v_and_b32_e32 v130, 0x4040404, v130
	v_sub_u16_e32 v136, v135, v130
	v_sub_u16_sdwa v137, v135, v130 dst_sel:BYTE_1 dst_unused:UNUSED_PAD src0_sel:BYTE_1 src1_sel:BYTE_1
	v_sub_u16_sdwa v128, v128, v130 dst_sel:BYTE_1 dst_unused:UNUSED_PAD src0_sel:DWORD src1_sel:BYTE_3
	v_sub_u16_sdwa v130, v135, v130 dst_sel:DWORD dst_unused:UNUSED_PAD src0_sel:WORD_1 src1_sel:WORD_1
	v_or_b32_sdwa v136, v136, v137 dst_sel:DWORD dst_unused:UNUSED_PAD src0_sel:BYTE_0 src1_sel:DWORD
	v_or_b32_sdwa v128, v130, v128 dst_sel:WORD_1 dst_unused:UNUSED_PAD src0_sel:BYTE_0 src1_sel:DWORD
	v_ashrrev_i32_e32 v130, s2, v131
	v_or_b32_sdwa v135, v136, v128 dst_sel:DWORD dst_unused:UNUSED_PAD src0_sel:WORD_0 src1_sel:DWORD
	v_ashrrev_i32_e32 v128, s23, v129
	v_lshlrev_b32_e32 v130, 2, v130
	v_and_b32_e32 v129, 0x3030303, v128
	v_bfe_u32 v128, v128, 24, 2
	v_and_b32_e32 v130, 0x4040404, v130
	v_sub_u16_e32 v131, v129, v130
	v_sub_u16_sdwa v136, v129, v130 dst_sel:BYTE_1 dst_unused:UNUSED_PAD src0_sel:BYTE_1 src1_sel:BYTE_1
	v_sub_u16_sdwa v128, v128, v130 dst_sel:BYTE_1 dst_unused:UNUSED_PAD src0_sel:DWORD src1_sel:BYTE_3
	v_sub_u16_sdwa v129, v129, v130 dst_sel:DWORD dst_unused:UNUSED_PAD src0_sel:WORD_1 src1_sel:WORD_1
	v_or_b32_sdwa v131, v131, v136 dst_sel:DWORD dst_unused:UNUSED_PAD src0_sel:BYTE_0 src1_sel:DWORD
	v_or_b32_sdwa v128, v129, v128 dst_sel:WORD_1 dst_unused:UNUSED_PAD src0_sel:BYTE_0 src1_sel:DWORD
	v_add_u32_e32 v130, 0x4210, v133
	v_or_b32_sdwa v136, v131, v128 dst_sel:DWORD dst_unused:UNUSED_PAD src0_sel:WORD_0 src1_sel:DWORD
	ds_read2_b32 v[128:129], v127 offset0:4 offset1:5
	ds_read2_b32 v[130:131], v130 offset1:1
	s_waitcnt lgkmcnt(1)
	v_ashrrev_i32_e32 v128, s23, v128
	s_waitcnt lgkmcnt(0)
	v_ashrrev_i32_e32 v130, s2, v130
	v_lshlrev_b32_e32 v130, 2, v130
	v_and_b32_e32 v137, 0x3030303, v128
	v_bfe_u32 v128, v128, 24, 2
	v_and_b32_e32 v130, 0x4040404, v130
	v_sub_u16_e32 v138, v137, v130
	v_sub_u16_sdwa v139, v137, v130 dst_sel:BYTE_1 dst_unused:UNUSED_PAD src0_sel:BYTE_1 src1_sel:BYTE_1
	v_sub_u16_sdwa v128, v128, v130 dst_sel:BYTE_1 dst_unused:UNUSED_PAD src0_sel:DWORD src1_sel:BYTE_3
	v_sub_u16_sdwa v130, v137, v130 dst_sel:DWORD dst_unused:UNUSED_PAD src0_sel:WORD_1 src1_sel:WORD_1
	v_or_b32_sdwa v138, v138, v139 dst_sel:DWORD dst_unused:UNUSED_PAD src0_sel:BYTE_0 src1_sel:DWORD
	v_or_b32_sdwa v128, v130, v128 dst_sel:WORD_1 dst_unused:UNUSED_PAD src0_sel:BYTE_0 src1_sel:DWORD
	v_ashrrev_i32_e32 v130, s2, v131
	v_or_b32_sdwa v137, v138, v128 dst_sel:DWORD dst_unused:UNUSED_PAD src0_sel:WORD_0 src1_sel:DWORD
	v_ashrrev_i32_e32 v128, s23, v129
	v_lshlrev_b32_e32 v130, 2, v130
	v_and_b32_e32 v129, 0x3030303, v128
	v_bfe_u32 v128, v128, 24, 2
	v_and_b32_e32 v130, 0x4040404, v130
	v_sub_u16_e32 v131, v129, v130
	v_sub_u16_sdwa v138, v129, v130 dst_sel:BYTE_1 dst_unused:UNUSED_PAD src0_sel:BYTE_1 src1_sel:BYTE_1
	v_sub_u16_sdwa v128, v128, v130 dst_sel:BYTE_1 dst_unused:UNUSED_PAD src0_sel:DWORD src1_sel:BYTE_3
	v_sub_u16_sdwa v129, v129, v130 dst_sel:DWORD dst_unused:UNUSED_PAD src0_sel:WORD_1 src1_sel:WORD_1
	v_or_b32_sdwa v131, v131, v138 dst_sel:DWORD dst_unused:UNUSED_PAD src0_sel:BYTE_0 src1_sel:DWORD
	v_or_b32_sdwa v128, v129, v128 dst_sel:WORD_1 dst_unused:UNUSED_PAD src0_sel:BYTE_0 src1_sel:DWORD
	v_add_u32_e32 v130, 0x4218, v133
	v_or_b32_sdwa v138, v131, v128 dst_sel:DWORD dst_unused:UNUSED_PAD src0_sel:WORD_0 src1_sel:DWORD
	ds_read2_b32 v[128:129], v127 offset0:6 offset1:7
	ds_read2_b32 v[130:131], v130 offset1:1
	s_waitcnt lgkmcnt(1)
	v_ashrrev_i32_e32 v127, s23, v128
	s_waitcnt lgkmcnt(0)
	v_ashrrev_i32_e32 v130, s2, v130
	v_lshlrev_b32_e32 v130, 2, v130
	v_and_b32_e32 v128, 0x3030303, v127
	v_bfe_u32 v127, v127, 24, 2
	v_and_b32_e32 v130, 0x4040404, v130
	v_sub_u16_e32 v133, v128, v130
	v_sub_u16_sdwa v139, v128, v130 dst_sel:BYTE_1 dst_unused:UNUSED_PAD src0_sel:BYTE_1 src1_sel:BYTE_1
	v_sub_u16_sdwa v127, v127, v130 dst_sel:BYTE_1 dst_unused:UNUSED_PAD src0_sel:DWORD src1_sel:BYTE_3
	v_sub_u16_sdwa v128, v128, v130 dst_sel:DWORD dst_unused:UNUSED_PAD src0_sel:WORD_1 src1_sel:WORD_1
	v_ashrrev_i32_e32 v130, s2, v131
	v_or_b32_sdwa v127, v128, v127 dst_sel:WORD_1 dst_unused:UNUSED_PAD src0_sel:BYTE_0 src1_sel:DWORD
	v_ashrrev_i32_e32 v128, s23, v129
	v_lshlrev_b32_e32 v130, 2, v130
	v_or_b32_sdwa v133, v133, v139 dst_sel:DWORD dst_unused:UNUSED_PAD src0_sel:BYTE_0 src1_sel:DWORD
	v_and_b32_e32 v129, 0x3030303, v128
	v_bfe_u32 v128, v128, 24, 2
	v_and_b32_e32 v130, 0x4040404, v130
	v_or_b32_sdwa v127, v133, v127 dst_sel:DWORD dst_unused:UNUSED_PAD src0_sel:WORD_0 src1_sel:DWORD
	v_sub_u16_e32 v131, v129, v130
	v_sub_u16_sdwa v133, v129, v130 dst_sel:BYTE_1 dst_unused:UNUSED_PAD src0_sel:BYTE_1 src1_sel:BYTE_1
	v_sub_u16_sdwa v128, v128, v130 dst_sel:BYTE_1 dst_unused:UNUSED_PAD src0_sel:DWORD src1_sel:BYTE_3
	v_sub_u16_sdwa v129, v129, v130 dst_sel:DWORD dst_unused:UNUSED_PAD src0_sel:WORD_1 src1_sel:WORD_1
	v_or_b32_sdwa v128, v129, v128 dst_sel:WORD_1 dst_unused:UNUSED_PAD src0_sel:BYTE_0 src1_sel:DWORD
	v_add_u32_e32 v129, s37, v90
	v_mov_b32_e32 v130, 0
	ds_read_b32 v129, v129
	v_dot4c_i32_i8_e32 v130, v132, v6
	ds_read_u16 v6, v126 offset:28418
	v_dot4c_i32_i8_e32 v130, v134, v7
	v_dot4c_i32_i8_e32 v130, v135, v8
	v_mov_b32_e32 v8, 0
	v_dot4c_i32_i8_e32 v8, v137, v2
	v_or_b32_sdwa v131, v131, v133 dst_sel:DWORD dst_unused:UNUSED_PAD src0_sel:BYTE_0 src1_sel:DWORD
	v_dot4c_i32_i8_e32 v8, v138, v3
	v_or_b32_sdwa v128, v131, v128 dst_sel:DWORD dst_unused:UNUSED_PAD src0_sel:WORD_0 src1_sel:DWORD
	v_dot4c_i32_i8_e32 v130, v136, v9
	s_waitcnt lgkmcnt(0)
	v_lshrrev_b16_e32 v7, 8, v6
	v_bfe_i32 v6, v6, 0, 8
	v_dot4c_i32_i8_e32 v8, v127, v4
	v_mul_lo_u32 v6, v130, v6
	v_dot4c_i32_i8_e32 v8, v128, v5
	v_bfe_i32 v2, v7, 0, 8
	s_add_i32 s2, s2, 1
	s_cmp_lt_u32 s23, 6
	v_mad_u64_u32 v[2:3], s[36:37], v8, v2, v[6:7]
	v_cvt_f32_i32_e32 v2, v2
	v_mul_f32_e32 v3, v125, v129
	v_fmac_f32_e32 v11, v3, v2
	s_cbranch_scc1 .LBB229_12
; %bb.13:                               ;   in Loop: Header=BB229_5 Depth=1
	s_or_b32 s2, s34, 0x80
	s_cmp_ge_i32 s2, s15
	s_barrier
	s_cbranch_scc1 .LBB229_4
; %bb.14:                               ;   in Loop: Header=BB229_5 Depth=1
	v_add_u32_e32 v2, s33, v91
	v_cmp_gt_i32_e64 s[2:3], s5, v2
	s_and_b64 s[22:23], s[0:1], s[2:3]
	s_and_saveexec_b64 s[2:3], s[22:23]
	s_cbranch_execz .LBB229_16
; %bb.15:                               ;   in Loop: Header=BB229_5 Depth=1
	v_add_u32_e32 v2, v84, v2
	v_mad_i64_i32 v[2:3], s[22:23], v2, 36, v[82:83]
	global_load_dword v2, v[2:3], off offset:4
	s_waitcnt vmcnt(0)
	ds_write_b32 v59, v2
.LBB229_16:                             ;   in Loop: Header=BB229_5 Depth=1
	s_or_b64 exec, exec, s[2:3]
	s_and_saveexec_b64 s[22:23], vcc
	s_cbranch_execz .LBB229_19
; %bb.17:                               ;   in Loop: Header=BB229_5 Depth=1
	v_or_b32_e32 v2, s33, v15
	v_or_b32_e32 v3, 4, v2
	v_cmp_gt_i32_e64 s[2:3], s5, v3
	s_and_b64 s[2:3], s[0:1], s[2:3]
	s_and_b64 exec, exec, s[2:3]
	s_cbranch_execz .LBB229_19
; %bb.18:                               ;   in Loop: Header=BB229_5 Depth=1
	v_ashrrev_i32_e32 v3, 31, v2
	v_lshl_add_u64 v[2:3], v[84:85], 0, v[2:3]
	v_mad_u64_u32 v[4:5], s[2:3], v2, 36, s[8:9]
	v_mad_i32_i24 v5, v3, 36, v5
	global_load_dword v2, v[4:5], off
	s_waitcnt vmcnt(0)
	v_cvt_f32_f16_e32 v2, v2
	ds_write_b32 v61, v2
.LBB229_19:                             ;   in Loop: Header=BB229_5 Depth=1
	s_or_b64 exec, exec, s[22:23]
	s_mov_b32 s2, 8
	s_mov_b32 s3, 0
	;; [unrolled: 1-line block ×3, first 2 shown]
	v_mov_b32_e32 v123, v100
	v_mov_b32_e32 v124, v101
	s_waitcnt lgkmcnt(0)
	s_barrier
.LBB229_20:                             ;   Parent Loop BB229_5 Depth=1
                                        ; =>  This Inner Loop Header: Depth=2
	s_add_i32 s23, s3, 8
	s_lshr_b32 s38, s23, 4
	s_and_b32 s37, s23, 0x3ffffff8
	s_lshl_b32 s36, s38, 3
	s_lshl_b32 s37, s37, 2
	v_add_lshl_u32 v132, v65, s36, 2
	v_add_u32_e32 v130, s37, v67
	v_add_u32_e32 v128, 0x4200, v132
	ds_read_b32 v125, v124
	ds_read_b128 v[6:9], v123
	ds_read_b128 v[2:5], v123 offset:16
	ds_read2_b32 v[126:127], v130 offset1:1
	ds_read2_b32 v[128:129], v128 offset1:1
	s_and_b32 s35, s2, -16
	s_lshl_b32 s38, s38, 2
	s_add_i32 s2, s2, 2
	s_waitcnt lgkmcnt(1)
	v_ashrrev_i32_e32 v126, s3, v126
	s_waitcnt lgkmcnt(0)
	v_ashrrev_i32_e32 v128, s22, v128
	v_lshlrev_b32_e32 v128, 2, v128
	v_and_b32_e32 v131, 0x3030303, v126
	v_bfe_u32 v126, v126, 24, 2
	v_and_b32_e32 v128, 0x4040404, v128
	v_sub_u16_e32 v133, v131, v128
	v_sub_u16_sdwa v134, v131, v128 dst_sel:BYTE_1 dst_unused:UNUSED_PAD src0_sel:BYTE_1 src1_sel:BYTE_1
	v_sub_u16_sdwa v126, v126, v128 dst_sel:BYTE_1 dst_unused:UNUSED_PAD src0_sel:DWORD src1_sel:BYTE_3
	v_sub_u16_sdwa v128, v131, v128 dst_sel:DWORD dst_unused:UNUSED_PAD src0_sel:WORD_1 src1_sel:WORD_1
	v_or_b32_sdwa v133, v133, v134 dst_sel:DWORD dst_unused:UNUSED_PAD src0_sel:BYTE_0 src1_sel:DWORD
	v_or_b32_sdwa v126, v128, v126 dst_sel:WORD_1 dst_unused:UNUSED_PAD src0_sel:BYTE_0 src1_sel:DWORD
	v_ashrrev_i32_e32 v128, s22, v129
	v_or_b32_sdwa v131, v133, v126 dst_sel:DWORD dst_unused:UNUSED_PAD src0_sel:WORD_0 src1_sel:DWORD
	v_ashrrev_i32_e32 v126, s3, v127
	v_lshlrev_b32_e32 v128, 2, v128
	v_and_b32_e32 v127, 0x3030303, v126
	v_bfe_u32 v126, v126, 24, 2
	v_and_b32_e32 v128, 0x4040404, v128
	v_sub_u16_e32 v129, v127, v128
	v_sub_u16_sdwa v133, v127, v128 dst_sel:BYTE_1 dst_unused:UNUSED_PAD src0_sel:BYTE_1 src1_sel:BYTE_1
	v_sub_u16_sdwa v126, v126, v128 dst_sel:BYTE_1 dst_unused:UNUSED_PAD src0_sel:DWORD src1_sel:BYTE_3
	v_sub_u16_sdwa v127, v127, v128 dst_sel:DWORD dst_unused:UNUSED_PAD src0_sel:WORD_1 src1_sel:WORD_1
	v_or_b32_sdwa v129, v129, v133 dst_sel:DWORD dst_unused:UNUSED_PAD src0_sel:BYTE_0 src1_sel:DWORD
	v_or_b32_sdwa v126, v127, v126 dst_sel:WORD_1 dst_unused:UNUSED_PAD src0_sel:BYTE_0 src1_sel:DWORD
	v_add_u32_e32 v128, 0x4208, v132
	v_or_b32_sdwa v133, v129, v126 dst_sel:DWORD dst_unused:UNUSED_PAD src0_sel:WORD_0 src1_sel:DWORD
	ds_read2_b32 v[126:127], v130 offset0:2 offset1:3
	ds_read2_b32 v[128:129], v128 offset1:1
	v_add_u32_e32 v124, 4, v124
	v_add_u32_e32 v123, 32, v123
	s_waitcnt lgkmcnt(1)
	v_ashrrev_i32_e32 v126, s3, v126
	s_waitcnt lgkmcnt(0)
	v_ashrrev_i32_e32 v128, s22, v128
	v_lshlrev_b32_e32 v128, 2, v128
	v_and_b32_e32 v134, 0x3030303, v126
	v_bfe_u32 v126, v126, 24, 2
	v_and_b32_e32 v128, 0x4040404, v128
	v_sub_u16_e32 v135, v134, v128
	v_sub_u16_sdwa v136, v134, v128 dst_sel:BYTE_1 dst_unused:UNUSED_PAD src0_sel:BYTE_1 src1_sel:BYTE_1
	v_sub_u16_sdwa v126, v126, v128 dst_sel:BYTE_1 dst_unused:UNUSED_PAD src0_sel:DWORD src1_sel:BYTE_3
	v_sub_u16_sdwa v128, v134, v128 dst_sel:DWORD dst_unused:UNUSED_PAD src0_sel:WORD_1 src1_sel:WORD_1
	v_or_b32_sdwa v135, v135, v136 dst_sel:DWORD dst_unused:UNUSED_PAD src0_sel:BYTE_0 src1_sel:DWORD
	v_or_b32_sdwa v126, v128, v126 dst_sel:WORD_1 dst_unused:UNUSED_PAD src0_sel:BYTE_0 src1_sel:DWORD
	v_ashrrev_i32_e32 v128, s22, v129
	v_or_b32_sdwa v134, v135, v126 dst_sel:DWORD dst_unused:UNUSED_PAD src0_sel:WORD_0 src1_sel:DWORD
	v_ashrrev_i32_e32 v126, s3, v127
	v_lshlrev_b32_e32 v128, 2, v128
	v_and_b32_e32 v127, 0x3030303, v126
	v_bfe_u32 v126, v126, 24, 2
	v_and_b32_e32 v128, 0x4040404, v128
	v_sub_u16_e32 v129, v127, v128
	v_sub_u16_sdwa v135, v127, v128 dst_sel:BYTE_1 dst_unused:UNUSED_PAD src0_sel:BYTE_1 src1_sel:BYTE_1
	v_sub_u16_sdwa v126, v126, v128 dst_sel:BYTE_1 dst_unused:UNUSED_PAD src0_sel:DWORD src1_sel:BYTE_3
	v_sub_u16_sdwa v127, v127, v128 dst_sel:DWORD dst_unused:UNUSED_PAD src0_sel:WORD_1 src1_sel:WORD_1
	v_or_b32_sdwa v129, v129, v135 dst_sel:DWORD dst_unused:UNUSED_PAD src0_sel:BYTE_0 src1_sel:DWORD
	v_or_b32_sdwa v126, v127, v126 dst_sel:WORD_1 dst_unused:UNUSED_PAD src0_sel:BYTE_0 src1_sel:DWORD
	v_add_u32_e32 v128, 0x4210, v132
	v_or_b32_sdwa v135, v129, v126 dst_sel:DWORD dst_unused:UNUSED_PAD src0_sel:WORD_0 src1_sel:DWORD
	ds_read2_b32 v[126:127], v130 offset0:4 offset1:5
	ds_read2_b32 v[128:129], v128 offset1:1
	s_waitcnt lgkmcnt(1)
	v_ashrrev_i32_e32 v126, s3, v126
	s_waitcnt lgkmcnt(0)
	v_ashrrev_i32_e32 v128, s22, v128
	v_lshlrev_b32_e32 v128, 2, v128
	v_and_b32_e32 v136, 0x3030303, v126
	v_bfe_u32 v126, v126, 24, 2
	v_and_b32_e32 v128, 0x4040404, v128
	v_sub_u16_e32 v137, v136, v128
	v_sub_u16_sdwa v138, v136, v128 dst_sel:BYTE_1 dst_unused:UNUSED_PAD src0_sel:BYTE_1 src1_sel:BYTE_1
	v_sub_u16_sdwa v126, v126, v128 dst_sel:BYTE_1 dst_unused:UNUSED_PAD src0_sel:DWORD src1_sel:BYTE_3
	v_sub_u16_sdwa v128, v136, v128 dst_sel:DWORD dst_unused:UNUSED_PAD src0_sel:WORD_1 src1_sel:WORD_1
	v_or_b32_sdwa v137, v137, v138 dst_sel:DWORD dst_unused:UNUSED_PAD src0_sel:BYTE_0 src1_sel:DWORD
	v_or_b32_sdwa v126, v128, v126 dst_sel:WORD_1 dst_unused:UNUSED_PAD src0_sel:BYTE_0 src1_sel:DWORD
	v_ashrrev_i32_e32 v128, s22, v129
	v_or_b32_sdwa v136, v137, v126 dst_sel:DWORD dst_unused:UNUSED_PAD src0_sel:WORD_0 src1_sel:DWORD
	v_ashrrev_i32_e32 v126, s3, v127
	v_lshlrev_b32_e32 v128, 2, v128
	v_and_b32_e32 v127, 0x3030303, v126
	v_bfe_u32 v126, v126, 24, 2
	v_and_b32_e32 v128, 0x4040404, v128
	v_sub_u16_e32 v129, v127, v128
	v_sub_u16_sdwa v137, v127, v128 dst_sel:BYTE_1 dst_unused:UNUSED_PAD src0_sel:BYTE_1 src1_sel:BYTE_1
	v_sub_u16_sdwa v126, v126, v128 dst_sel:BYTE_1 dst_unused:UNUSED_PAD src0_sel:DWORD src1_sel:BYTE_3
	v_sub_u16_sdwa v127, v127, v128 dst_sel:DWORD dst_unused:UNUSED_PAD src0_sel:WORD_1 src1_sel:WORD_1
	v_or_b32_sdwa v129, v129, v137 dst_sel:DWORD dst_unused:UNUSED_PAD src0_sel:BYTE_0 src1_sel:DWORD
	v_or_b32_sdwa v126, v127, v126 dst_sel:WORD_1 dst_unused:UNUSED_PAD src0_sel:BYTE_0 src1_sel:DWORD
	v_add_u32_e32 v128, 0x4218, v132
	v_or_b32_sdwa v137, v129, v126 dst_sel:DWORD dst_unused:UNUSED_PAD src0_sel:WORD_0 src1_sel:DWORD
	ds_read2_b32 v[126:127], v130 offset0:6 offset1:7
	ds_read2_b32 v[128:129], v128 offset1:1
	s_waitcnt lgkmcnt(1)
	v_ashrrev_i32_e32 v126, s3, v126
	s_waitcnt lgkmcnt(0)
	v_ashrrev_i32_e32 v128, s22, v128
	v_lshlrev_b32_e32 v128, 2, v128
	v_and_b32_e32 v130, 0x3030303, v126
	v_bfe_u32 v126, v126, 24, 2
	v_and_b32_e32 v128, 0x4040404, v128
	v_sub_u16_e32 v132, v130, v128
	v_sub_u16_sdwa v138, v130, v128 dst_sel:BYTE_1 dst_unused:UNUSED_PAD src0_sel:BYTE_1 src1_sel:BYTE_1
	v_sub_u16_sdwa v126, v126, v128 dst_sel:BYTE_1 dst_unused:UNUSED_PAD src0_sel:DWORD src1_sel:BYTE_3
	v_sub_u16_sdwa v128, v130, v128 dst_sel:DWORD dst_unused:UNUSED_PAD src0_sel:WORD_1 src1_sel:WORD_1
	v_or_b32_sdwa v132, v132, v138 dst_sel:DWORD dst_unused:UNUSED_PAD src0_sel:BYTE_0 src1_sel:DWORD
	v_or_b32_sdwa v126, v128, v126 dst_sel:WORD_1 dst_unused:UNUSED_PAD src0_sel:BYTE_0 src1_sel:DWORD
	v_ashrrev_i32_e32 v128, s22, v129
	v_or_b32_sdwa v130, v132, v126 dst_sel:DWORD dst_unused:UNUSED_PAD src0_sel:WORD_0 src1_sel:DWORD
	v_ashrrev_i32_e32 v126, s3, v127
	v_lshlrev_b32_e32 v128, 2, v128
	v_and_b32_e32 v127, 0x3030303, v126
	v_bfe_u32 v126, v126, 24, 2
	v_and_b32_e32 v128, 0x4040404, v128
	v_sub_u16_e32 v129, v127, v128
	v_sub_u16_sdwa v132, v127, v128 dst_sel:BYTE_1 dst_unused:UNUSED_PAD src0_sel:BYTE_1 src1_sel:BYTE_1
	v_sub_u16_sdwa v126, v126, v128 dst_sel:BYTE_1 dst_unused:UNUSED_PAD src0_sel:DWORD src1_sel:BYTE_3
	v_sub_u16_sdwa v127, v127, v128 dst_sel:DWORD dst_unused:UNUSED_PAD src0_sel:WORD_1 src1_sel:WORD_1
	v_or_b32_sdwa v129, v129, v132 dst_sel:DWORD dst_unused:UNUSED_PAD src0_sel:BYTE_0 src1_sel:DWORD
	v_or_b32_sdwa v126, v127, v126 dst_sel:WORD_1 dst_unused:UNUSED_PAD src0_sel:BYTE_0 src1_sel:DWORD
	s_nop 0
	v_or_b32_sdwa v127, v129, v126 dst_sel:DWORD dst_unused:UNUSED_PAD src0_sel:WORD_0 src1_sel:DWORD
	v_add_u32_e32 v126, s3, v63
	v_add3_u32 v128, v105, s35, v126
	v_add_u32_e32 v129, s38, v69
	ds_read_b32 v132, v129
	ds_read_u16 v128, v128
	v_mov_b32_e32 v129, 0
	v_dot4c_i32_i8_e32 v129, v131, v6
	v_dot4c_i32_i8_e32 v129, v133, v7
	;; [unrolled: 1-line block ×4, first 2 shown]
	s_waitcnt lgkmcnt(0)
	v_lshrrev_b16_e32 v131, 8, v128
	v_bfe_i32 v128, v128, 0, 8
	v_add_lshl_u32 v133, v71, s36, 2
	v_mul_lo_u32 v128, v129, v128
	v_mov_b32_e32 v129, 0
	v_dot4c_i32_i8_e32 v129, v136, v2
	v_dot4c_i32_i8_e32 v129, v137, v3
	;; [unrolled: 1-line block ×4, first 2 shown]
	v_bfe_i32 v127, v131, 0, 8
	v_add_u32_e32 v130, 0x4200, v133
	ds_read2_b32 v[130:131], v130 offset1:1
	v_mad_u64_u32 v[128:129], s[40:41], v129, v127, v[128:129]
	v_cvt_f32_i32_e32 v128, v128
	v_mul_f32_e32 v127, v125, v132
	s_waitcnt lgkmcnt(0)
	v_ashrrev_i32_e32 v130, s22, v130
	v_lshlrev_b32_e32 v130, 2, v130
	v_fmac_f32_e32 v95, v127, v128
	v_add_u32_e32 v127, s37, v75
	ds_read2_b32 v[128:129], v127 offset1:1
	v_and_b32_e32 v130, 0x4040404, v130
	s_waitcnt lgkmcnt(0)
	v_ashrrev_i32_e32 v128, s3, v128
	v_and_b32_e32 v132, 0x3030303, v128
	v_bfe_u32 v128, v128, 24, 2
	v_sub_u16_e32 v134, v132, v130
	v_sub_u16_sdwa v135, v132, v130 dst_sel:BYTE_1 dst_unused:UNUSED_PAD src0_sel:BYTE_1 src1_sel:BYTE_1
	v_sub_u16_sdwa v128, v128, v130 dst_sel:BYTE_1 dst_unused:UNUSED_PAD src0_sel:DWORD src1_sel:BYTE_3
	v_sub_u16_sdwa v130, v132, v130 dst_sel:DWORD dst_unused:UNUSED_PAD src0_sel:WORD_1 src1_sel:WORD_1
	v_or_b32_sdwa v134, v134, v135 dst_sel:DWORD dst_unused:UNUSED_PAD src0_sel:BYTE_0 src1_sel:DWORD
	v_or_b32_sdwa v128, v130, v128 dst_sel:WORD_1 dst_unused:UNUSED_PAD src0_sel:BYTE_0 src1_sel:DWORD
	v_ashrrev_i32_e32 v130, s22, v131
	v_or_b32_sdwa v132, v134, v128 dst_sel:DWORD dst_unused:UNUSED_PAD src0_sel:WORD_0 src1_sel:DWORD
	v_ashrrev_i32_e32 v128, s3, v129
	v_lshlrev_b32_e32 v130, 2, v130
	v_and_b32_e32 v129, 0x3030303, v128
	v_bfe_u32 v128, v128, 24, 2
	v_and_b32_e32 v130, 0x4040404, v130
	v_sub_u16_e32 v131, v129, v130
	v_sub_u16_sdwa v134, v129, v130 dst_sel:BYTE_1 dst_unused:UNUSED_PAD src0_sel:BYTE_1 src1_sel:BYTE_1
	v_sub_u16_sdwa v128, v128, v130 dst_sel:BYTE_1 dst_unused:UNUSED_PAD src0_sel:DWORD src1_sel:BYTE_3
	v_sub_u16_sdwa v129, v129, v130 dst_sel:DWORD dst_unused:UNUSED_PAD src0_sel:WORD_1 src1_sel:WORD_1
	v_or_b32_sdwa v131, v131, v134 dst_sel:DWORD dst_unused:UNUSED_PAD src0_sel:BYTE_0 src1_sel:DWORD
	v_or_b32_sdwa v128, v129, v128 dst_sel:WORD_1 dst_unused:UNUSED_PAD src0_sel:BYTE_0 src1_sel:DWORD
	v_add_u32_e32 v130, 0x4208, v133
	v_or_b32_sdwa v134, v131, v128 dst_sel:DWORD dst_unused:UNUSED_PAD src0_sel:WORD_0 src1_sel:DWORD
	ds_read2_b32 v[128:129], v127 offset0:2 offset1:3
	ds_read2_b32 v[130:131], v130 offset1:1
	s_waitcnt lgkmcnt(1)
	v_ashrrev_i32_e32 v128, s3, v128
	s_waitcnt lgkmcnt(0)
	v_ashrrev_i32_e32 v130, s22, v130
	v_lshlrev_b32_e32 v130, 2, v130
	v_and_b32_e32 v135, 0x3030303, v128
	v_bfe_u32 v128, v128, 24, 2
	v_and_b32_e32 v130, 0x4040404, v130
	v_sub_u16_e32 v136, v135, v130
	v_sub_u16_sdwa v137, v135, v130 dst_sel:BYTE_1 dst_unused:UNUSED_PAD src0_sel:BYTE_1 src1_sel:BYTE_1
	v_sub_u16_sdwa v128, v128, v130 dst_sel:BYTE_1 dst_unused:UNUSED_PAD src0_sel:DWORD src1_sel:BYTE_3
	v_sub_u16_sdwa v130, v135, v130 dst_sel:DWORD dst_unused:UNUSED_PAD src0_sel:WORD_1 src1_sel:WORD_1
	v_or_b32_sdwa v136, v136, v137 dst_sel:DWORD dst_unused:UNUSED_PAD src0_sel:BYTE_0 src1_sel:DWORD
	v_or_b32_sdwa v128, v130, v128 dst_sel:WORD_1 dst_unused:UNUSED_PAD src0_sel:BYTE_0 src1_sel:DWORD
	v_ashrrev_i32_e32 v130, s22, v131
	v_or_b32_sdwa v135, v136, v128 dst_sel:DWORD dst_unused:UNUSED_PAD src0_sel:WORD_0 src1_sel:DWORD
	v_ashrrev_i32_e32 v128, s3, v129
	v_lshlrev_b32_e32 v130, 2, v130
	v_and_b32_e32 v129, 0x3030303, v128
	v_bfe_u32 v128, v128, 24, 2
	v_and_b32_e32 v130, 0x4040404, v130
	v_sub_u16_e32 v131, v129, v130
	v_sub_u16_sdwa v136, v129, v130 dst_sel:BYTE_1 dst_unused:UNUSED_PAD src0_sel:BYTE_1 src1_sel:BYTE_1
	v_sub_u16_sdwa v128, v128, v130 dst_sel:BYTE_1 dst_unused:UNUSED_PAD src0_sel:DWORD src1_sel:BYTE_3
	v_sub_u16_sdwa v129, v129, v130 dst_sel:DWORD dst_unused:UNUSED_PAD src0_sel:WORD_1 src1_sel:WORD_1
	v_or_b32_sdwa v131, v131, v136 dst_sel:DWORD dst_unused:UNUSED_PAD src0_sel:BYTE_0 src1_sel:DWORD
	v_or_b32_sdwa v128, v129, v128 dst_sel:WORD_1 dst_unused:UNUSED_PAD src0_sel:BYTE_0 src1_sel:DWORD
	v_add_u32_e32 v130, 0x4210, v133
	v_or_b32_sdwa v136, v131, v128 dst_sel:DWORD dst_unused:UNUSED_PAD src0_sel:WORD_0 src1_sel:DWORD
	ds_read2_b32 v[128:129], v127 offset0:4 offset1:5
	ds_read2_b32 v[130:131], v130 offset1:1
	s_waitcnt lgkmcnt(1)
	v_ashrrev_i32_e32 v128, s3, v128
	s_waitcnt lgkmcnt(0)
	v_ashrrev_i32_e32 v130, s22, v130
	v_lshlrev_b32_e32 v130, 2, v130
	v_and_b32_e32 v137, 0x3030303, v128
	v_bfe_u32 v128, v128, 24, 2
	v_and_b32_e32 v130, 0x4040404, v130
	;; [unrolled: 31-line block ×3, first 2 shown]
	v_sub_u16_e32 v133, v128, v130
	v_sub_u16_sdwa v139, v128, v130 dst_sel:BYTE_1 dst_unused:UNUSED_PAD src0_sel:BYTE_1 src1_sel:BYTE_1
	v_sub_u16_sdwa v127, v127, v130 dst_sel:BYTE_1 dst_unused:UNUSED_PAD src0_sel:DWORD src1_sel:BYTE_3
	v_sub_u16_sdwa v128, v128, v130 dst_sel:DWORD dst_unused:UNUSED_PAD src0_sel:WORD_1 src1_sel:WORD_1
	v_ashrrev_i32_e32 v130, s22, v131
	v_or_b32_sdwa v127, v128, v127 dst_sel:WORD_1 dst_unused:UNUSED_PAD src0_sel:BYTE_0 src1_sel:DWORD
	v_ashrrev_i32_e32 v128, s3, v129
	v_lshlrev_b32_e32 v130, 2, v130
	v_or_b32_sdwa v133, v133, v139 dst_sel:DWORD dst_unused:UNUSED_PAD src0_sel:BYTE_0 src1_sel:DWORD
	v_and_b32_e32 v129, 0x3030303, v128
	v_bfe_u32 v128, v128, 24, 2
	v_and_b32_e32 v130, 0x4040404, v130
	v_or_b32_sdwa v127, v133, v127 dst_sel:DWORD dst_unused:UNUSED_PAD src0_sel:WORD_0 src1_sel:DWORD
	v_sub_u16_e32 v131, v129, v130
	v_sub_u16_sdwa v133, v129, v130 dst_sel:BYTE_1 dst_unused:UNUSED_PAD src0_sel:BYTE_1 src1_sel:BYTE_1
	v_sub_u16_sdwa v128, v128, v130 dst_sel:BYTE_1 dst_unused:UNUSED_PAD src0_sel:DWORD src1_sel:BYTE_3
	v_sub_u16_sdwa v129, v129, v130 dst_sel:DWORD dst_unused:UNUSED_PAD src0_sel:WORD_1 src1_sel:WORD_1
	v_or_b32_sdwa v131, v131, v133 dst_sel:DWORD dst_unused:UNUSED_PAD src0_sel:BYTE_0 src1_sel:DWORD
	v_or_b32_sdwa v128, v129, v128 dst_sel:WORD_1 dst_unused:UNUSED_PAD src0_sel:BYTE_0 src1_sel:DWORD
	v_add_u32_e32 v130, s38, v77
	v_or_b32_sdwa v129, v131, v128 dst_sel:DWORD dst_unused:UNUSED_PAD src0_sel:WORD_0 src1_sel:DWORD
	v_add3_u32 v128, v104, s35, v126
	ds_read_b32 v130, v130
	ds_read_u16 v128, v128
	v_mov_b32_e32 v131, 0
	v_dot4c_i32_i8_e32 v131, v132, v6
	v_dot4c_i32_i8_e32 v131, v134, v7
	;; [unrolled: 1-line block ×4, first 2 shown]
	s_waitcnt lgkmcnt(0)
	v_lshrrev_b16_e32 v132, 8, v128
	v_bfe_i32 v128, v128, 0, 8
	v_add_lshl_u32 v133, v79, s36, 2
	v_mul_lo_u32 v128, v131, v128
	v_mov_b32_e32 v131, 0
	v_dot4c_i32_i8_e32 v131, v137, v2
	v_dot4c_i32_i8_e32 v131, v138, v3
	;; [unrolled: 1-line block ×4, first 2 shown]
	v_bfe_i32 v127, v132, 0, 8
                                        ; kill: def $vgpr129 killed $sgpr0 killed $exec
	s_nop 1
	v_mad_u64_u32 v[128:129], s[40:41], v131, v127, v[128:129]
	v_cvt_f32_i32_e32 v128, v128
	v_mul_f32_e32 v127, v125, v130
	v_add_u32_e32 v130, 0x4200, v133
	ds_read2_b32 v[130:131], v130 offset1:1
	v_fmac_f32_e32 v94, v127, v128
	v_add_u32_e32 v127, s37, v81
	ds_read2_b32 v[128:129], v127 offset1:1
	s_waitcnt lgkmcnt(1)
	v_ashrrev_i32_e32 v130, s22, v130
	v_lshlrev_b32_e32 v130, 2, v130
	v_and_b32_e32 v130, 0x4040404, v130
	s_waitcnt lgkmcnt(0)
	v_ashrrev_i32_e32 v128, s3, v128
	v_and_b32_e32 v132, 0x3030303, v128
	v_bfe_u32 v128, v128, 24, 2
	v_sub_u16_e32 v134, v132, v130
	v_sub_u16_sdwa v135, v132, v130 dst_sel:BYTE_1 dst_unused:UNUSED_PAD src0_sel:BYTE_1 src1_sel:BYTE_1
	v_sub_u16_sdwa v128, v128, v130 dst_sel:BYTE_1 dst_unused:UNUSED_PAD src0_sel:DWORD src1_sel:BYTE_3
	v_sub_u16_sdwa v130, v132, v130 dst_sel:DWORD dst_unused:UNUSED_PAD src0_sel:WORD_1 src1_sel:WORD_1
	v_or_b32_sdwa v134, v134, v135 dst_sel:DWORD dst_unused:UNUSED_PAD src0_sel:BYTE_0 src1_sel:DWORD
	v_or_b32_sdwa v128, v130, v128 dst_sel:WORD_1 dst_unused:UNUSED_PAD src0_sel:BYTE_0 src1_sel:DWORD
	v_ashrrev_i32_e32 v130, s22, v131
	v_or_b32_sdwa v132, v134, v128 dst_sel:DWORD dst_unused:UNUSED_PAD src0_sel:WORD_0 src1_sel:DWORD
	v_ashrrev_i32_e32 v128, s3, v129
	v_lshlrev_b32_e32 v130, 2, v130
	v_and_b32_e32 v129, 0x3030303, v128
	v_bfe_u32 v128, v128, 24, 2
	v_and_b32_e32 v130, 0x4040404, v130
	v_sub_u16_e32 v131, v129, v130
	v_sub_u16_sdwa v134, v129, v130 dst_sel:BYTE_1 dst_unused:UNUSED_PAD src0_sel:BYTE_1 src1_sel:BYTE_1
	v_sub_u16_sdwa v128, v128, v130 dst_sel:BYTE_1 dst_unused:UNUSED_PAD src0_sel:DWORD src1_sel:BYTE_3
	v_sub_u16_sdwa v129, v129, v130 dst_sel:DWORD dst_unused:UNUSED_PAD src0_sel:WORD_1 src1_sel:WORD_1
	v_or_b32_sdwa v131, v131, v134 dst_sel:DWORD dst_unused:UNUSED_PAD src0_sel:BYTE_0 src1_sel:DWORD
	v_or_b32_sdwa v128, v129, v128 dst_sel:WORD_1 dst_unused:UNUSED_PAD src0_sel:BYTE_0 src1_sel:DWORD
	v_add_u32_e32 v130, 0x4208, v133
	v_or_b32_sdwa v134, v131, v128 dst_sel:DWORD dst_unused:UNUSED_PAD src0_sel:WORD_0 src1_sel:DWORD
	ds_read2_b32 v[128:129], v127 offset0:2 offset1:3
	ds_read2_b32 v[130:131], v130 offset1:1
	s_waitcnt lgkmcnt(1)
	v_ashrrev_i32_e32 v128, s3, v128
	s_waitcnt lgkmcnt(0)
	v_ashrrev_i32_e32 v130, s22, v130
	v_lshlrev_b32_e32 v130, 2, v130
	v_and_b32_e32 v135, 0x3030303, v128
	v_bfe_u32 v128, v128, 24, 2
	v_and_b32_e32 v130, 0x4040404, v130
	v_sub_u16_e32 v136, v135, v130
	v_sub_u16_sdwa v137, v135, v130 dst_sel:BYTE_1 dst_unused:UNUSED_PAD src0_sel:BYTE_1 src1_sel:BYTE_1
	v_sub_u16_sdwa v128, v128, v130 dst_sel:BYTE_1 dst_unused:UNUSED_PAD src0_sel:DWORD src1_sel:BYTE_3
	v_sub_u16_sdwa v130, v135, v130 dst_sel:DWORD dst_unused:UNUSED_PAD src0_sel:WORD_1 src1_sel:WORD_1
	v_or_b32_sdwa v136, v136, v137 dst_sel:DWORD dst_unused:UNUSED_PAD src0_sel:BYTE_0 src1_sel:DWORD
	v_or_b32_sdwa v128, v130, v128 dst_sel:WORD_1 dst_unused:UNUSED_PAD src0_sel:BYTE_0 src1_sel:DWORD
	v_ashrrev_i32_e32 v130, s22, v131
	v_or_b32_sdwa v135, v136, v128 dst_sel:DWORD dst_unused:UNUSED_PAD src0_sel:WORD_0 src1_sel:DWORD
	v_ashrrev_i32_e32 v128, s3, v129
	v_lshlrev_b32_e32 v130, 2, v130
	v_and_b32_e32 v129, 0x3030303, v128
	v_bfe_u32 v128, v128, 24, 2
	v_and_b32_e32 v130, 0x4040404, v130
	v_sub_u16_e32 v131, v129, v130
	v_sub_u16_sdwa v136, v129, v130 dst_sel:BYTE_1 dst_unused:UNUSED_PAD src0_sel:BYTE_1 src1_sel:BYTE_1
	v_sub_u16_sdwa v128, v128, v130 dst_sel:BYTE_1 dst_unused:UNUSED_PAD src0_sel:DWORD src1_sel:BYTE_3
	v_sub_u16_sdwa v129, v129, v130 dst_sel:DWORD dst_unused:UNUSED_PAD src0_sel:WORD_1 src1_sel:WORD_1
	v_or_b32_sdwa v131, v131, v136 dst_sel:DWORD dst_unused:UNUSED_PAD src0_sel:BYTE_0 src1_sel:DWORD
	v_or_b32_sdwa v128, v129, v128 dst_sel:WORD_1 dst_unused:UNUSED_PAD src0_sel:BYTE_0 src1_sel:DWORD
	v_add_u32_e32 v130, 0x4210, v133
	v_or_b32_sdwa v136, v131, v128 dst_sel:DWORD dst_unused:UNUSED_PAD src0_sel:WORD_0 src1_sel:DWORD
	ds_read2_b32 v[128:129], v127 offset0:4 offset1:5
	ds_read2_b32 v[130:131], v130 offset1:1
	s_waitcnt lgkmcnt(1)
	v_ashrrev_i32_e32 v128, s3, v128
	s_waitcnt lgkmcnt(0)
	v_ashrrev_i32_e32 v130, s22, v130
	v_lshlrev_b32_e32 v130, 2, v130
	v_and_b32_e32 v137, 0x3030303, v128
	v_bfe_u32 v128, v128, 24, 2
	v_and_b32_e32 v130, 0x4040404, v130
	;; [unrolled: 31-line block ×3, first 2 shown]
	v_sub_u16_e32 v133, v128, v130
	v_sub_u16_sdwa v139, v128, v130 dst_sel:BYTE_1 dst_unused:UNUSED_PAD src0_sel:BYTE_1 src1_sel:BYTE_1
	v_sub_u16_sdwa v127, v127, v130 dst_sel:BYTE_1 dst_unused:UNUSED_PAD src0_sel:DWORD src1_sel:BYTE_3
	v_sub_u16_sdwa v128, v128, v130 dst_sel:DWORD dst_unused:UNUSED_PAD src0_sel:WORD_1 src1_sel:WORD_1
	v_ashrrev_i32_e32 v130, s22, v131
	v_or_b32_sdwa v127, v128, v127 dst_sel:WORD_1 dst_unused:UNUSED_PAD src0_sel:BYTE_0 src1_sel:DWORD
	v_ashrrev_i32_e32 v128, s3, v129
	v_lshlrev_b32_e32 v130, 2, v130
	v_or_b32_sdwa v133, v133, v139 dst_sel:DWORD dst_unused:UNUSED_PAD src0_sel:BYTE_0 src1_sel:DWORD
	v_and_b32_e32 v129, 0x3030303, v128
	v_bfe_u32 v128, v128, 24, 2
	v_and_b32_e32 v130, 0x4040404, v130
	v_or_b32_sdwa v127, v133, v127 dst_sel:DWORD dst_unused:UNUSED_PAD src0_sel:WORD_0 src1_sel:DWORD
	v_sub_u16_e32 v131, v129, v130
	v_sub_u16_sdwa v133, v129, v130 dst_sel:BYTE_1 dst_unused:UNUSED_PAD src0_sel:BYTE_1 src1_sel:BYTE_1
	v_sub_u16_sdwa v128, v128, v130 dst_sel:BYTE_1 dst_unused:UNUSED_PAD src0_sel:DWORD src1_sel:BYTE_3
	v_sub_u16_sdwa v129, v129, v130 dst_sel:DWORD dst_unused:UNUSED_PAD src0_sel:WORD_1 src1_sel:WORD_1
	v_or_b32_sdwa v131, v131, v133 dst_sel:DWORD dst_unused:UNUSED_PAD src0_sel:BYTE_0 src1_sel:DWORD
	v_or_b32_sdwa v128, v129, v128 dst_sel:WORD_1 dst_unused:UNUSED_PAD src0_sel:BYTE_0 src1_sel:DWORD
	v_add_u32_e32 v130, s38, v86
	v_or_b32_sdwa v129, v131, v128 dst_sel:DWORD dst_unused:UNUSED_PAD src0_sel:WORD_0 src1_sel:DWORD
	v_add3_u32 v128, v103, s35, v126
	ds_read_b32 v130, v130
	ds_read_u16 v128, v128
	v_mov_b32_e32 v131, 0
	v_dot4c_i32_i8_e32 v131, v132, v6
	v_dot4c_i32_i8_e32 v131, v134, v7
	;; [unrolled: 1-line block ×4, first 2 shown]
	s_waitcnt lgkmcnt(0)
	v_lshrrev_b16_e32 v132, 8, v128
	v_bfe_i32 v128, v128, 0, 8
	v_add_lshl_u32 v133, v87, s36, 2
	v_mul_lo_u32 v128, v131, v128
	v_mov_b32_e32 v131, 0
	v_dot4c_i32_i8_e32 v131, v137, v2
	v_dot4c_i32_i8_e32 v131, v138, v3
	v_dot4c_i32_i8_e32 v131, v127, v4
	v_dot4c_i32_i8_e32 v131, v129, v5
	v_bfe_i32 v127, v132, 0, 8
                                        ; kill: def $vgpr129 killed $sgpr0 killed $exec
	v_add3_u32 v126, v102, s35, v126
	s_nop 0
	v_mad_u64_u32 v[128:129], s[40:41], v131, v127, v[128:129]
	v_cvt_f32_i32_e32 v128, v128
	v_mul_f32_e32 v127, v125, v130
	v_add_u32_e32 v130, 0x4200, v133
	ds_read2_b32 v[130:131], v130 offset1:1
	v_fmac_f32_e32 v89, v127, v128
	v_add_u32_e32 v127, s37, v88
	ds_read2_b32 v[128:129], v127 offset1:1
	s_waitcnt lgkmcnt(1)
	v_ashrrev_i32_e32 v130, s22, v130
	v_lshlrev_b32_e32 v130, 2, v130
	v_and_b32_e32 v130, 0x4040404, v130
	s_waitcnt lgkmcnt(0)
	v_ashrrev_i32_e32 v128, s3, v128
	v_and_b32_e32 v132, 0x3030303, v128
	v_bfe_u32 v128, v128, 24, 2
	v_sub_u16_e32 v134, v132, v130
	v_sub_u16_sdwa v135, v132, v130 dst_sel:BYTE_1 dst_unused:UNUSED_PAD src0_sel:BYTE_1 src1_sel:BYTE_1
	v_sub_u16_sdwa v128, v128, v130 dst_sel:BYTE_1 dst_unused:UNUSED_PAD src0_sel:DWORD src1_sel:BYTE_3
	v_sub_u16_sdwa v130, v132, v130 dst_sel:DWORD dst_unused:UNUSED_PAD src0_sel:WORD_1 src1_sel:WORD_1
	v_or_b32_sdwa v134, v134, v135 dst_sel:DWORD dst_unused:UNUSED_PAD src0_sel:BYTE_0 src1_sel:DWORD
	v_or_b32_sdwa v128, v130, v128 dst_sel:WORD_1 dst_unused:UNUSED_PAD src0_sel:BYTE_0 src1_sel:DWORD
	v_ashrrev_i32_e32 v130, s22, v131
	v_or_b32_sdwa v132, v134, v128 dst_sel:DWORD dst_unused:UNUSED_PAD src0_sel:WORD_0 src1_sel:DWORD
	v_ashrrev_i32_e32 v128, s3, v129
	v_lshlrev_b32_e32 v130, 2, v130
	v_and_b32_e32 v129, 0x3030303, v128
	v_bfe_u32 v128, v128, 24, 2
	v_and_b32_e32 v130, 0x4040404, v130
	v_sub_u16_e32 v131, v129, v130
	v_sub_u16_sdwa v134, v129, v130 dst_sel:BYTE_1 dst_unused:UNUSED_PAD src0_sel:BYTE_1 src1_sel:BYTE_1
	v_sub_u16_sdwa v128, v128, v130 dst_sel:BYTE_1 dst_unused:UNUSED_PAD src0_sel:DWORD src1_sel:BYTE_3
	v_sub_u16_sdwa v129, v129, v130 dst_sel:DWORD dst_unused:UNUSED_PAD src0_sel:WORD_1 src1_sel:WORD_1
	v_or_b32_sdwa v131, v131, v134 dst_sel:DWORD dst_unused:UNUSED_PAD src0_sel:BYTE_0 src1_sel:DWORD
	v_or_b32_sdwa v128, v129, v128 dst_sel:WORD_1 dst_unused:UNUSED_PAD src0_sel:BYTE_0 src1_sel:DWORD
	v_add_u32_e32 v130, 0x4208, v133
	v_or_b32_sdwa v134, v131, v128 dst_sel:DWORD dst_unused:UNUSED_PAD src0_sel:WORD_0 src1_sel:DWORD
	ds_read2_b32 v[128:129], v127 offset0:2 offset1:3
	ds_read2_b32 v[130:131], v130 offset1:1
	s_waitcnt lgkmcnt(1)
	v_ashrrev_i32_e32 v128, s3, v128
	s_waitcnt lgkmcnt(0)
	v_ashrrev_i32_e32 v130, s22, v130
	v_lshlrev_b32_e32 v130, 2, v130
	v_and_b32_e32 v135, 0x3030303, v128
	v_bfe_u32 v128, v128, 24, 2
	v_and_b32_e32 v130, 0x4040404, v130
	v_sub_u16_e32 v136, v135, v130
	v_sub_u16_sdwa v137, v135, v130 dst_sel:BYTE_1 dst_unused:UNUSED_PAD src0_sel:BYTE_1 src1_sel:BYTE_1
	v_sub_u16_sdwa v128, v128, v130 dst_sel:BYTE_1 dst_unused:UNUSED_PAD src0_sel:DWORD src1_sel:BYTE_3
	v_sub_u16_sdwa v130, v135, v130 dst_sel:DWORD dst_unused:UNUSED_PAD src0_sel:WORD_1 src1_sel:WORD_1
	v_or_b32_sdwa v136, v136, v137 dst_sel:DWORD dst_unused:UNUSED_PAD src0_sel:BYTE_0 src1_sel:DWORD
	v_or_b32_sdwa v128, v130, v128 dst_sel:WORD_1 dst_unused:UNUSED_PAD src0_sel:BYTE_0 src1_sel:DWORD
	v_ashrrev_i32_e32 v130, s22, v131
	v_or_b32_sdwa v135, v136, v128 dst_sel:DWORD dst_unused:UNUSED_PAD src0_sel:WORD_0 src1_sel:DWORD
	v_ashrrev_i32_e32 v128, s3, v129
	v_lshlrev_b32_e32 v130, 2, v130
	v_and_b32_e32 v129, 0x3030303, v128
	v_bfe_u32 v128, v128, 24, 2
	v_and_b32_e32 v130, 0x4040404, v130
	v_sub_u16_e32 v131, v129, v130
	v_sub_u16_sdwa v136, v129, v130 dst_sel:BYTE_1 dst_unused:UNUSED_PAD src0_sel:BYTE_1 src1_sel:BYTE_1
	v_sub_u16_sdwa v128, v128, v130 dst_sel:BYTE_1 dst_unused:UNUSED_PAD src0_sel:DWORD src1_sel:BYTE_3
	v_sub_u16_sdwa v129, v129, v130 dst_sel:DWORD dst_unused:UNUSED_PAD src0_sel:WORD_1 src1_sel:WORD_1
	v_or_b32_sdwa v131, v131, v136 dst_sel:DWORD dst_unused:UNUSED_PAD src0_sel:BYTE_0 src1_sel:DWORD
	v_or_b32_sdwa v128, v129, v128 dst_sel:WORD_1 dst_unused:UNUSED_PAD src0_sel:BYTE_0 src1_sel:DWORD
	v_add_u32_e32 v130, 0x4210, v133
	v_or_b32_sdwa v136, v131, v128 dst_sel:DWORD dst_unused:UNUSED_PAD src0_sel:WORD_0 src1_sel:DWORD
	ds_read2_b32 v[128:129], v127 offset0:4 offset1:5
	ds_read2_b32 v[130:131], v130 offset1:1
	s_waitcnt lgkmcnt(1)
	v_ashrrev_i32_e32 v128, s3, v128
	s_waitcnt lgkmcnt(0)
	v_ashrrev_i32_e32 v130, s22, v130
	v_lshlrev_b32_e32 v130, 2, v130
	v_and_b32_e32 v137, 0x3030303, v128
	v_bfe_u32 v128, v128, 24, 2
	v_and_b32_e32 v130, 0x4040404, v130
	;; [unrolled: 31-line block ×3, first 2 shown]
	v_sub_u16_e32 v133, v128, v130
	v_sub_u16_sdwa v139, v128, v130 dst_sel:BYTE_1 dst_unused:UNUSED_PAD src0_sel:BYTE_1 src1_sel:BYTE_1
	v_sub_u16_sdwa v127, v127, v130 dst_sel:BYTE_1 dst_unused:UNUSED_PAD src0_sel:DWORD src1_sel:BYTE_3
	v_sub_u16_sdwa v128, v128, v130 dst_sel:DWORD dst_unused:UNUSED_PAD src0_sel:WORD_1 src1_sel:WORD_1
	v_ashrrev_i32_e32 v130, s22, v131
	v_or_b32_sdwa v127, v128, v127 dst_sel:WORD_1 dst_unused:UNUSED_PAD src0_sel:BYTE_0 src1_sel:DWORD
	v_ashrrev_i32_e32 v128, s3, v129
	v_lshlrev_b32_e32 v130, 2, v130
	v_or_b32_sdwa v133, v133, v139 dst_sel:DWORD dst_unused:UNUSED_PAD src0_sel:BYTE_0 src1_sel:DWORD
	v_and_b32_e32 v129, 0x3030303, v128
	v_bfe_u32 v128, v128, 24, 2
	v_and_b32_e32 v130, 0x4040404, v130
	v_or_b32_sdwa v127, v133, v127 dst_sel:DWORD dst_unused:UNUSED_PAD src0_sel:WORD_0 src1_sel:DWORD
	v_sub_u16_e32 v131, v129, v130
	v_sub_u16_sdwa v133, v129, v130 dst_sel:BYTE_1 dst_unused:UNUSED_PAD src0_sel:BYTE_1 src1_sel:BYTE_1
	v_sub_u16_sdwa v128, v128, v130 dst_sel:BYTE_1 dst_unused:UNUSED_PAD src0_sel:DWORD src1_sel:BYTE_3
	v_sub_u16_sdwa v129, v129, v130 dst_sel:DWORD dst_unused:UNUSED_PAD src0_sel:WORD_1 src1_sel:WORD_1
	v_or_b32_sdwa v128, v129, v128 dst_sel:WORD_1 dst_unused:UNUSED_PAD src0_sel:BYTE_0 src1_sel:DWORD
	v_add_u32_e32 v129, s38, v90
	v_mov_b32_e32 v130, 0
	ds_read_b32 v129, v129
	v_dot4c_i32_i8_e32 v130, v132, v6
	ds_read_u16 v6, v126
	v_dot4c_i32_i8_e32 v130, v134, v7
	v_dot4c_i32_i8_e32 v130, v135, v8
	v_mov_b32_e32 v8, 0
	v_dot4c_i32_i8_e32 v8, v137, v2
	v_or_b32_sdwa v131, v131, v133 dst_sel:DWORD dst_unused:UNUSED_PAD src0_sel:BYTE_0 src1_sel:DWORD
	v_dot4c_i32_i8_e32 v8, v138, v3
	v_or_b32_sdwa v128, v131, v128 dst_sel:DWORD dst_unused:UNUSED_PAD src0_sel:WORD_0 src1_sel:DWORD
	v_dot4c_i32_i8_e32 v130, v136, v9
	s_waitcnt lgkmcnt(0)
	v_lshrrev_b16_e32 v7, 8, v6
	v_bfe_i32 v6, v6, 0, 8
	v_dot4c_i32_i8_e32 v8, v127, v4
	v_mul_lo_u32 v6, v130, v6
	v_dot4c_i32_i8_e32 v8, v128, v5
	v_bfe_i32 v2, v7, 0, 8
	s_add_i32 s3, s3, 2
	s_add_i32 s22, s22, 1
	v_mad_u64_u32 v[2:3], s[36:37], v8, v2, v[6:7]
	v_cvt_f32_i32_e32 v2, v2
	v_mul_f32_e32 v3, v125, v129
	s_cmp_lt_u32 s23, 14
	v_fmac_f32_e32 v11, v3, v2
	s_cbranch_scc1 .LBB229_20
; %bb.21:                               ;   in Loop: Header=BB229_5 Depth=1
	s_or_b32 s2, s34, 0x100
	s_cmp_ge_i32 s2, s15
	s_barrier
	s_cbranch_scc1 .LBB229_4
; %bb.22:                               ;   in Loop: Header=BB229_5 Depth=1
	v_add_u32_e32 v2, s33, v92
	v_cmp_gt_i32_e64 s[2:3], s5, v2
	s_and_b64 s[22:23], s[0:1], s[2:3]
	s_and_saveexec_b64 s[2:3], s[22:23]
	s_cbranch_execz .LBB229_24
; %bb.23:                               ;   in Loop: Header=BB229_5 Depth=1
	v_add_u32_e32 v2, v84, v2
	v_mad_i64_i32 v[2:3], s[22:23], v2, 36, v[82:83]
	global_load_dword v2, v[2:3], off offset:4
	s_waitcnt vmcnt(0)
	ds_write_b32 v59, v2
.LBB229_24:                             ;   in Loop: Header=BB229_5 Depth=1
	s_or_b64 exec, exec, s[2:3]
	s_and_saveexec_b64 s[22:23], vcc
	s_cbranch_execz .LBB229_27
; %bb.25:                               ;   in Loop: Header=BB229_5 Depth=1
	v_or_b32_e32 v2, s33, v15
	v_or_b32_e32 v3, 8, v2
	v_cmp_gt_i32_e64 s[2:3], s5, v3
	s_and_b64 s[2:3], s[0:1], s[2:3]
	s_and_b64 exec, exec, s[2:3]
	s_cbranch_execz .LBB229_27
; %bb.26:                               ;   in Loop: Header=BB229_5 Depth=1
	v_ashrrev_i32_e32 v3, 31, v2
	v_lshl_add_u64 v[2:3], v[84:85], 0, v[2:3]
	v_mad_u64_u32 v[4:5], s[2:3], v2, 36, s[16:17]
	v_mad_i32_i24 v5, v3, 36, v5
	global_load_dword v2, v[4:5], off
	s_waitcnt vmcnt(0)
	v_cvt_f32_f16_e32 v2, v2
	ds_write_b32 v61, v2
.LBB229_27:                             ;   in Loop: Header=BB229_5 Depth=1
	s_or_b64 exec, exec, s[22:23]
	s_mov_b32 s2, 16
	s_mov_b32 s36, 14
	;; [unrolled: 1-line block ×3, first 2 shown]
	v_mov_b32_e32 v123, v100
	v_mov_b32_e32 v124, v101
	s_waitcnt lgkmcnt(0)
	s_barrier
.LBB229_28:                             ;   Parent Loop BB229_5 Depth=1
                                        ; =>  This Inner Loop Header: Depth=2
	s_add_i32 s22, s36, 2
	s_lshr_b32 s39, s22, 4
	s_and_b32 s37, s22, 0x3ffffff8
	s_lshl_b32 s35, s39, 3
	s_lshl_b32 s37, s37, 2
	v_add_lshl_u32 v132, v65, s35, 2
	v_add_u32_e32 v130, s37, v67
	v_add_u32_e32 v128, 0x4200, v132
	ds_read_b32 v125, v124
	ds_read_b128 v[6:9], v123
	ds_read_b128 v[2:5], v123 offset:16
	ds_read2_b32 v[126:127], v130 offset1:1
	ds_read2_b32 v[128:129], v128 offset1:1
	s_add_i32 s23, s36, -14
	s_and_b32 s38, s2, -16
	s_add_i32 s36, s36, s38
	s_waitcnt lgkmcnt(1)
	v_ashrrev_i32_e32 v126, s23, v126
	s_waitcnt lgkmcnt(0)
	v_ashrrev_i32_e32 v128, s3, v128
	v_lshlrev_b32_e32 v128, 2, v128
	v_and_b32_e32 v131, 0x3030303, v126
	v_bfe_u32 v126, v126, 24, 2
	v_and_b32_e32 v128, 0x4040404, v128
	v_sub_u16_e32 v133, v131, v128
	v_sub_u16_sdwa v134, v131, v128 dst_sel:BYTE_1 dst_unused:UNUSED_PAD src0_sel:BYTE_1 src1_sel:BYTE_1
	v_sub_u16_sdwa v126, v126, v128 dst_sel:BYTE_1 dst_unused:UNUSED_PAD src0_sel:DWORD src1_sel:BYTE_3
	v_sub_u16_sdwa v128, v131, v128 dst_sel:DWORD dst_unused:UNUSED_PAD src0_sel:WORD_1 src1_sel:WORD_1
	v_or_b32_sdwa v133, v133, v134 dst_sel:DWORD dst_unused:UNUSED_PAD src0_sel:BYTE_0 src1_sel:DWORD
	v_or_b32_sdwa v126, v128, v126 dst_sel:WORD_1 dst_unused:UNUSED_PAD src0_sel:BYTE_0 src1_sel:DWORD
	v_ashrrev_i32_e32 v128, s3, v129
	v_or_b32_sdwa v131, v133, v126 dst_sel:DWORD dst_unused:UNUSED_PAD src0_sel:WORD_0 src1_sel:DWORD
	v_ashrrev_i32_e32 v126, s23, v127
	v_lshlrev_b32_e32 v128, 2, v128
	v_and_b32_e32 v127, 0x3030303, v126
	v_bfe_u32 v126, v126, 24, 2
	v_and_b32_e32 v128, 0x4040404, v128
	v_sub_u16_e32 v129, v127, v128
	v_sub_u16_sdwa v133, v127, v128 dst_sel:BYTE_1 dst_unused:UNUSED_PAD src0_sel:BYTE_1 src1_sel:BYTE_1
	v_sub_u16_sdwa v126, v126, v128 dst_sel:BYTE_1 dst_unused:UNUSED_PAD src0_sel:DWORD src1_sel:BYTE_3
	v_sub_u16_sdwa v127, v127, v128 dst_sel:DWORD dst_unused:UNUSED_PAD src0_sel:WORD_1 src1_sel:WORD_1
	v_or_b32_sdwa v129, v129, v133 dst_sel:DWORD dst_unused:UNUSED_PAD src0_sel:BYTE_0 src1_sel:DWORD
	v_or_b32_sdwa v126, v127, v126 dst_sel:WORD_1 dst_unused:UNUSED_PAD src0_sel:BYTE_0 src1_sel:DWORD
	v_add_u32_e32 v128, 0x4208, v132
	v_or_b32_sdwa v133, v129, v126 dst_sel:DWORD dst_unused:UNUSED_PAD src0_sel:WORD_0 src1_sel:DWORD
	ds_read2_b32 v[126:127], v130 offset0:2 offset1:3
	ds_read2_b32 v[128:129], v128 offset1:1
	s_lshl_b32 s38, s39, 2
	s_add_i32 s2, s2, 2
	v_add_u32_e32 v124, 4, v124
	s_waitcnt lgkmcnt(1)
	v_ashrrev_i32_e32 v126, s23, v126
	s_waitcnt lgkmcnt(0)
	v_ashrrev_i32_e32 v128, s3, v128
	v_lshlrev_b32_e32 v128, 2, v128
	v_and_b32_e32 v134, 0x3030303, v126
	v_bfe_u32 v126, v126, 24, 2
	v_and_b32_e32 v128, 0x4040404, v128
	v_sub_u16_e32 v135, v134, v128
	v_sub_u16_sdwa v136, v134, v128 dst_sel:BYTE_1 dst_unused:UNUSED_PAD src0_sel:BYTE_1 src1_sel:BYTE_1
	v_sub_u16_sdwa v126, v126, v128 dst_sel:BYTE_1 dst_unused:UNUSED_PAD src0_sel:DWORD src1_sel:BYTE_3
	v_sub_u16_sdwa v128, v134, v128 dst_sel:DWORD dst_unused:UNUSED_PAD src0_sel:WORD_1 src1_sel:WORD_1
	v_or_b32_sdwa v135, v135, v136 dst_sel:DWORD dst_unused:UNUSED_PAD src0_sel:BYTE_0 src1_sel:DWORD
	v_or_b32_sdwa v126, v128, v126 dst_sel:WORD_1 dst_unused:UNUSED_PAD src0_sel:BYTE_0 src1_sel:DWORD
	v_ashrrev_i32_e32 v128, s3, v129
	v_or_b32_sdwa v134, v135, v126 dst_sel:DWORD dst_unused:UNUSED_PAD src0_sel:WORD_0 src1_sel:DWORD
	v_ashrrev_i32_e32 v126, s23, v127
	v_lshlrev_b32_e32 v128, 2, v128
	v_and_b32_e32 v127, 0x3030303, v126
	v_bfe_u32 v126, v126, 24, 2
	v_and_b32_e32 v128, 0x4040404, v128
	v_sub_u16_e32 v129, v127, v128
	v_sub_u16_sdwa v135, v127, v128 dst_sel:BYTE_1 dst_unused:UNUSED_PAD src0_sel:BYTE_1 src1_sel:BYTE_1
	v_sub_u16_sdwa v126, v126, v128 dst_sel:BYTE_1 dst_unused:UNUSED_PAD src0_sel:DWORD src1_sel:BYTE_3
	v_sub_u16_sdwa v127, v127, v128 dst_sel:DWORD dst_unused:UNUSED_PAD src0_sel:WORD_1 src1_sel:WORD_1
	v_or_b32_sdwa v129, v129, v135 dst_sel:DWORD dst_unused:UNUSED_PAD src0_sel:BYTE_0 src1_sel:DWORD
	v_or_b32_sdwa v126, v127, v126 dst_sel:WORD_1 dst_unused:UNUSED_PAD src0_sel:BYTE_0 src1_sel:DWORD
	v_add_u32_e32 v128, 0x4210, v132
	v_or_b32_sdwa v135, v129, v126 dst_sel:DWORD dst_unused:UNUSED_PAD src0_sel:WORD_0 src1_sel:DWORD
	ds_read2_b32 v[126:127], v130 offset0:4 offset1:5
	ds_read2_b32 v[128:129], v128 offset1:1
	v_add_u32_e32 v123, 32, v123
	s_waitcnt lgkmcnt(1)
	v_ashrrev_i32_e32 v126, s23, v126
	s_waitcnt lgkmcnt(0)
	v_ashrrev_i32_e32 v128, s3, v128
	v_lshlrev_b32_e32 v128, 2, v128
	v_and_b32_e32 v136, 0x3030303, v126
	v_bfe_u32 v126, v126, 24, 2
	v_and_b32_e32 v128, 0x4040404, v128
	v_sub_u16_e32 v137, v136, v128
	v_sub_u16_sdwa v138, v136, v128 dst_sel:BYTE_1 dst_unused:UNUSED_PAD src0_sel:BYTE_1 src1_sel:BYTE_1
	v_sub_u16_sdwa v126, v126, v128 dst_sel:BYTE_1 dst_unused:UNUSED_PAD src0_sel:DWORD src1_sel:BYTE_3
	v_sub_u16_sdwa v128, v136, v128 dst_sel:DWORD dst_unused:UNUSED_PAD src0_sel:WORD_1 src1_sel:WORD_1
	v_or_b32_sdwa v137, v137, v138 dst_sel:DWORD dst_unused:UNUSED_PAD src0_sel:BYTE_0 src1_sel:DWORD
	v_or_b32_sdwa v126, v128, v126 dst_sel:WORD_1 dst_unused:UNUSED_PAD src0_sel:BYTE_0 src1_sel:DWORD
	v_ashrrev_i32_e32 v128, s3, v129
	v_or_b32_sdwa v136, v137, v126 dst_sel:DWORD dst_unused:UNUSED_PAD src0_sel:WORD_0 src1_sel:DWORD
	v_ashrrev_i32_e32 v126, s23, v127
	v_lshlrev_b32_e32 v128, 2, v128
	v_and_b32_e32 v127, 0x3030303, v126
	v_bfe_u32 v126, v126, 24, 2
	v_and_b32_e32 v128, 0x4040404, v128
	v_sub_u16_e32 v129, v127, v128
	v_sub_u16_sdwa v137, v127, v128 dst_sel:BYTE_1 dst_unused:UNUSED_PAD src0_sel:BYTE_1 src1_sel:BYTE_1
	v_sub_u16_sdwa v126, v126, v128 dst_sel:BYTE_1 dst_unused:UNUSED_PAD src0_sel:DWORD src1_sel:BYTE_3
	v_sub_u16_sdwa v127, v127, v128 dst_sel:DWORD dst_unused:UNUSED_PAD src0_sel:WORD_1 src1_sel:WORD_1
	v_or_b32_sdwa v129, v129, v137 dst_sel:DWORD dst_unused:UNUSED_PAD src0_sel:BYTE_0 src1_sel:DWORD
	v_or_b32_sdwa v126, v127, v126 dst_sel:WORD_1 dst_unused:UNUSED_PAD src0_sel:BYTE_0 src1_sel:DWORD
	v_add_u32_e32 v128, 0x4218, v132
	v_or_b32_sdwa v137, v129, v126 dst_sel:DWORD dst_unused:UNUSED_PAD src0_sel:WORD_0 src1_sel:DWORD
	ds_read2_b32 v[126:127], v130 offset0:6 offset1:7
	ds_read2_b32 v[128:129], v128 offset1:1
	s_waitcnt lgkmcnt(1)
	v_ashrrev_i32_e32 v126, s23, v126
	s_waitcnt lgkmcnt(0)
	v_ashrrev_i32_e32 v128, s3, v128
	v_lshlrev_b32_e32 v128, 2, v128
	v_and_b32_e32 v130, 0x3030303, v126
	v_bfe_u32 v126, v126, 24, 2
	v_and_b32_e32 v128, 0x4040404, v128
	v_sub_u16_e32 v132, v130, v128
	v_sub_u16_sdwa v138, v130, v128 dst_sel:BYTE_1 dst_unused:UNUSED_PAD src0_sel:BYTE_1 src1_sel:BYTE_1
	v_sub_u16_sdwa v126, v126, v128 dst_sel:BYTE_1 dst_unused:UNUSED_PAD src0_sel:DWORD src1_sel:BYTE_3
	v_sub_u16_sdwa v128, v130, v128 dst_sel:DWORD dst_unused:UNUSED_PAD src0_sel:WORD_1 src1_sel:WORD_1
	v_or_b32_sdwa v132, v132, v138 dst_sel:DWORD dst_unused:UNUSED_PAD src0_sel:BYTE_0 src1_sel:DWORD
	v_or_b32_sdwa v126, v128, v126 dst_sel:WORD_1 dst_unused:UNUSED_PAD src0_sel:BYTE_0 src1_sel:DWORD
	v_ashrrev_i32_e32 v129, s3, v129
	v_or_b32_sdwa v128, v132, v126 dst_sel:DWORD dst_unused:UNUSED_PAD src0_sel:WORD_0 src1_sel:DWORD
	v_ashrrev_i32_e32 v126, s23, v127
	v_lshlrev_b32_e32 v129, 2, v129
	v_and_b32_e32 v127, 0x3030303, v126
	v_bfe_u32 v126, v126, 24, 2
	v_and_b32_e32 v129, 0x4040404, v129
	v_sub_u16_e32 v130, v127, v129
	v_sub_u16_sdwa v132, v127, v129 dst_sel:BYTE_1 dst_unused:UNUSED_PAD src0_sel:BYTE_1 src1_sel:BYTE_1
	v_sub_u16_sdwa v126, v126, v129 dst_sel:BYTE_1 dst_unused:UNUSED_PAD src0_sel:DWORD src1_sel:BYTE_3
	v_sub_u16_sdwa v127, v127, v129 dst_sel:DWORD dst_unused:UNUSED_PAD src0_sel:WORD_1 src1_sel:WORD_1
	v_or_b32_sdwa v130, v130, v132 dst_sel:DWORD dst_unused:UNUSED_PAD src0_sel:BYTE_0 src1_sel:DWORD
	v_or_b32_sdwa v126, v127, v126 dst_sel:WORD_1 dst_unused:UNUSED_PAD src0_sel:BYTE_0 src1_sel:DWORD
	v_add_u32_e32 v129, s38, v69
	v_or_b32_sdwa v127, v130, v126 dst_sel:DWORD dst_unused:UNUSED_PAD src0_sel:WORD_0 src1_sel:DWORD
	v_add_u32_e32 v126, s36, v109
	ds_read_b32 v129, v129
	ds_read_u16 v126, v126 offset:25330
	v_mov_b32_e32 v130, 0
	v_dot4c_i32_i8_e32 v130, v131, v6
	v_dot4c_i32_i8_e32 v130, v133, v7
	;; [unrolled: 1-line block ×4, first 2 shown]
	s_waitcnt lgkmcnt(0)
	v_lshrrev_b16_e32 v131, 8, v126
	v_bfe_i32 v126, v126, 0, 8
	v_add_lshl_u32 v132, v71, s35, 2
	v_mul_lo_u32 v126, v130, v126
	v_mov_b32_e32 v130, 0
	v_dot4c_i32_i8_e32 v130, v136, v2
	v_dot4c_i32_i8_e32 v130, v137, v3
	;; [unrolled: 1-line block ×4, first 2 shown]
	v_bfe_i32 v127, v131, 0, 8
	v_add_u32_e32 v128, 0x4200, v132
	s_nop 0
	v_mad_u64_u32 v[126:127], s[40:41], v130, v127, v[126:127]
	v_cvt_f32_i32_e32 v126, v126
	v_mul_f32_e32 v127, v125, v129
	v_add_u32_e32 v130, s37, v75
	ds_read2_b32 v[128:129], v128 offset1:1
	v_fmac_f32_e32 v95, v127, v126
	ds_read2_b32 v[126:127], v130 offset1:1
	s_waitcnt lgkmcnt(1)
	v_ashrrev_i32_e32 v128, s3, v128
	v_lshlrev_b32_e32 v128, 2, v128
	s_waitcnt lgkmcnt(0)
	v_ashrrev_i32_e32 v126, s23, v126
	v_and_b32_e32 v131, 0x3030303, v126
	v_bfe_u32 v126, v126, 24, 2
	v_and_b32_e32 v128, 0x4040404, v128
	v_sub_u16_e32 v133, v131, v128
	v_sub_u16_sdwa v134, v131, v128 dst_sel:BYTE_1 dst_unused:UNUSED_PAD src0_sel:BYTE_1 src1_sel:BYTE_1
	v_sub_u16_sdwa v126, v126, v128 dst_sel:BYTE_1 dst_unused:UNUSED_PAD src0_sel:DWORD src1_sel:BYTE_3
	v_sub_u16_sdwa v128, v131, v128 dst_sel:DWORD dst_unused:UNUSED_PAD src0_sel:WORD_1 src1_sel:WORD_1
	v_or_b32_sdwa v133, v133, v134 dst_sel:DWORD dst_unused:UNUSED_PAD src0_sel:BYTE_0 src1_sel:DWORD
	v_or_b32_sdwa v126, v128, v126 dst_sel:WORD_1 dst_unused:UNUSED_PAD src0_sel:BYTE_0 src1_sel:DWORD
	v_ashrrev_i32_e32 v128, s3, v129
	v_or_b32_sdwa v131, v133, v126 dst_sel:DWORD dst_unused:UNUSED_PAD src0_sel:WORD_0 src1_sel:DWORD
	v_ashrrev_i32_e32 v126, s23, v127
	v_lshlrev_b32_e32 v128, 2, v128
	v_and_b32_e32 v127, 0x3030303, v126
	v_bfe_u32 v126, v126, 24, 2
	v_and_b32_e32 v128, 0x4040404, v128
	v_sub_u16_e32 v129, v127, v128
	v_sub_u16_sdwa v133, v127, v128 dst_sel:BYTE_1 dst_unused:UNUSED_PAD src0_sel:BYTE_1 src1_sel:BYTE_1
	v_sub_u16_sdwa v126, v126, v128 dst_sel:BYTE_1 dst_unused:UNUSED_PAD src0_sel:DWORD src1_sel:BYTE_3
	v_sub_u16_sdwa v127, v127, v128 dst_sel:DWORD dst_unused:UNUSED_PAD src0_sel:WORD_1 src1_sel:WORD_1
	v_or_b32_sdwa v129, v129, v133 dst_sel:DWORD dst_unused:UNUSED_PAD src0_sel:BYTE_0 src1_sel:DWORD
	v_or_b32_sdwa v126, v127, v126 dst_sel:WORD_1 dst_unused:UNUSED_PAD src0_sel:BYTE_0 src1_sel:DWORD
	v_add_u32_e32 v128, 0x4208, v132
	v_or_b32_sdwa v133, v129, v126 dst_sel:DWORD dst_unused:UNUSED_PAD src0_sel:WORD_0 src1_sel:DWORD
	ds_read2_b32 v[126:127], v130 offset0:2 offset1:3
	ds_read2_b32 v[128:129], v128 offset1:1
	s_waitcnt lgkmcnt(1)
	v_ashrrev_i32_e32 v126, s23, v126
	s_waitcnt lgkmcnt(0)
	v_ashrrev_i32_e32 v128, s3, v128
	v_lshlrev_b32_e32 v128, 2, v128
	v_and_b32_e32 v134, 0x3030303, v126
	v_bfe_u32 v126, v126, 24, 2
	v_and_b32_e32 v128, 0x4040404, v128
	v_sub_u16_e32 v135, v134, v128
	v_sub_u16_sdwa v136, v134, v128 dst_sel:BYTE_1 dst_unused:UNUSED_PAD src0_sel:BYTE_1 src1_sel:BYTE_1
	v_sub_u16_sdwa v126, v126, v128 dst_sel:BYTE_1 dst_unused:UNUSED_PAD src0_sel:DWORD src1_sel:BYTE_3
	v_sub_u16_sdwa v128, v134, v128 dst_sel:DWORD dst_unused:UNUSED_PAD src0_sel:WORD_1 src1_sel:WORD_1
	v_or_b32_sdwa v135, v135, v136 dst_sel:DWORD dst_unused:UNUSED_PAD src0_sel:BYTE_0 src1_sel:DWORD
	v_or_b32_sdwa v126, v128, v126 dst_sel:WORD_1 dst_unused:UNUSED_PAD src0_sel:BYTE_0 src1_sel:DWORD
	v_ashrrev_i32_e32 v128, s3, v129
	v_or_b32_sdwa v134, v135, v126 dst_sel:DWORD dst_unused:UNUSED_PAD src0_sel:WORD_0 src1_sel:DWORD
	v_ashrrev_i32_e32 v126, s23, v127
	v_lshlrev_b32_e32 v128, 2, v128
	v_and_b32_e32 v127, 0x3030303, v126
	v_bfe_u32 v126, v126, 24, 2
	v_and_b32_e32 v128, 0x4040404, v128
	v_sub_u16_e32 v129, v127, v128
	v_sub_u16_sdwa v135, v127, v128 dst_sel:BYTE_1 dst_unused:UNUSED_PAD src0_sel:BYTE_1 src1_sel:BYTE_1
	v_sub_u16_sdwa v126, v126, v128 dst_sel:BYTE_1 dst_unused:UNUSED_PAD src0_sel:DWORD src1_sel:BYTE_3
	v_sub_u16_sdwa v127, v127, v128 dst_sel:DWORD dst_unused:UNUSED_PAD src0_sel:WORD_1 src1_sel:WORD_1
	v_or_b32_sdwa v129, v129, v135 dst_sel:DWORD dst_unused:UNUSED_PAD src0_sel:BYTE_0 src1_sel:DWORD
	v_or_b32_sdwa v126, v127, v126 dst_sel:WORD_1 dst_unused:UNUSED_PAD src0_sel:BYTE_0 src1_sel:DWORD
	v_add_u32_e32 v128, 0x4210, v132
	v_or_b32_sdwa v135, v129, v126 dst_sel:DWORD dst_unused:UNUSED_PAD src0_sel:WORD_0 src1_sel:DWORD
	ds_read2_b32 v[126:127], v130 offset0:4 offset1:5
	ds_read2_b32 v[128:129], v128 offset1:1
	s_waitcnt lgkmcnt(1)
	v_ashrrev_i32_e32 v126, s23, v126
	s_waitcnt lgkmcnt(0)
	v_ashrrev_i32_e32 v128, s3, v128
	v_lshlrev_b32_e32 v128, 2, v128
	;; [unrolled: 31-line block ×3, first 2 shown]
	v_and_b32_e32 v130, 0x3030303, v126
	v_bfe_u32 v126, v126, 24, 2
	v_and_b32_e32 v128, 0x4040404, v128
	v_sub_u16_e32 v132, v130, v128
	v_sub_u16_sdwa v138, v130, v128 dst_sel:BYTE_1 dst_unused:UNUSED_PAD src0_sel:BYTE_1 src1_sel:BYTE_1
	v_sub_u16_sdwa v126, v126, v128 dst_sel:BYTE_1 dst_unused:UNUSED_PAD src0_sel:DWORD src1_sel:BYTE_3
	v_sub_u16_sdwa v128, v130, v128 dst_sel:DWORD dst_unused:UNUSED_PAD src0_sel:WORD_1 src1_sel:WORD_1
	v_or_b32_sdwa v132, v132, v138 dst_sel:DWORD dst_unused:UNUSED_PAD src0_sel:BYTE_0 src1_sel:DWORD
	v_or_b32_sdwa v126, v128, v126 dst_sel:WORD_1 dst_unused:UNUSED_PAD src0_sel:BYTE_0 src1_sel:DWORD
	v_ashrrev_i32_e32 v129, s3, v129
	v_or_b32_sdwa v128, v132, v126 dst_sel:DWORD dst_unused:UNUSED_PAD src0_sel:WORD_0 src1_sel:DWORD
	v_ashrrev_i32_e32 v126, s23, v127
	v_lshlrev_b32_e32 v129, 2, v129
	v_and_b32_e32 v127, 0x3030303, v126
	v_bfe_u32 v126, v126, 24, 2
	v_and_b32_e32 v129, 0x4040404, v129
	v_sub_u16_e32 v130, v127, v129
	v_sub_u16_sdwa v132, v127, v129 dst_sel:BYTE_1 dst_unused:UNUSED_PAD src0_sel:BYTE_1 src1_sel:BYTE_1
	v_sub_u16_sdwa v126, v126, v129 dst_sel:BYTE_1 dst_unused:UNUSED_PAD src0_sel:DWORD src1_sel:BYTE_3
	v_sub_u16_sdwa v127, v127, v129 dst_sel:DWORD dst_unused:UNUSED_PAD src0_sel:WORD_1 src1_sel:WORD_1
	v_or_b32_sdwa v130, v130, v132 dst_sel:DWORD dst_unused:UNUSED_PAD src0_sel:BYTE_0 src1_sel:DWORD
	v_or_b32_sdwa v126, v127, v126 dst_sel:WORD_1 dst_unused:UNUSED_PAD src0_sel:BYTE_0 src1_sel:DWORD
	v_add_u32_e32 v129, s38, v77
	v_or_b32_sdwa v127, v130, v126 dst_sel:DWORD dst_unused:UNUSED_PAD src0_sel:WORD_0 src1_sel:DWORD
	v_add_u32_e32 v126, s36, v108
	ds_read_b32 v129, v129
	ds_read_u16 v126, v126 offset:26354
	v_mov_b32_e32 v130, 0
	v_dot4c_i32_i8_e32 v130, v131, v6
	v_dot4c_i32_i8_e32 v130, v133, v7
	;; [unrolled: 1-line block ×4, first 2 shown]
	s_waitcnt lgkmcnt(0)
	v_lshrrev_b16_e32 v131, 8, v126
	v_bfe_i32 v126, v126, 0, 8
	v_add_lshl_u32 v132, v79, s35, 2
	v_mul_lo_u32 v126, v130, v126
	v_mov_b32_e32 v130, 0
	v_dot4c_i32_i8_e32 v130, v136, v2
	v_dot4c_i32_i8_e32 v130, v137, v3
	;; [unrolled: 1-line block ×4, first 2 shown]
	v_bfe_i32 v127, v131, 0, 8
	v_add_u32_e32 v128, 0x4200, v132
	s_nop 0
	v_mad_u64_u32 v[126:127], s[40:41], v130, v127, v[126:127]
	v_cvt_f32_i32_e32 v126, v126
	v_mul_f32_e32 v127, v125, v129
	v_add_u32_e32 v130, s37, v81
	ds_read2_b32 v[128:129], v128 offset1:1
	v_fmac_f32_e32 v94, v127, v126
	ds_read2_b32 v[126:127], v130 offset1:1
	s_waitcnt lgkmcnt(1)
	v_ashrrev_i32_e32 v128, s3, v128
	v_lshlrev_b32_e32 v128, 2, v128
	s_waitcnt lgkmcnt(0)
	v_ashrrev_i32_e32 v126, s23, v126
	v_and_b32_e32 v131, 0x3030303, v126
	v_bfe_u32 v126, v126, 24, 2
	v_and_b32_e32 v128, 0x4040404, v128
	v_sub_u16_e32 v133, v131, v128
	v_sub_u16_sdwa v134, v131, v128 dst_sel:BYTE_1 dst_unused:UNUSED_PAD src0_sel:BYTE_1 src1_sel:BYTE_1
	v_sub_u16_sdwa v126, v126, v128 dst_sel:BYTE_1 dst_unused:UNUSED_PAD src0_sel:DWORD src1_sel:BYTE_3
	v_sub_u16_sdwa v128, v131, v128 dst_sel:DWORD dst_unused:UNUSED_PAD src0_sel:WORD_1 src1_sel:WORD_1
	v_or_b32_sdwa v133, v133, v134 dst_sel:DWORD dst_unused:UNUSED_PAD src0_sel:BYTE_0 src1_sel:DWORD
	v_or_b32_sdwa v126, v128, v126 dst_sel:WORD_1 dst_unused:UNUSED_PAD src0_sel:BYTE_0 src1_sel:DWORD
	v_ashrrev_i32_e32 v128, s3, v129
	v_or_b32_sdwa v131, v133, v126 dst_sel:DWORD dst_unused:UNUSED_PAD src0_sel:WORD_0 src1_sel:DWORD
	v_ashrrev_i32_e32 v126, s23, v127
	v_lshlrev_b32_e32 v128, 2, v128
	v_and_b32_e32 v127, 0x3030303, v126
	v_bfe_u32 v126, v126, 24, 2
	v_and_b32_e32 v128, 0x4040404, v128
	v_sub_u16_e32 v129, v127, v128
	v_sub_u16_sdwa v133, v127, v128 dst_sel:BYTE_1 dst_unused:UNUSED_PAD src0_sel:BYTE_1 src1_sel:BYTE_1
	v_sub_u16_sdwa v126, v126, v128 dst_sel:BYTE_1 dst_unused:UNUSED_PAD src0_sel:DWORD src1_sel:BYTE_3
	v_sub_u16_sdwa v127, v127, v128 dst_sel:DWORD dst_unused:UNUSED_PAD src0_sel:WORD_1 src1_sel:WORD_1
	v_or_b32_sdwa v129, v129, v133 dst_sel:DWORD dst_unused:UNUSED_PAD src0_sel:BYTE_0 src1_sel:DWORD
	v_or_b32_sdwa v126, v127, v126 dst_sel:WORD_1 dst_unused:UNUSED_PAD src0_sel:BYTE_0 src1_sel:DWORD
	v_add_u32_e32 v128, 0x4208, v132
	v_or_b32_sdwa v133, v129, v126 dst_sel:DWORD dst_unused:UNUSED_PAD src0_sel:WORD_0 src1_sel:DWORD
	ds_read2_b32 v[126:127], v130 offset0:2 offset1:3
	ds_read2_b32 v[128:129], v128 offset1:1
	s_waitcnt lgkmcnt(1)
	v_ashrrev_i32_e32 v126, s23, v126
	s_waitcnt lgkmcnt(0)
	v_ashrrev_i32_e32 v128, s3, v128
	v_lshlrev_b32_e32 v128, 2, v128
	v_and_b32_e32 v134, 0x3030303, v126
	v_bfe_u32 v126, v126, 24, 2
	v_and_b32_e32 v128, 0x4040404, v128
	v_sub_u16_e32 v135, v134, v128
	v_sub_u16_sdwa v136, v134, v128 dst_sel:BYTE_1 dst_unused:UNUSED_PAD src0_sel:BYTE_1 src1_sel:BYTE_1
	v_sub_u16_sdwa v126, v126, v128 dst_sel:BYTE_1 dst_unused:UNUSED_PAD src0_sel:DWORD src1_sel:BYTE_3
	v_sub_u16_sdwa v128, v134, v128 dst_sel:DWORD dst_unused:UNUSED_PAD src0_sel:WORD_1 src1_sel:WORD_1
	v_or_b32_sdwa v135, v135, v136 dst_sel:DWORD dst_unused:UNUSED_PAD src0_sel:BYTE_0 src1_sel:DWORD
	v_or_b32_sdwa v126, v128, v126 dst_sel:WORD_1 dst_unused:UNUSED_PAD src0_sel:BYTE_0 src1_sel:DWORD
	v_ashrrev_i32_e32 v128, s3, v129
	v_or_b32_sdwa v134, v135, v126 dst_sel:DWORD dst_unused:UNUSED_PAD src0_sel:WORD_0 src1_sel:DWORD
	v_ashrrev_i32_e32 v126, s23, v127
	v_lshlrev_b32_e32 v128, 2, v128
	v_and_b32_e32 v127, 0x3030303, v126
	v_bfe_u32 v126, v126, 24, 2
	v_and_b32_e32 v128, 0x4040404, v128
	v_sub_u16_e32 v129, v127, v128
	v_sub_u16_sdwa v135, v127, v128 dst_sel:BYTE_1 dst_unused:UNUSED_PAD src0_sel:BYTE_1 src1_sel:BYTE_1
	v_sub_u16_sdwa v126, v126, v128 dst_sel:BYTE_1 dst_unused:UNUSED_PAD src0_sel:DWORD src1_sel:BYTE_3
	v_sub_u16_sdwa v127, v127, v128 dst_sel:DWORD dst_unused:UNUSED_PAD src0_sel:WORD_1 src1_sel:WORD_1
	v_or_b32_sdwa v129, v129, v135 dst_sel:DWORD dst_unused:UNUSED_PAD src0_sel:BYTE_0 src1_sel:DWORD
	v_or_b32_sdwa v126, v127, v126 dst_sel:WORD_1 dst_unused:UNUSED_PAD src0_sel:BYTE_0 src1_sel:DWORD
	v_add_u32_e32 v128, 0x4210, v132
	v_or_b32_sdwa v135, v129, v126 dst_sel:DWORD dst_unused:UNUSED_PAD src0_sel:WORD_0 src1_sel:DWORD
	ds_read2_b32 v[126:127], v130 offset0:4 offset1:5
	ds_read2_b32 v[128:129], v128 offset1:1
	s_waitcnt lgkmcnt(1)
	v_ashrrev_i32_e32 v126, s23, v126
	s_waitcnt lgkmcnt(0)
	v_ashrrev_i32_e32 v128, s3, v128
	v_lshlrev_b32_e32 v128, 2, v128
	;; [unrolled: 31-line block ×3, first 2 shown]
	v_and_b32_e32 v130, 0x3030303, v126
	v_bfe_u32 v126, v126, 24, 2
	v_and_b32_e32 v128, 0x4040404, v128
	v_sub_u16_e32 v132, v130, v128
	v_sub_u16_sdwa v138, v130, v128 dst_sel:BYTE_1 dst_unused:UNUSED_PAD src0_sel:BYTE_1 src1_sel:BYTE_1
	v_sub_u16_sdwa v126, v126, v128 dst_sel:BYTE_1 dst_unused:UNUSED_PAD src0_sel:DWORD src1_sel:BYTE_3
	v_sub_u16_sdwa v128, v130, v128 dst_sel:DWORD dst_unused:UNUSED_PAD src0_sel:WORD_1 src1_sel:WORD_1
	v_or_b32_sdwa v132, v132, v138 dst_sel:DWORD dst_unused:UNUSED_PAD src0_sel:BYTE_0 src1_sel:DWORD
	v_or_b32_sdwa v126, v128, v126 dst_sel:WORD_1 dst_unused:UNUSED_PAD src0_sel:BYTE_0 src1_sel:DWORD
	v_ashrrev_i32_e32 v129, s3, v129
	v_or_b32_sdwa v128, v132, v126 dst_sel:DWORD dst_unused:UNUSED_PAD src0_sel:WORD_0 src1_sel:DWORD
	v_ashrrev_i32_e32 v126, s23, v127
	v_lshlrev_b32_e32 v129, 2, v129
	v_and_b32_e32 v127, 0x3030303, v126
	v_bfe_u32 v126, v126, 24, 2
	v_and_b32_e32 v129, 0x4040404, v129
	v_sub_u16_e32 v130, v127, v129
	v_sub_u16_sdwa v132, v127, v129 dst_sel:BYTE_1 dst_unused:UNUSED_PAD src0_sel:BYTE_1 src1_sel:BYTE_1
	v_sub_u16_sdwa v126, v126, v129 dst_sel:BYTE_1 dst_unused:UNUSED_PAD src0_sel:DWORD src1_sel:BYTE_3
	v_sub_u16_sdwa v127, v127, v129 dst_sel:DWORD dst_unused:UNUSED_PAD src0_sel:WORD_1 src1_sel:WORD_1
	v_or_b32_sdwa v130, v130, v132 dst_sel:DWORD dst_unused:UNUSED_PAD src0_sel:BYTE_0 src1_sel:DWORD
	v_or_b32_sdwa v126, v127, v126 dst_sel:WORD_1 dst_unused:UNUSED_PAD src0_sel:BYTE_0 src1_sel:DWORD
	v_add_u32_e32 v129, s38, v86
	v_or_b32_sdwa v127, v130, v126 dst_sel:DWORD dst_unused:UNUSED_PAD src0_sel:WORD_0 src1_sel:DWORD
	v_add_u32_e32 v126, s36, v107
	ds_read_b32 v129, v129
	ds_read_u16 v126, v126 offset:27378
	v_mov_b32_e32 v130, 0
	v_dot4c_i32_i8_e32 v130, v131, v6
	v_dot4c_i32_i8_e32 v130, v133, v7
	;; [unrolled: 1-line block ×4, first 2 shown]
	s_waitcnt lgkmcnt(0)
	v_lshrrev_b16_e32 v131, 8, v126
	v_bfe_i32 v126, v126, 0, 8
	v_add_lshl_u32 v132, v87, s35, 2
	v_mul_lo_u32 v126, v130, v126
	v_mov_b32_e32 v130, 0
	v_dot4c_i32_i8_e32 v130, v136, v2
	v_dot4c_i32_i8_e32 v130, v137, v3
	;; [unrolled: 1-line block ×4, first 2 shown]
	v_bfe_i32 v127, v131, 0, 8
	v_add_u32_e32 v128, 0x4200, v132
	s_nop 0
	v_mad_u64_u32 v[126:127], s[40:41], v130, v127, v[126:127]
	v_cvt_f32_i32_e32 v126, v126
	v_mul_f32_e32 v127, v125, v129
	v_add_u32_e32 v130, s37, v88
	ds_read2_b32 v[128:129], v128 offset1:1
	v_fmac_f32_e32 v89, v127, v126
	ds_read2_b32 v[126:127], v130 offset1:1
	s_waitcnt lgkmcnt(1)
	v_ashrrev_i32_e32 v128, s3, v128
	v_lshlrev_b32_e32 v128, 2, v128
	s_waitcnt lgkmcnt(0)
	v_ashrrev_i32_e32 v126, s23, v126
	v_and_b32_e32 v131, 0x3030303, v126
	v_bfe_u32 v126, v126, 24, 2
	v_and_b32_e32 v128, 0x4040404, v128
	v_sub_u16_e32 v133, v131, v128
	v_sub_u16_sdwa v134, v131, v128 dst_sel:BYTE_1 dst_unused:UNUSED_PAD src0_sel:BYTE_1 src1_sel:BYTE_1
	v_sub_u16_sdwa v126, v126, v128 dst_sel:BYTE_1 dst_unused:UNUSED_PAD src0_sel:DWORD src1_sel:BYTE_3
	v_sub_u16_sdwa v128, v131, v128 dst_sel:DWORD dst_unused:UNUSED_PAD src0_sel:WORD_1 src1_sel:WORD_1
	v_or_b32_sdwa v133, v133, v134 dst_sel:DWORD dst_unused:UNUSED_PAD src0_sel:BYTE_0 src1_sel:DWORD
	v_or_b32_sdwa v126, v128, v126 dst_sel:WORD_1 dst_unused:UNUSED_PAD src0_sel:BYTE_0 src1_sel:DWORD
	v_ashrrev_i32_e32 v128, s3, v129
	v_or_b32_sdwa v131, v133, v126 dst_sel:DWORD dst_unused:UNUSED_PAD src0_sel:WORD_0 src1_sel:DWORD
	v_ashrrev_i32_e32 v126, s23, v127
	v_lshlrev_b32_e32 v128, 2, v128
	v_and_b32_e32 v127, 0x3030303, v126
	v_bfe_u32 v126, v126, 24, 2
	v_and_b32_e32 v128, 0x4040404, v128
	v_sub_u16_e32 v129, v127, v128
	v_sub_u16_sdwa v133, v127, v128 dst_sel:BYTE_1 dst_unused:UNUSED_PAD src0_sel:BYTE_1 src1_sel:BYTE_1
	v_sub_u16_sdwa v126, v126, v128 dst_sel:BYTE_1 dst_unused:UNUSED_PAD src0_sel:DWORD src1_sel:BYTE_3
	v_sub_u16_sdwa v127, v127, v128 dst_sel:DWORD dst_unused:UNUSED_PAD src0_sel:WORD_1 src1_sel:WORD_1
	v_or_b32_sdwa v129, v129, v133 dst_sel:DWORD dst_unused:UNUSED_PAD src0_sel:BYTE_0 src1_sel:DWORD
	v_or_b32_sdwa v126, v127, v126 dst_sel:WORD_1 dst_unused:UNUSED_PAD src0_sel:BYTE_0 src1_sel:DWORD
	v_add_u32_e32 v128, 0x4208, v132
	v_or_b32_sdwa v133, v129, v126 dst_sel:DWORD dst_unused:UNUSED_PAD src0_sel:WORD_0 src1_sel:DWORD
	ds_read2_b32 v[126:127], v130 offset0:2 offset1:3
	ds_read2_b32 v[128:129], v128 offset1:1
	s_waitcnt lgkmcnt(1)
	v_ashrrev_i32_e32 v126, s23, v126
	s_waitcnt lgkmcnt(0)
	v_ashrrev_i32_e32 v128, s3, v128
	v_lshlrev_b32_e32 v128, 2, v128
	v_and_b32_e32 v134, 0x3030303, v126
	v_bfe_u32 v126, v126, 24, 2
	v_and_b32_e32 v128, 0x4040404, v128
	v_sub_u16_e32 v135, v134, v128
	v_sub_u16_sdwa v136, v134, v128 dst_sel:BYTE_1 dst_unused:UNUSED_PAD src0_sel:BYTE_1 src1_sel:BYTE_1
	v_sub_u16_sdwa v126, v126, v128 dst_sel:BYTE_1 dst_unused:UNUSED_PAD src0_sel:DWORD src1_sel:BYTE_3
	v_sub_u16_sdwa v128, v134, v128 dst_sel:DWORD dst_unused:UNUSED_PAD src0_sel:WORD_1 src1_sel:WORD_1
	v_or_b32_sdwa v135, v135, v136 dst_sel:DWORD dst_unused:UNUSED_PAD src0_sel:BYTE_0 src1_sel:DWORD
	v_or_b32_sdwa v126, v128, v126 dst_sel:WORD_1 dst_unused:UNUSED_PAD src0_sel:BYTE_0 src1_sel:DWORD
	v_ashrrev_i32_e32 v128, s3, v129
	v_or_b32_sdwa v134, v135, v126 dst_sel:DWORD dst_unused:UNUSED_PAD src0_sel:WORD_0 src1_sel:DWORD
	v_ashrrev_i32_e32 v126, s23, v127
	v_lshlrev_b32_e32 v128, 2, v128
	v_and_b32_e32 v127, 0x3030303, v126
	v_bfe_u32 v126, v126, 24, 2
	v_and_b32_e32 v128, 0x4040404, v128
	v_sub_u16_e32 v129, v127, v128
	v_sub_u16_sdwa v135, v127, v128 dst_sel:BYTE_1 dst_unused:UNUSED_PAD src0_sel:BYTE_1 src1_sel:BYTE_1
	v_sub_u16_sdwa v126, v126, v128 dst_sel:BYTE_1 dst_unused:UNUSED_PAD src0_sel:DWORD src1_sel:BYTE_3
	v_sub_u16_sdwa v127, v127, v128 dst_sel:DWORD dst_unused:UNUSED_PAD src0_sel:WORD_1 src1_sel:WORD_1
	v_or_b32_sdwa v129, v129, v135 dst_sel:DWORD dst_unused:UNUSED_PAD src0_sel:BYTE_0 src1_sel:DWORD
	v_or_b32_sdwa v126, v127, v126 dst_sel:WORD_1 dst_unused:UNUSED_PAD src0_sel:BYTE_0 src1_sel:DWORD
	v_add_u32_e32 v128, 0x4210, v132
	v_or_b32_sdwa v135, v129, v126 dst_sel:DWORD dst_unused:UNUSED_PAD src0_sel:WORD_0 src1_sel:DWORD
	ds_read2_b32 v[126:127], v130 offset0:4 offset1:5
	ds_read2_b32 v[128:129], v128 offset1:1
	s_waitcnt lgkmcnt(1)
	v_ashrrev_i32_e32 v126, s23, v126
	s_waitcnt lgkmcnt(0)
	v_ashrrev_i32_e32 v128, s3, v128
	v_lshlrev_b32_e32 v128, 2, v128
	;; [unrolled: 31-line block ×3, first 2 shown]
	v_and_b32_e32 v130, 0x3030303, v126
	v_bfe_u32 v126, v126, 24, 2
	v_and_b32_e32 v128, 0x4040404, v128
	v_ashrrev_i32_e32 v129, s3, v129
	v_sub_u16_e32 v132, v130, v128
	v_sub_u16_sdwa v138, v130, v128 dst_sel:BYTE_1 dst_unused:UNUSED_PAD src0_sel:BYTE_1 src1_sel:BYTE_1
	v_sub_u16_sdwa v126, v126, v128 dst_sel:BYTE_1 dst_unused:UNUSED_PAD src0_sel:DWORD src1_sel:BYTE_3
	v_sub_u16_sdwa v128, v130, v128 dst_sel:DWORD dst_unused:UNUSED_PAD src0_sel:WORD_1 src1_sel:WORD_1
	v_ashrrev_i32_e32 v127, s23, v127
	v_lshlrev_b32_e32 v129, 2, v129
	v_or_b32_sdwa v132, v132, v138 dst_sel:DWORD dst_unused:UNUSED_PAD src0_sel:BYTE_0 src1_sel:DWORD
	v_or_b32_sdwa v126, v128, v126 dst_sel:WORD_1 dst_unused:UNUSED_PAD src0_sel:BYTE_0 src1_sel:DWORD
	v_and_b32_e32 v128, 0x3030303, v127
	v_bfe_u32 v127, v127, 24, 2
	v_and_b32_e32 v129, 0x4040404, v129
	v_or_b32_sdwa v126, v132, v126 dst_sel:DWORD dst_unused:UNUSED_PAD src0_sel:WORD_0 src1_sel:DWORD
	v_sub_u16_e32 v130, v128, v129
	v_sub_u16_sdwa v132, v128, v129 dst_sel:BYTE_1 dst_unused:UNUSED_PAD src0_sel:BYTE_1 src1_sel:BYTE_1
	v_sub_u16_sdwa v127, v127, v129 dst_sel:BYTE_1 dst_unused:UNUSED_PAD src0_sel:DWORD src1_sel:BYTE_3
	v_sub_u16_sdwa v128, v128, v129 dst_sel:DWORD dst_unused:UNUSED_PAD src0_sel:WORD_1 src1_sel:WORD_1
	v_or_b32_sdwa v130, v130, v132 dst_sel:DWORD dst_unused:UNUSED_PAD src0_sel:BYTE_0 src1_sel:DWORD
	v_or_b32_sdwa v127, v128, v127 dst_sel:WORD_1 dst_unused:UNUSED_PAD src0_sel:BYTE_0 src1_sel:DWORD
	v_add_u32_e32 v128, s36, v106
	v_or_b32_sdwa v127, v130, v127 dst_sel:DWORD dst_unused:UNUSED_PAD src0_sel:WORD_0 src1_sel:DWORD
	v_add_u32_e32 v129, s38, v90
	v_mov_b32_e32 v130, 0
	ds_read_b32 v129, v129
	v_dot4c_i32_i8_e32 v130, v131, v6
	ds_read_u16 v6, v128 offset:28402
	v_dot4c_i32_i8_e32 v130, v133, v7
	v_dot4c_i32_i8_e32 v130, v134, v8
	v_mov_b32_e32 v8, 0
	v_dot4c_i32_i8_e32 v8, v136, v2
	v_dot4c_i32_i8_e32 v8, v137, v3
	;; [unrolled: 1-line block ×3, first 2 shown]
	s_waitcnt lgkmcnt(0)
	v_lshrrev_b16_e32 v7, 8, v6
	v_bfe_i32 v6, v6, 0, 8
	v_dot4c_i32_i8_e32 v8, v126, v4
	v_mul_lo_u32 v6, v130, v6
	v_dot4c_i32_i8_e32 v8, v127, v5
	v_bfe_i32 v2, v7, 0, 8
	s_add_i32 s3, s3, 1
	s_cmp_lt_u32 s22, 22
	v_mad_u64_u32 v[2:3], s[36:37], v8, v2, v[6:7]
	v_cvt_f32_i32_e32 v2, v2
	v_mul_f32_e32 v3, v125, v129
	s_mov_b32 s36, s22
	v_fmac_f32_e32 v11, v3, v2
	s_cbranch_scc1 .LBB229_28
; %bb.29:                               ;   in Loop: Header=BB229_5 Depth=1
	s_or_b32 s2, s34, 0x180
	s_cmp_ge_i32 s2, s15
	s_barrier
	s_cbranch_scc1 .LBB229_4
; %bb.30:                               ;   in Loop: Header=BB229_5 Depth=1
	v_add_u32_e32 v2, s33, v93
	v_cmp_gt_i32_e64 s[2:3], s5, v2
	s_and_b64 s[22:23], s[0:1], s[2:3]
	s_and_saveexec_b64 s[2:3], s[22:23]
	s_cbranch_execz .LBB229_32
; %bb.31:                               ;   in Loop: Header=BB229_5 Depth=1
	v_add_u32_e32 v2, v84, v2
	v_mad_i64_i32 v[2:3], s[22:23], v2, 36, v[82:83]
	global_load_dword v2, v[2:3], off offset:4
	s_waitcnt vmcnt(0)
	ds_write_b32 v59, v2
.LBB229_32:                             ;   in Loop: Header=BB229_5 Depth=1
	s_or_b64 exec, exec, s[2:3]
	s_and_saveexec_b64 s[22:23], vcc
	s_cbranch_execz .LBB229_35
; %bb.33:                               ;   in Loop: Header=BB229_5 Depth=1
	v_or_b32_e32 v2, s33, v15
	v_or_b32_e32 v3, 12, v2
	v_cmp_gt_i32_e64 s[2:3], s5, v3
	s_and_b64 s[2:3], s[0:1], s[2:3]
	s_and_b64 exec, exec, s[2:3]
	s_cbranch_execz .LBB229_35
; %bb.34:                               ;   in Loop: Header=BB229_5 Depth=1
	v_ashrrev_i32_e32 v3, 31, v2
	v_lshl_add_u64 v[2:3], v[84:85], 0, v[2:3]
	v_mad_u64_u32 v[4:5], s[2:3], v2, 36, s[18:19]
	v_mad_i32_i24 v5, v3, 36, v5
	global_load_dword v2, v[4:5], off
	s_waitcnt vmcnt(0)
	v_cvt_f32_f16_e32 v2, v2
	ds_write_b32 v61, v2
.LBB229_35:                             ;   in Loop: Header=BB229_5 Depth=1
	s_or_b64 exec, exec, s[22:23]
	s_mov_b32 s2, 24
	s_mov_b32 s34, 22
	;; [unrolled: 1-line block ×3, first 2 shown]
	v_mov_b32_e32 v123, v100
	v_mov_b32_e32 v124, v101
	s_waitcnt lgkmcnt(0)
	s_barrier
.LBB229_36:                             ;   Parent Loop BB229_5 Depth=1
                                        ; =>  This Inner Loop Header: Depth=2
	s_add_i32 s22, s34, 2
	s_lshr_b32 s37, s22, 4
	s_and_b32 s35, s22, 0x3ffffff8
	s_lshl_b32 s33, s37, 3
	s_lshl_b32 s35, s35, 2
	v_add_lshl_u32 v132, v65, s33, 2
	v_add_u32_e32 v130, s35, v67
	v_add_u32_e32 v128, 0x4200, v132
	ds_read_b32 v125, v124
	ds_read_b128 v[6:9], v123
	ds_read_b128 v[2:5], v123 offset:16
	ds_read2_b32 v[126:127], v130 offset1:1
	ds_read2_b32 v[128:129], v128 offset1:1
	s_sub_i32 s23, s34, 22
	s_and_b32 s36, s2, -16
	s_add_i32 s34, s34, s36
	s_waitcnt lgkmcnt(1)
	v_ashrrev_i32_e32 v126, s23, v126
	s_waitcnt lgkmcnt(0)
	v_ashrrev_i32_e32 v128, s3, v128
	v_lshlrev_b32_e32 v128, 2, v128
	v_and_b32_e32 v131, 0x3030303, v126
	v_bfe_u32 v126, v126, 24, 2
	v_and_b32_e32 v128, 0x4040404, v128
	v_sub_u16_e32 v133, v131, v128
	v_sub_u16_sdwa v134, v131, v128 dst_sel:BYTE_1 dst_unused:UNUSED_PAD src0_sel:BYTE_1 src1_sel:BYTE_1
	v_sub_u16_sdwa v126, v126, v128 dst_sel:BYTE_1 dst_unused:UNUSED_PAD src0_sel:DWORD src1_sel:BYTE_3
	v_sub_u16_sdwa v128, v131, v128 dst_sel:DWORD dst_unused:UNUSED_PAD src0_sel:WORD_1 src1_sel:WORD_1
	v_or_b32_sdwa v133, v133, v134 dst_sel:DWORD dst_unused:UNUSED_PAD src0_sel:BYTE_0 src1_sel:DWORD
	v_or_b32_sdwa v126, v128, v126 dst_sel:WORD_1 dst_unused:UNUSED_PAD src0_sel:BYTE_0 src1_sel:DWORD
	v_ashrrev_i32_e32 v128, s3, v129
	v_or_b32_sdwa v131, v133, v126 dst_sel:DWORD dst_unused:UNUSED_PAD src0_sel:WORD_0 src1_sel:DWORD
	v_ashrrev_i32_e32 v126, s23, v127
	v_lshlrev_b32_e32 v128, 2, v128
	v_and_b32_e32 v127, 0x3030303, v126
	v_bfe_u32 v126, v126, 24, 2
	v_and_b32_e32 v128, 0x4040404, v128
	v_sub_u16_e32 v129, v127, v128
	v_sub_u16_sdwa v133, v127, v128 dst_sel:BYTE_1 dst_unused:UNUSED_PAD src0_sel:BYTE_1 src1_sel:BYTE_1
	v_sub_u16_sdwa v126, v126, v128 dst_sel:BYTE_1 dst_unused:UNUSED_PAD src0_sel:DWORD src1_sel:BYTE_3
	v_sub_u16_sdwa v127, v127, v128 dst_sel:DWORD dst_unused:UNUSED_PAD src0_sel:WORD_1 src1_sel:WORD_1
	v_or_b32_sdwa v129, v129, v133 dst_sel:DWORD dst_unused:UNUSED_PAD src0_sel:BYTE_0 src1_sel:DWORD
	v_or_b32_sdwa v126, v127, v126 dst_sel:WORD_1 dst_unused:UNUSED_PAD src0_sel:BYTE_0 src1_sel:DWORD
	v_add_u32_e32 v128, 0x4208, v132
	v_or_b32_sdwa v133, v129, v126 dst_sel:DWORD dst_unused:UNUSED_PAD src0_sel:WORD_0 src1_sel:DWORD
	ds_read2_b32 v[126:127], v130 offset0:2 offset1:3
	ds_read2_b32 v[128:129], v128 offset1:1
	s_lshl_b32 s36, s37, 2
	s_add_i32 s2, s2, 2
	v_add_u32_e32 v124, 4, v124
	s_waitcnt lgkmcnt(1)
	v_ashrrev_i32_e32 v126, s23, v126
	s_waitcnt lgkmcnt(0)
	v_ashrrev_i32_e32 v128, s3, v128
	v_lshlrev_b32_e32 v128, 2, v128
	v_and_b32_e32 v134, 0x3030303, v126
	v_bfe_u32 v126, v126, 24, 2
	v_and_b32_e32 v128, 0x4040404, v128
	v_sub_u16_e32 v135, v134, v128
	v_sub_u16_sdwa v136, v134, v128 dst_sel:BYTE_1 dst_unused:UNUSED_PAD src0_sel:BYTE_1 src1_sel:BYTE_1
	v_sub_u16_sdwa v126, v126, v128 dst_sel:BYTE_1 dst_unused:UNUSED_PAD src0_sel:DWORD src1_sel:BYTE_3
	v_sub_u16_sdwa v128, v134, v128 dst_sel:DWORD dst_unused:UNUSED_PAD src0_sel:WORD_1 src1_sel:WORD_1
	v_or_b32_sdwa v135, v135, v136 dst_sel:DWORD dst_unused:UNUSED_PAD src0_sel:BYTE_0 src1_sel:DWORD
	v_or_b32_sdwa v126, v128, v126 dst_sel:WORD_1 dst_unused:UNUSED_PAD src0_sel:BYTE_0 src1_sel:DWORD
	v_ashrrev_i32_e32 v128, s3, v129
	v_or_b32_sdwa v134, v135, v126 dst_sel:DWORD dst_unused:UNUSED_PAD src0_sel:WORD_0 src1_sel:DWORD
	v_ashrrev_i32_e32 v126, s23, v127
	v_lshlrev_b32_e32 v128, 2, v128
	v_and_b32_e32 v127, 0x3030303, v126
	v_bfe_u32 v126, v126, 24, 2
	v_and_b32_e32 v128, 0x4040404, v128
	v_sub_u16_e32 v129, v127, v128
	v_sub_u16_sdwa v135, v127, v128 dst_sel:BYTE_1 dst_unused:UNUSED_PAD src0_sel:BYTE_1 src1_sel:BYTE_1
	v_sub_u16_sdwa v126, v126, v128 dst_sel:BYTE_1 dst_unused:UNUSED_PAD src0_sel:DWORD src1_sel:BYTE_3
	v_sub_u16_sdwa v127, v127, v128 dst_sel:DWORD dst_unused:UNUSED_PAD src0_sel:WORD_1 src1_sel:WORD_1
	v_or_b32_sdwa v129, v129, v135 dst_sel:DWORD dst_unused:UNUSED_PAD src0_sel:BYTE_0 src1_sel:DWORD
	v_or_b32_sdwa v126, v127, v126 dst_sel:WORD_1 dst_unused:UNUSED_PAD src0_sel:BYTE_0 src1_sel:DWORD
	v_add_u32_e32 v128, 0x4210, v132
	v_or_b32_sdwa v135, v129, v126 dst_sel:DWORD dst_unused:UNUSED_PAD src0_sel:WORD_0 src1_sel:DWORD
	ds_read2_b32 v[126:127], v130 offset0:4 offset1:5
	ds_read2_b32 v[128:129], v128 offset1:1
	v_add_u32_e32 v123, 32, v123
	s_waitcnt lgkmcnt(1)
	v_ashrrev_i32_e32 v126, s23, v126
	s_waitcnt lgkmcnt(0)
	v_ashrrev_i32_e32 v128, s3, v128
	v_lshlrev_b32_e32 v128, 2, v128
	v_and_b32_e32 v136, 0x3030303, v126
	v_bfe_u32 v126, v126, 24, 2
	v_and_b32_e32 v128, 0x4040404, v128
	v_sub_u16_e32 v137, v136, v128
	v_sub_u16_sdwa v138, v136, v128 dst_sel:BYTE_1 dst_unused:UNUSED_PAD src0_sel:BYTE_1 src1_sel:BYTE_1
	v_sub_u16_sdwa v126, v126, v128 dst_sel:BYTE_1 dst_unused:UNUSED_PAD src0_sel:DWORD src1_sel:BYTE_3
	v_sub_u16_sdwa v128, v136, v128 dst_sel:DWORD dst_unused:UNUSED_PAD src0_sel:WORD_1 src1_sel:WORD_1
	v_or_b32_sdwa v137, v137, v138 dst_sel:DWORD dst_unused:UNUSED_PAD src0_sel:BYTE_0 src1_sel:DWORD
	v_or_b32_sdwa v126, v128, v126 dst_sel:WORD_1 dst_unused:UNUSED_PAD src0_sel:BYTE_0 src1_sel:DWORD
	v_ashrrev_i32_e32 v128, s3, v129
	v_or_b32_sdwa v136, v137, v126 dst_sel:DWORD dst_unused:UNUSED_PAD src0_sel:WORD_0 src1_sel:DWORD
	v_ashrrev_i32_e32 v126, s23, v127
	v_lshlrev_b32_e32 v128, 2, v128
	v_and_b32_e32 v127, 0x3030303, v126
	v_bfe_u32 v126, v126, 24, 2
	v_and_b32_e32 v128, 0x4040404, v128
	v_sub_u16_e32 v129, v127, v128
	v_sub_u16_sdwa v137, v127, v128 dst_sel:BYTE_1 dst_unused:UNUSED_PAD src0_sel:BYTE_1 src1_sel:BYTE_1
	v_sub_u16_sdwa v126, v126, v128 dst_sel:BYTE_1 dst_unused:UNUSED_PAD src0_sel:DWORD src1_sel:BYTE_3
	v_sub_u16_sdwa v127, v127, v128 dst_sel:DWORD dst_unused:UNUSED_PAD src0_sel:WORD_1 src1_sel:WORD_1
	v_or_b32_sdwa v129, v129, v137 dst_sel:DWORD dst_unused:UNUSED_PAD src0_sel:BYTE_0 src1_sel:DWORD
	v_or_b32_sdwa v126, v127, v126 dst_sel:WORD_1 dst_unused:UNUSED_PAD src0_sel:BYTE_0 src1_sel:DWORD
	v_add_u32_e32 v128, 0x4218, v132
	v_or_b32_sdwa v137, v129, v126 dst_sel:DWORD dst_unused:UNUSED_PAD src0_sel:WORD_0 src1_sel:DWORD
	ds_read2_b32 v[126:127], v130 offset0:6 offset1:7
	ds_read2_b32 v[128:129], v128 offset1:1
	s_waitcnt lgkmcnt(1)
	v_ashrrev_i32_e32 v126, s23, v126
	s_waitcnt lgkmcnt(0)
	v_ashrrev_i32_e32 v128, s3, v128
	v_lshlrev_b32_e32 v128, 2, v128
	v_and_b32_e32 v130, 0x3030303, v126
	v_bfe_u32 v126, v126, 24, 2
	v_and_b32_e32 v128, 0x4040404, v128
	v_sub_u16_e32 v132, v130, v128
	v_sub_u16_sdwa v138, v130, v128 dst_sel:BYTE_1 dst_unused:UNUSED_PAD src0_sel:BYTE_1 src1_sel:BYTE_1
	v_sub_u16_sdwa v126, v126, v128 dst_sel:BYTE_1 dst_unused:UNUSED_PAD src0_sel:DWORD src1_sel:BYTE_3
	v_sub_u16_sdwa v128, v130, v128 dst_sel:DWORD dst_unused:UNUSED_PAD src0_sel:WORD_1 src1_sel:WORD_1
	v_or_b32_sdwa v132, v132, v138 dst_sel:DWORD dst_unused:UNUSED_PAD src0_sel:BYTE_0 src1_sel:DWORD
	v_or_b32_sdwa v126, v128, v126 dst_sel:WORD_1 dst_unused:UNUSED_PAD src0_sel:BYTE_0 src1_sel:DWORD
	v_ashrrev_i32_e32 v129, s3, v129
	v_or_b32_sdwa v128, v132, v126 dst_sel:DWORD dst_unused:UNUSED_PAD src0_sel:WORD_0 src1_sel:DWORD
	v_ashrrev_i32_e32 v126, s23, v127
	v_lshlrev_b32_e32 v129, 2, v129
	v_and_b32_e32 v127, 0x3030303, v126
	v_bfe_u32 v126, v126, 24, 2
	v_and_b32_e32 v129, 0x4040404, v129
	v_sub_u16_e32 v130, v127, v129
	v_sub_u16_sdwa v132, v127, v129 dst_sel:BYTE_1 dst_unused:UNUSED_PAD src0_sel:BYTE_1 src1_sel:BYTE_1
	v_sub_u16_sdwa v126, v126, v129 dst_sel:BYTE_1 dst_unused:UNUSED_PAD src0_sel:DWORD src1_sel:BYTE_3
	v_sub_u16_sdwa v127, v127, v129 dst_sel:DWORD dst_unused:UNUSED_PAD src0_sel:WORD_1 src1_sel:WORD_1
	v_or_b32_sdwa v130, v130, v132 dst_sel:DWORD dst_unused:UNUSED_PAD src0_sel:BYTE_0 src1_sel:DWORD
	v_or_b32_sdwa v126, v127, v126 dst_sel:WORD_1 dst_unused:UNUSED_PAD src0_sel:BYTE_0 src1_sel:DWORD
	v_add_u32_e32 v129, s36, v69
	v_or_b32_sdwa v127, v130, v126 dst_sel:DWORD dst_unused:UNUSED_PAD src0_sel:WORD_0 src1_sel:DWORD
	v_add_u32_e32 v126, s34, v109
	ds_read_b32 v129, v129
	ds_read_u16 v126, v126 offset:25330
	v_mov_b32_e32 v130, 0
	v_dot4c_i32_i8_e32 v130, v131, v6
	v_dot4c_i32_i8_e32 v130, v133, v7
	;; [unrolled: 1-line block ×4, first 2 shown]
	s_waitcnt lgkmcnt(0)
	v_lshrrev_b16_e32 v131, 8, v126
	v_bfe_i32 v126, v126, 0, 8
	v_add_lshl_u32 v132, v71, s33, 2
	v_mul_lo_u32 v126, v130, v126
	v_mov_b32_e32 v130, 0
	v_dot4c_i32_i8_e32 v130, v136, v2
	v_dot4c_i32_i8_e32 v130, v137, v3
	;; [unrolled: 1-line block ×4, first 2 shown]
	v_bfe_i32 v127, v131, 0, 8
	v_add_u32_e32 v128, 0x4200, v132
	s_nop 0
	v_mad_u64_u32 v[126:127], s[38:39], v130, v127, v[126:127]
	v_cvt_f32_i32_e32 v126, v126
	v_mul_f32_e32 v127, v125, v129
	v_add_u32_e32 v130, s35, v75
	ds_read2_b32 v[128:129], v128 offset1:1
	v_fmac_f32_e32 v95, v127, v126
	ds_read2_b32 v[126:127], v130 offset1:1
	s_waitcnt lgkmcnt(1)
	v_ashrrev_i32_e32 v128, s3, v128
	v_lshlrev_b32_e32 v128, 2, v128
	s_waitcnt lgkmcnt(0)
	v_ashrrev_i32_e32 v126, s23, v126
	v_and_b32_e32 v131, 0x3030303, v126
	v_bfe_u32 v126, v126, 24, 2
	v_and_b32_e32 v128, 0x4040404, v128
	v_sub_u16_e32 v133, v131, v128
	v_sub_u16_sdwa v134, v131, v128 dst_sel:BYTE_1 dst_unused:UNUSED_PAD src0_sel:BYTE_1 src1_sel:BYTE_1
	v_sub_u16_sdwa v126, v126, v128 dst_sel:BYTE_1 dst_unused:UNUSED_PAD src0_sel:DWORD src1_sel:BYTE_3
	v_sub_u16_sdwa v128, v131, v128 dst_sel:DWORD dst_unused:UNUSED_PAD src0_sel:WORD_1 src1_sel:WORD_1
	v_or_b32_sdwa v133, v133, v134 dst_sel:DWORD dst_unused:UNUSED_PAD src0_sel:BYTE_0 src1_sel:DWORD
	v_or_b32_sdwa v126, v128, v126 dst_sel:WORD_1 dst_unused:UNUSED_PAD src0_sel:BYTE_0 src1_sel:DWORD
	v_ashrrev_i32_e32 v128, s3, v129
	v_or_b32_sdwa v131, v133, v126 dst_sel:DWORD dst_unused:UNUSED_PAD src0_sel:WORD_0 src1_sel:DWORD
	v_ashrrev_i32_e32 v126, s23, v127
	v_lshlrev_b32_e32 v128, 2, v128
	v_and_b32_e32 v127, 0x3030303, v126
	v_bfe_u32 v126, v126, 24, 2
	v_and_b32_e32 v128, 0x4040404, v128
	v_sub_u16_e32 v129, v127, v128
	v_sub_u16_sdwa v133, v127, v128 dst_sel:BYTE_1 dst_unused:UNUSED_PAD src0_sel:BYTE_1 src1_sel:BYTE_1
	v_sub_u16_sdwa v126, v126, v128 dst_sel:BYTE_1 dst_unused:UNUSED_PAD src0_sel:DWORD src1_sel:BYTE_3
	v_sub_u16_sdwa v127, v127, v128 dst_sel:DWORD dst_unused:UNUSED_PAD src0_sel:WORD_1 src1_sel:WORD_1
	v_or_b32_sdwa v129, v129, v133 dst_sel:DWORD dst_unused:UNUSED_PAD src0_sel:BYTE_0 src1_sel:DWORD
	v_or_b32_sdwa v126, v127, v126 dst_sel:WORD_1 dst_unused:UNUSED_PAD src0_sel:BYTE_0 src1_sel:DWORD
	v_add_u32_e32 v128, 0x4208, v132
	v_or_b32_sdwa v133, v129, v126 dst_sel:DWORD dst_unused:UNUSED_PAD src0_sel:WORD_0 src1_sel:DWORD
	ds_read2_b32 v[126:127], v130 offset0:2 offset1:3
	ds_read2_b32 v[128:129], v128 offset1:1
	s_waitcnt lgkmcnt(1)
	v_ashrrev_i32_e32 v126, s23, v126
	s_waitcnt lgkmcnt(0)
	v_ashrrev_i32_e32 v128, s3, v128
	v_lshlrev_b32_e32 v128, 2, v128
	v_and_b32_e32 v134, 0x3030303, v126
	v_bfe_u32 v126, v126, 24, 2
	v_and_b32_e32 v128, 0x4040404, v128
	v_sub_u16_e32 v135, v134, v128
	v_sub_u16_sdwa v136, v134, v128 dst_sel:BYTE_1 dst_unused:UNUSED_PAD src0_sel:BYTE_1 src1_sel:BYTE_1
	v_sub_u16_sdwa v126, v126, v128 dst_sel:BYTE_1 dst_unused:UNUSED_PAD src0_sel:DWORD src1_sel:BYTE_3
	v_sub_u16_sdwa v128, v134, v128 dst_sel:DWORD dst_unused:UNUSED_PAD src0_sel:WORD_1 src1_sel:WORD_1
	v_or_b32_sdwa v135, v135, v136 dst_sel:DWORD dst_unused:UNUSED_PAD src0_sel:BYTE_0 src1_sel:DWORD
	v_or_b32_sdwa v126, v128, v126 dst_sel:WORD_1 dst_unused:UNUSED_PAD src0_sel:BYTE_0 src1_sel:DWORD
	v_ashrrev_i32_e32 v128, s3, v129
	v_or_b32_sdwa v134, v135, v126 dst_sel:DWORD dst_unused:UNUSED_PAD src0_sel:WORD_0 src1_sel:DWORD
	v_ashrrev_i32_e32 v126, s23, v127
	v_lshlrev_b32_e32 v128, 2, v128
	v_and_b32_e32 v127, 0x3030303, v126
	v_bfe_u32 v126, v126, 24, 2
	v_and_b32_e32 v128, 0x4040404, v128
	v_sub_u16_e32 v129, v127, v128
	v_sub_u16_sdwa v135, v127, v128 dst_sel:BYTE_1 dst_unused:UNUSED_PAD src0_sel:BYTE_1 src1_sel:BYTE_1
	v_sub_u16_sdwa v126, v126, v128 dst_sel:BYTE_1 dst_unused:UNUSED_PAD src0_sel:DWORD src1_sel:BYTE_3
	v_sub_u16_sdwa v127, v127, v128 dst_sel:DWORD dst_unused:UNUSED_PAD src0_sel:WORD_1 src1_sel:WORD_1
	v_or_b32_sdwa v129, v129, v135 dst_sel:DWORD dst_unused:UNUSED_PAD src0_sel:BYTE_0 src1_sel:DWORD
	v_or_b32_sdwa v126, v127, v126 dst_sel:WORD_1 dst_unused:UNUSED_PAD src0_sel:BYTE_0 src1_sel:DWORD
	v_add_u32_e32 v128, 0x4210, v132
	v_or_b32_sdwa v135, v129, v126 dst_sel:DWORD dst_unused:UNUSED_PAD src0_sel:WORD_0 src1_sel:DWORD
	ds_read2_b32 v[126:127], v130 offset0:4 offset1:5
	ds_read2_b32 v[128:129], v128 offset1:1
	s_waitcnt lgkmcnt(1)
	v_ashrrev_i32_e32 v126, s23, v126
	s_waitcnt lgkmcnt(0)
	v_ashrrev_i32_e32 v128, s3, v128
	v_lshlrev_b32_e32 v128, 2, v128
	;; [unrolled: 31-line block ×3, first 2 shown]
	v_and_b32_e32 v130, 0x3030303, v126
	v_bfe_u32 v126, v126, 24, 2
	v_and_b32_e32 v128, 0x4040404, v128
	v_sub_u16_e32 v132, v130, v128
	v_sub_u16_sdwa v138, v130, v128 dst_sel:BYTE_1 dst_unused:UNUSED_PAD src0_sel:BYTE_1 src1_sel:BYTE_1
	v_sub_u16_sdwa v126, v126, v128 dst_sel:BYTE_1 dst_unused:UNUSED_PAD src0_sel:DWORD src1_sel:BYTE_3
	v_sub_u16_sdwa v128, v130, v128 dst_sel:DWORD dst_unused:UNUSED_PAD src0_sel:WORD_1 src1_sel:WORD_1
	v_or_b32_sdwa v132, v132, v138 dst_sel:DWORD dst_unused:UNUSED_PAD src0_sel:BYTE_0 src1_sel:DWORD
	v_or_b32_sdwa v126, v128, v126 dst_sel:WORD_1 dst_unused:UNUSED_PAD src0_sel:BYTE_0 src1_sel:DWORD
	v_ashrrev_i32_e32 v129, s3, v129
	v_or_b32_sdwa v128, v132, v126 dst_sel:DWORD dst_unused:UNUSED_PAD src0_sel:WORD_0 src1_sel:DWORD
	v_ashrrev_i32_e32 v126, s23, v127
	v_lshlrev_b32_e32 v129, 2, v129
	v_and_b32_e32 v127, 0x3030303, v126
	v_bfe_u32 v126, v126, 24, 2
	v_and_b32_e32 v129, 0x4040404, v129
	v_sub_u16_e32 v130, v127, v129
	v_sub_u16_sdwa v132, v127, v129 dst_sel:BYTE_1 dst_unused:UNUSED_PAD src0_sel:BYTE_1 src1_sel:BYTE_1
	v_sub_u16_sdwa v126, v126, v129 dst_sel:BYTE_1 dst_unused:UNUSED_PAD src0_sel:DWORD src1_sel:BYTE_3
	v_sub_u16_sdwa v127, v127, v129 dst_sel:DWORD dst_unused:UNUSED_PAD src0_sel:WORD_1 src1_sel:WORD_1
	v_or_b32_sdwa v130, v130, v132 dst_sel:DWORD dst_unused:UNUSED_PAD src0_sel:BYTE_0 src1_sel:DWORD
	v_or_b32_sdwa v126, v127, v126 dst_sel:WORD_1 dst_unused:UNUSED_PAD src0_sel:BYTE_0 src1_sel:DWORD
	v_add_u32_e32 v129, s36, v77
	v_or_b32_sdwa v127, v130, v126 dst_sel:DWORD dst_unused:UNUSED_PAD src0_sel:WORD_0 src1_sel:DWORD
	v_add_u32_e32 v126, s34, v108
	ds_read_b32 v129, v129
	ds_read_u16 v126, v126 offset:26354
	v_mov_b32_e32 v130, 0
	v_dot4c_i32_i8_e32 v130, v131, v6
	v_dot4c_i32_i8_e32 v130, v133, v7
	;; [unrolled: 1-line block ×4, first 2 shown]
	s_waitcnt lgkmcnt(0)
	v_lshrrev_b16_e32 v131, 8, v126
	v_bfe_i32 v126, v126, 0, 8
	v_add_lshl_u32 v132, v79, s33, 2
	v_mul_lo_u32 v126, v130, v126
	v_mov_b32_e32 v130, 0
	v_dot4c_i32_i8_e32 v130, v136, v2
	v_dot4c_i32_i8_e32 v130, v137, v3
	;; [unrolled: 1-line block ×4, first 2 shown]
	v_bfe_i32 v127, v131, 0, 8
	v_add_u32_e32 v128, 0x4200, v132
	s_nop 0
	v_mad_u64_u32 v[126:127], s[38:39], v130, v127, v[126:127]
	v_cvt_f32_i32_e32 v126, v126
	v_mul_f32_e32 v127, v125, v129
	v_add_u32_e32 v130, s35, v81
	ds_read2_b32 v[128:129], v128 offset1:1
	v_fmac_f32_e32 v94, v127, v126
	ds_read2_b32 v[126:127], v130 offset1:1
	s_waitcnt lgkmcnt(1)
	v_ashrrev_i32_e32 v128, s3, v128
	v_lshlrev_b32_e32 v128, 2, v128
	s_waitcnt lgkmcnt(0)
	v_ashrrev_i32_e32 v126, s23, v126
	v_and_b32_e32 v131, 0x3030303, v126
	v_bfe_u32 v126, v126, 24, 2
	v_and_b32_e32 v128, 0x4040404, v128
	v_sub_u16_e32 v133, v131, v128
	v_sub_u16_sdwa v134, v131, v128 dst_sel:BYTE_1 dst_unused:UNUSED_PAD src0_sel:BYTE_1 src1_sel:BYTE_1
	v_sub_u16_sdwa v126, v126, v128 dst_sel:BYTE_1 dst_unused:UNUSED_PAD src0_sel:DWORD src1_sel:BYTE_3
	v_sub_u16_sdwa v128, v131, v128 dst_sel:DWORD dst_unused:UNUSED_PAD src0_sel:WORD_1 src1_sel:WORD_1
	v_or_b32_sdwa v133, v133, v134 dst_sel:DWORD dst_unused:UNUSED_PAD src0_sel:BYTE_0 src1_sel:DWORD
	v_or_b32_sdwa v126, v128, v126 dst_sel:WORD_1 dst_unused:UNUSED_PAD src0_sel:BYTE_0 src1_sel:DWORD
	v_ashrrev_i32_e32 v128, s3, v129
	v_or_b32_sdwa v131, v133, v126 dst_sel:DWORD dst_unused:UNUSED_PAD src0_sel:WORD_0 src1_sel:DWORD
	v_ashrrev_i32_e32 v126, s23, v127
	v_lshlrev_b32_e32 v128, 2, v128
	v_and_b32_e32 v127, 0x3030303, v126
	v_bfe_u32 v126, v126, 24, 2
	v_and_b32_e32 v128, 0x4040404, v128
	v_sub_u16_e32 v129, v127, v128
	v_sub_u16_sdwa v133, v127, v128 dst_sel:BYTE_1 dst_unused:UNUSED_PAD src0_sel:BYTE_1 src1_sel:BYTE_1
	v_sub_u16_sdwa v126, v126, v128 dst_sel:BYTE_1 dst_unused:UNUSED_PAD src0_sel:DWORD src1_sel:BYTE_3
	v_sub_u16_sdwa v127, v127, v128 dst_sel:DWORD dst_unused:UNUSED_PAD src0_sel:WORD_1 src1_sel:WORD_1
	v_or_b32_sdwa v129, v129, v133 dst_sel:DWORD dst_unused:UNUSED_PAD src0_sel:BYTE_0 src1_sel:DWORD
	v_or_b32_sdwa v126, v127, v126 dst_sel:WORD_1 dst_unused:UNUSED_PAD src0_sel:BYTE_0 src1_sel:DWORD
	v_add_u32_e32 v128, 0x4208, v132
	v_or_b32_sdwa v133, v129, v126 dst_sel:DWORD dst_unused:UNUSED_PAD src0_sel:WORD_0 src1_sel:DWORD
	ds_read2_b32 v[126:127], v130 offset0:2 offset1:3
	ds_read2_b32 v[128:129], v128 offset1:1
	s_waitcnt lgkmcnt(1)
	v_ashrrev_i32_e32 v126, s23, v126
	s_waitcnt lgkmcnt(0)
	v_ashrrev_i32_e32 v128, s3, v128
	v_lshlrev_b32_e32 v128, 2, v128
	v_and_b32_e32 v134, 0x3030303, v126
	v_bfe_u32 v126, v126, 24, 2
	v_and_b32_e32 v128, 0x4040404, v128
	v_sub_u16_e32 v135, v134, v128
	v_sub_u16_sdwa v136, v134, v128 dst_sel:BYTE_1 dst_unused:UNUSED_PAD src0_sel:BYTE_1 src1_sel:BYTE_1
	v_sub_u16_sdwa v126, v126, v128 dst_sel:BYTE_1 dst_unused:UNUSED_PAD src0_sel:DWORD src1_sel:BYTE_3
	v_sub_u16_sdwa v128, v134, v128 dst_sel:DWORD dst_unused:UNUSED_PAD src0_sel:WORD_1 src1_sel:WORD_1
	v_or_b32_sdwa v135, v135, v136 dst_sel:DWORD dst_unused:UNUSED_PAD src0_sel:BYTE_0 src1_sel:DWORD
	v_or_b32_sdwa v126, v128, v126 dst_sel:WORD_1 dst_unused:UNUSED_PAD src0_sel:BYTE_0 src1_sel:DWORD
	v_ashrrev_i32_e32 v128, s3, v129
	v_or_b32_sdwa v134, v135, v126 dst_sel:DWORD dst_unused:UNUSED_PAD src0_sel:WORD_0 src1_sel:DWORD
	v_ashrrev_i32_e32 v126, s23, v127
	v_lshlrev_b32_e32 v128, 2, v128
	v_and_b32_e32 v127, 0x3030303, v126
	v_bfe_u32 v126, v126, 24, 2
	v_and_b32_e32 v128, 0x4040404, v128
	v_sub_u16_e32 v129, v127, v128
	v_sub_u16_sdwa v135, v127, v128 dst_sel:BYTE_1 dst_unused:UNUSED_PAD src0_sel:BYTE_1 src1_sel:BYTE_1
	v_sub_u16_sdwa v126, v126, v128 dst_sel:BYTE_1 dst_unused:UNUSED_PAD src0_sel:DWORD src1_sel:BYTE_3
	v_sub_u16_sdwa v127, v127, v128 dst_sel:DWORD dst_unused:UNUSED_PAD src0_sel:WORD_1 src1_sel:WORD_1
	v_or_b32_sdwa v129, v129, v135 dst_sel:DWORD dst_unused:UNUSED_PAD src0_sel:BYTE_0 src1_sel:DWORD
	v_or_b32_sdwa v126, v127, v126 dst_sel:WORD_1 dst_unused:UNUSED_PAD src0_sel:BYTE_0 src1_sel:DWORD
	v_add_u32_e32 v128, 0x4210, v132
	v_or_b32_sdwa v135, v129, v126 dst_sel:DWORD dst_unused:UNUSED_PAD src0_sel:WORD_0 src1_sel:DWORD
	ds_read2_b32 v[126:127], v130 offset0:4 offset1:5
	ds_read2_b32 v[128:129], v128 offset1:1
	s_waitcnt lgkmcnt(1)
	v_ashrrev_i32_e32 v126, s23, v126
	s_waitcnt lgkmcnt(0)
	v_ashrrev_i32_e32 v128, s3, v128
	v_lshlrev_b32_e32 v128, 2, v128
	;; [unrolled: 31-line block ×3, first 2 shown]
	v_and_b32_e32 v130, 0x3030303, v126
	v_bfe_u32 v126, v126, 24, 2
	v_and_b32_e32 v128, 0x4040404, v128
	v_sub_u16_e32 v132, v130, v128
	v_sub_u16_sdwa v138, v130, v128 dst_sel:BYTE_1 dst_unused:UNUSED_PAD src0_sel:BYTE_1 src1_sel:BYTE_1
	v_sub_u16_sdwa v126, v126, v128 dst_sel:BYTE_1 dst_unused:UNUSED_PAD src0_sel:DWORD src1_sel:BYTE_3
	v_sub_u16_sdwa v128, v130, v128 dst_sel:DWORD dst_unused:UNUSED_PAD src0_sel:WORD_1 src1_sel:WORD_1
	v_or_b32_sdwa v132, v132, v138 dst_sel:DWORD dst_unused:UNUSED_PAD src0_sel:BYTE_0 src1_sel:DWORD
	v_or_b32_sdwa v126, v128, v126 dst_sel:WORD_1 dst_unused:UNUSED_PAD src0_sel:BYTE_0 src1_sel:DWORD
	v_ashrrev_i32_e32 v129, s3, v129
	v_or_b32_sdwa v128, v132, v126 dst_sel:DWORD dst_unused:UNUSED_PAD src0_sel:WORD_0 src1_sel:DWORD
	v_ashrrev_i32_e32 v126, s23, v127
	v_lshlrev_b32_e32 v129, 2, v129
	v_and_b32_e32 v127, 0x3030303, v126
	v_bfe_u32 v126, v126, 24, 2
	v_and_b32_e32 v129, 0x4040404, v129
	v_sub_u16_e32 v130, v127, v129
	v_sub_u16_sdwa v132, v127, v129 dst_sel:BYTE_1 dst_unused:UNUSED_PAD src0_sel:BYTE_1 src1_sel:BYTE_1
	v_sub_u16_sdwa v126, v126, v129 dst_sel:BYTE_1 dst_unused:UNUSED_PAD src0_sel:DWORD src1_sel:BYTE_3
	v_sub_u16_sdwa v127, v127, v129 dst_sel:DWORD dst_unused:UNUSED_PAD src0_sel:WORD_1 src1_sel:WORD_1
	v_or_b32_sdwa v130, v130, v132 dst_sel:DWORD dst_unused:UNUSED_PAD src0_sel:BYTE_0 src1_sel:DWORD
	v_or_b32_sdwa v126, v127, v126 dst_sel:WORD_1 dst_unused:UNUSED_PAD src0_sel:BYTE_0 src1_sel:DWORD
	v_add_u32_e32 v129, s36, v86
	v_or_b32_sdwa v127, v130, v126 dst_sel:DWORD dst_unused:UNUSED_PAD src0_sel:WORD_0 src1_sel:DWORD
	v_add_u32_e32 v126, s34, v107
	ds_read_b32 v129, v129
	ds_read_u16 v126, v126 offset:27378
	v_mov_b32_e32 v130, 0
	v_dot4c_i32_i8_e32 v130, v131, v6
	v_dot4c_i32_i8_e32 v130, v133, v7
	;; [unrolled: 1-line block ×4, first 2 shown]
	s_waitcnt lgkmcnt(0)
	v_lshrrev_b16_e32 v131, 8, v126
	v_bfe_i32 v126, v126, 0, 8
	v_add_lshl_u32 v132, v87, s33, 2
	v_mul_lo_u32 v126, v130, v126
	v_mov_b32_e32 v130, 0
	v_dot4c_i32_i8_e32 v130, v136, v2
	v_dot4c_i32_i8_e32 v130, v137, v3
	;; [unrolled: 1-line block ×4, first 2 shown]
	v_bfe_i32 v127, v131, 0, 8
	v_add_u32_e32 v128, 0x4200, v132
	s_nop 0
	v_mad_u64_u32 v[126:127], s[38:39], v130, v127, v[126:127]
	v_cvt_f32_i32_e32 v126, v126
	v_mul_f32_e32 v127, v125, v129
	v_add_u32_e32 v130, s35, v88
	ds_read2_b32 v[128:129], v128 offset1:1
	v_fmac_f32_e32 v89, v127, v126
	ds_read2_b32 v[126:127], v130 offset1:1
	s_waitcnt lgkmcnt(1)
	v_ashrrev_i32_e32 v128, s3, v128
	v_lshlrev_b32_e32 v128, 2, v128
	s_waitcnt lgkmcnt(0)
	v_ashrrev_i32_e32 v126, s23, v126
	v_and_b32_e32 v131, 0x3030303, v126
	v_bfe_u32 v126, v126, 24, 2
	v_and_b32_e32 v128, 0x4040404, v128
	v_sub_u16_e32 v133, v131, v128
	v_sub_u16_sdwa v134, v131, v128 dst_sel:BYTE_1 dst_unused:UNUSED_PAD src0_sel:BYTE_1 src1_sel:BYTE_1
	v_sub_u16_sdwa v126, v126, v128 dst_sel:BYTE_1 dst_unused:UNUSED_PAD src0_sel:DWORD src1_sel:BYTE_3
	v_sub_u16_sdwa v128, v131, v128 dst_sel:DWORD dst_unused:UNUSED_PAD src0_sel:WORD_1 src1_sel:WORD_1
	v_or_b32_sdwa v133, v133, v134 dst_sel:DWORD dst_unused:UNUSED_PAD src0_sel:BYTE_0 src1_sel:DWORD
	v_or_b32_sdwa v126, v128, v126 dst_sel:WORD_1 dst_unused:UNUSED_PAD src0_sel:BYTE_0 src1_sel:DWORD
	v_ashrrev_i32_e32 v128, s3, v129
	v_or_b32_sdwa v131, v133, v126 dst_sel:DWORD dst_unused:UNUSED_PAD src0_sel:WORD_0 src1_sel:DWORD
	v_ashrrev_i32_e32 v126, s23, v127
	v_lshlrev_b32_e32 v128, 2, v128
	v_and_b32_e32 v127, 0x3030303, v126
	v_bfe_u32 v126, v126, 24, 2
	v_and_b32_e32 v128, 0x4040404, v128
	v_sub_u16_e32 v129, v127, v128
	v_sub_u16_sdwa v133, v127, v128 dst_sel:BYTE_1 dst_unused:UNUSED_PAD src0_sel:BYTE_1 src1_sel:BYTE_1
	v_sub_u16_sdwa v126, v126, v128 dst_sel:BYTE_1 dst_unused:UNUSED_PAD src0_sel:DWORD src1_sel:BYTE_3
	v_sub_u16_sdwa v127, v127, v128 dst_sel:DWORD dst_unused:UNUSED_PAD src0_sel:WORD_1 src1_sel:WORD_1
	v_or_b32_sdwa v129, v129, v133 dst_sel:DWORD dst_unused:UNUSED_PAD src0_sel:BYTE_0 src1_sel:DWORD
	v_or_b32_sdwa v126, v127, v126 dst_sel:WORD_1 dst_unused:UNUSED_PAD src0_sel:BYTE_0 src1_sel:DWORD
	v_add_u32_e32 v128, 0x4208, v132
	v_or_b32_sdwa v133, v129, v126 dst_sel:DWORD dst_unused:UNUSED_PAD src0_sel:WORD_0 src1_sel:DWORD
	ds_read2_b32 v[126:127], v130 offset0:2 offset1:3
	ds_read2_b32 v[128:129], v128 offset1:1
	s_waitcnt lgkmcnt(1)
	v_ashrrev_i32_e32 v126, s23, v126
	s_waitcnt lgkmcnt(0)
	v_ashrrev_i32_e32 v128, s3, v128
	v_lshlrev_b32_e32 v128, 2, v128
	v_and_b32_e32 v134, 0x3030303, v126
	v_bfe_u32 v126, v126, 24, 2
	v_and_b32_e32 v128, 0x4040404, v128
	v_sub_u16_e32 v135, v134, v128
	v_sub_u16_sdwa v136, v134, v128 dst_sel:BYTE_1 dst_unused:UNUSED_PAD src0_sel:BYTE_1 src1_sel:BYTE_1
	v_sub_u16_sdwa v126, v126, v128 dst_sel:BYTE_1 dst_unused:UNUSED_PAD src0_sel:DWORD src1_sel:BYTE_3
	v_sub_u16_sdwa v128, v134, v128 dst_sel:DWORD dst_unused:UNUSED_PAD src0_sel:WORD_1 src1_sel:WORD_1
	v_or_b32_sdwa v135, v135, v136 dst_sel:DWORD dst_unused:UNUSED_PAD src0_sel:BYTE_0 src1_sel:DWORD
	v_or_b32_sdwa v126, v128, v126 dst_sel:WORD_1 dst_unused:UNUSED_PAD src0_sel:BYTE_0 src1_sel:DWORD
	v_ashrrev_i32_e32 v128, s3, v129
	v_or_b32_sdwa v134, v135, v126 dst_sel:DWORD dst_unused:UNUSED_PAD src0_sel:WORD_0 src1_sel:DWORD
	v_ashrrev_i32_e32 v126, s23, v127
	v_lshlrev_b32_e32 v128, 2, v128
	v_and_b32_e32 v127, 0x3030303, v126
	v_bfe_u32 v126, v126, 24, 2
	v_and_b32_e32 v128, 0x4040404, v128
	v_sub_u16_e32 v129, v127, v128
	v_sub_u16_sdwa v135, v127, v128 dst_sel:BYTE_1 dst_unused:UNUSED_PAD src0_sel:BYTE_1 src1_sel:BYTE_1
	v_sub_u16_sdwa v126, v126, v128 dst_sel:BYTE_1 dst_unused:UNUSED_PAD src0_sel:DWORD src1_sel:BYTE_3
	v_sub_u16_sdwa v127, v127, v128 dst_sel:DWORD dst_unused:UNUSED_PAD src0_sel:WORD_1 src1_sel:WORD_1
	v_or_b32_sdwa v129, v129, v135 dst_sel:DWORD dst_unused:UNUSED_PAD src0_sel:BYTE_0 src1_sel:DWORD
	v_or_b32_sdwa v126, v127, v126 dst_sel:WORD_1 dst_unused:UNUSED_PAD src0_sel:BYTE_0 src1_sel:DWORD
	v_add_u32_e32 v128, 0x4210, v132
	v_or_b32_sdwa v135, v129, v126 dst_sel:DWORD dst_unused:UNUSED_PAD src0_sel:WORD_0 src1_sel:DWORD
	ds_read2_b32 v[126:127], v130 offset0:4 offset1:5
	ds_read2_b32 v[128:129], v128 offset1:1
	s_waitcnt lgkmcnt(1)
	v_ashrrev_i32_e32 v126, s23, v126
	s_waitcnt lgkmcnt(0)
	v_ashrrev_i32_e32 v128, s3, v128
	v_lshlrev_b32_e32 v128, 2, v128
	;; [unrolled: 31-line block ×3, first 2 shown]
	v_and_b32_e32 v130, 0x3030303, v126
	v_bfe_u32 v126, v126, 24, 2
	v_and_b32_e32 v128, 0x4040404, v128
	v_ashrrev_i32_e32 v129, s3, v129
	v_sub_u16_e32 v132, v130, v128
	v_sub_u16_sdwa v138, v130, v128 dst_sel:BYTE_1 dst_unused:UNUSED_PAD src0_sel:BYTE_1 src1_sel:BYTE_1
	v_sub_u16_sdwa v126, v126, v128 dst_sel:BYTE_1 dst_unused:UNUSED_PAD src0_sel:DWORD src1_sel:BYTE_3
	v_sub_u16_sdwa v128, v130, v128 dst_sel:DWORD dst_unused:UNUSED_PAD src0_sel:WORD_1 src1_sel:WORD_1
	v_ashrrev_i32_e32 v127, s23, v127
	v_lshlrev_b32_e32 v129, 2, v129
	v_or_b32_sdwa v132, v132, v138 dst_sel:DWORD dst_unused:UNUSED_PAD src0_sel:BYTE_0 src1_sel:DWORD
	v_or_b32_sdwa v126, v128, v126 dst_sel:WORD_1 dst_unused:UNUSED_PAD src0_sel:BYTE_0 src1_sel:DWORD
	v_and_b32_e32 v128, 0x3030303, v127
	v_bfe_u32 v127, v127, 24, 2
	v_and_b32_e32 v129, 0x4040404, v129
	v_or_b32_sdwa v126, v132, v126 dst_sel:DWORD dst_unused:UNUSED_PAD src0_sel:WORD_0 src1_sel:DWORD
	v_sub_u16_e32 v130, v128, v129
	v_sub_u16_sdwa v132, v128, v129 dst_sel:BYTE_1 dst_unused:UNUSED_PAD src0_sel:BYTE_1 src1_sel:BYTE_1
	v_sub_u16_sdwa v127, v127, v129 dst_sel:BYTE_1 dst_unused:UNUSED_PAD src0_sel:DWORD src1_sel:BYTE_3
	v_sub_u16_sdwa v128, v128, v129 dst_sel:DWORD dst_unused:UNUSED_PAD src0_sel:WORD_1 src1_sel:WORD_1
	v_or_b32_sdwa v130, v130, v132 dst_sel:DWORD dst_unused:UNUSED_PAD src0_sel:BYTE_0 src1_sel:DWORD
	v_or_b32_sdwa v127, v128, v127 dst_sel:WORD_1 dst_unused:UNUSED_PAD src0_sel:BYTE_0 src1_sel:DWORD
	v_add_u32_e32 v128, s34, v106
	v_or_b32_sdwa v127, v130, v127 dst_sel:DWORD dst_unused:UNUSED_PAD src0_sel:WORD_0 src1_sel:DWORD
	v_add_u32_e32 v129, s36, v90
	v_mov_b32_e32 v130, 0
	ds_read_b32 v129, v129
	v_dot4c_i32_i8_e32 v130, v131, v6
	ds_read_u16 v6, v128 offset:28402
	v_dot4c_i32_i8_e32 v130, v133, v7
	v_dot4c_i32_i8_e32 v130, v134, v8
	v_mov_b32_e32 v8, 0
	v_dot4c_i32_i8_e32 v8, v136, v2
	v_dot4c_i32_i8_e32 v8, v137, v3
	;; [unrolled: 1-line block ×3, first 2 shown]
	s_waitcnt lgkmcnt(0)
	v_lshrrev_b16_e32 v7, 8, v6
	v_bfe_i32 v6, v6, 0, 8
	v_dot4c_i32_i8_e32 v8, v126, v4
	v_mul_lo_u32 v6, v130, v6
	v_dot4c_i32_i8_e32 v8, v127, v5
	v_bfe_i32 v2, v7, 0, 8
	s_add_i32 s3, s3, 1
	s_cmp_lt_u32 s22, 30
	v_mad_u64_u32 v[2:3], s[34:35], v8, v2, v[6:7]
	v_cvt_f32_i32_e32 v2, v2
	v_mul_f32_e32 v3, v125, v129
	s_mov_b32 s34, s22
	v_fmac_f32_e32 v11, v3, v2
	s_cbranch_scc1 .LBB229_36
; %bb.37:                               ;   in Loop: Header=BB229_5 Depth=1
	s_barrier
	s_branch .LBB229_4
.LBB229_38:
	v_mov_b32_e32 v89, 0
	v_mov_b32_e32 v94, 0
	;; [unrolled: 1-line block ×3, first 2 shown]
.LBB229_39:
	s_mul_i32 s0, s7, s4
	s_waitcnt vmcnt(0)
	v_cmp_gt_i32_e32 vcc, s0, v1
	s_and_saveexec_b64 s[0:1], vcc
	s_cbranch_execz .LBB229_48
; %bb.40:
	v_and_b32_e32 v0, 0x3ff, v0
	v_add_u32_e32 v2, s24, v0
	v_mul_lo_u32 v0, v1, s6
	v_cmp_gt_u32_e32 vcc, s6, v2
	s_and_saveexec_b64 s[0:1], vcc
	s_cbranch_execz .LBB229_42
; %bb.41:
	v_bfe_u32 v1, v95, 16, 1
	s_movk_i32 s2, 0x7fff
	v_add3_u32 v1, v95, v1, s2
	v_lshrrev_b32_e32 v1, 16, v1
	v_mov_b32_e32 v3, 0x7fc0
	v_cmp_o_f32_e32 vcc, v95, v95
	v_add_u32_e32 v4, v0, v2
	v_mov_b32_e32 v5, 0
	v_cndmask_b32_e32 v1, v3, v1, vcc
	v_lshl_add_u64 v[4:5], v[4:5], 1, s[12:13]
	global_store_short v[4:5], v1, off
.LBB229_42:
	s_or_b64 exec, exec, s[0:1]
	v_add_u32_e32 v1, 32, v2
	v_cmp_gt_u32_e32 vcc, s6, v1
	s_and_saveexec_b64 s[0:1], vcc
	s_cbranch_execz .LBB229_44
; %bb.43:
	v_bfe_u32 v3, v94, 16, 1
	s_movk_i32 s2, 0x7fff
	v_add3_u32 v3, v94, v3, s2
	v_lshrrev_b32_e32 v3, 16, v3
	v_mov_b32_e32 v4, 0x7fc0
	v_cmp_o_f32_e32 vcc, v94, v94
	v_mov_b32_e32 v5, 0
	s_nop 0
	v_cndmask_b32_e32 v3, v4, v3, vcc
	v_add_u32_e32 v4, v0, v1
	v_lshl_add_u64 v[4:5], v[4:5], 1, s[12:13]
	global_store_short v[4:5], v3, off
.LBB229_44:
	s_or_b64 exec, exec, s[0:1]
	v_add_u32_e32 v1, 64, v2
	v_cmp_gt_u32_e32 vcc, s6, v1
	s_and_saveexec_b64 s[0:1], vcc
	s_cbranch_execz .LBB229_46
; %bb.45:
	v_bfe_u32 v3, v89, 16, 1
	s_movk_i32 s2, 0x7fff
	v_add3_u32 v3, v89, v3, s2
	v_lshrrev_b32_e32 v3, 16, v3
	v_mov_b32_e32 v4, 0x7fc0
	v_cmp_o_f32_e32 vcc, v89, v89
	v_mov_b32_e32 v5, 0
	s_nop 0
	v_cndmask_b32_e32 v3, v4, v3, vcc
	v_add_u32_e32 v4, v0, v1
	v_lshl_add_u64 v[4:5], v[4:5], 1, s[12:13]
	global_store_short v[4:5], v3, off
.LBB229_46:
	s_or_b64 exec, exec, s[0:1]
	v_add_u32_e32 v1, 0x60, v2
	v_cmp_gt_u32_e32 vcc, s6, v1
	s_and_b64 exec, exec, vcc
	s_cbranch_execz .LBB229_48
; %bb.47:
	v_bfe_u32 v2, v11, 16, 1
	s_movk_i32 s0, 0x7fff
	v_add3_u32 v2, v11, v2, s0
	v_lshrrev_b32_e32 v2, 16, v2
	v_mov_b32_e32 v3, 0x7fc0
	v_cmp_o_f32_e32 vcc, v11, v11
	v_add_u32_e32 v0, v0, v1
	v_mov_b32_e32 v1, 0
	v_cndmask_b32_e32 v2, v3, v2, vcc
	v_lshl_add_u64 v[0:1], v[0:1], 1, s[12:13]
	global_store_short v[0:1], v2, off
.LBB229_48:
	s_endpgm
	.section	.rodata,"a",@progbits
	.p2align	6, 0x0
	.amdhsa_kernel _ZL8moe_q3_KIN3c108BFloat16ELb0EEvPKvS3_PT_PKiS7_S7_iiiiiii
		.amdhsa_group_segment_fixed_size 31776
		.amdhsa_private_segment_fixed_size 0
		.amdhsa_kernarg_size 76
		.amdhsa_user_sgpr_count 2
		.amdhsa_user_sgpr_dispatch_ptr 0
		.amdhsa_user_sgpr_queue_ptr 0
		.amdhsa_user_sgpr_kernarg_segment_ptr 1
		.amdhsa_user_sgpr_dispatch_id 0
		.amdhsa_user_sgpr_kernarg_preload_length 0
		.amdhsa_user_sgpr_kernarg_preload_offset 0
		.amdhsa_user_sgpr_private_segment_size 0
		.amdhsa_uses_dynamic_stack 0
		.amdhsa_enable_private_segment 0
		.amdhsa_system_sgpr_workgroup_id_x 1
		.amdhsa_system_sgpr_workgroup_id_y 1
		.amdhsa_system_sgpr_workgroup_id_z 0
		.amdhsa_system_sgpr_workgroup_info 0
		.amdhsa_system_vgpr_workitem_id 1
		.amdhsa_next_free_vgpr 153
		.amdhsa_next_free_sgpr 42
		.amdhsa_accum_offset 156
		.amdhsa_reserve_vcc 1
		.amdhsa_float_round_mode_32 0
		.amdhsa_float_round_mode_16_64 0
		.amdhsa_float_denorm_mode_32 3
		.amdhsa_float_denorm_mode_16_64 3
		.amdhsa_dx10_clamp 1
		.amdhsa_ieee_mode 1
		.amdhsa_fp16_overflow 0
		.amdhsa_tg_split 0
		.amdhsa_exception_fp_ieee_invalid_op 0
		.amdhsa_exception_fp_denorm_src 0
		.amdhsa_exception_fp_ieee_div_zero 0
		.amdhsa_exception_fp_ieee_overflow 0
		.amdhsa_exception_fp_ieee_underflow 0
		.amdhsa_exception_fp_ieee_inexact 0
		.amdhsa_exception_int_div_zero 0
	.end_amdhsa_kernel
	.section	.text._ZL8moe_q3_KIN3c108BFloat16ELb0EEvPKvS3_PT_PKiS7_S7_iiiiiii,"axG",@progbits,_ZL8moe_q3_KIN3c108BFloat16ELb0EEvPKvS3_PT_PKiS7_S7_iiiiiii,comdat
.Lfunc_end229:
	.size	_ZL8moe_q3_KIN3c108BFloat16ELb0EEvPKvS3_PT_PKiS7_S7_iiiiiii, .Lfunc_end229-_ZL8moe_q3_KIN3c108BFloat16ELb0EEvPKvS3_PT_PKiS7_S7_iiiiiii
                                        ; -- End function
	.section	.AMDGPU.csdata,"",@progbits
; Kernel info:
; codeLenInByte = 20184
; NumSgprs: 48
; NumVgprs: 153
; NumAgprs: 0
; TotalNumVgprs: 153
; ScratchSize: 0
; MemoryBound: 0
; FloatMode: 240
; IeeeMode: 1
; LDSByteSize: 31776 bytes/workgroup (compile time only)
; SGPRBlocks: 5
; VGPRBlocks: 19
; NumSGPRsForWavesPerEU: 48
; NumVGPRsForWavesPerEU: 153
; AccumOffset: 156
; Occupancy: 2
; WaveLimiterHint : 1
; COMPUTE_PGM_RSRC2:SCRATCH_EN: 0
; COMPUTE_PGM_RSRC2:USER_SGPR: 2
; COMPUTE_PGM_RSRC2:TRAP_HANDLER: 0
; COMPUTE_PGM_RSRC2:TGID_X_EN: 1
; COMPUTE_PGM_RSRC2:TGID_Y_EN: 1
; COMPUTE_PGM_RSRC2:TGID_Z_EN: 0
; COMPUTE_PGM_RSRC2:TIDIG_COMP_CNT: 1
; COMPUTE_PGM_RSRC3_GFX90A:ACCUM_OFFSET: 38
; COMPUTE_PGM_RSRC3_GFX90A:TG_SPLIT: 0
	.section	.text._ZL8moe_q3_KIN3c108BFloat16ELb1EEvPKvS3_PT_PKiS7_S7_iiiiiii,"axG",@progbits,_ZL8moe_q3_KIN3c108BFloat16ELb1EEvPKvS3_PT_PKiS7_S7_iiiiiii,comdat
	.globl	_ZL8moe_q3_KIN3c108BFloat16ELb1EEvPKvS3_PT_PKiS7_S7_iiiiiii ; -- Begin function _ZL8moe_q3_KIN3c108BFloat16ELb1EEvPKvS3_PT_PKiS7_S7_iiiiiii
	.p2align	8
	.type	_ZL8moe_q3_KIN3c108BFloat16ELb1EEvPKvS3_PT_PKiS7_S7_iiiiiii,@function
_ZL8moe_q3_KIN3c108BFloat16ELb1EEvPKvS3_PT_PKiS7_S7_iiiiiii: ; @_ZL8moe_q3_KIN3c108BFloat16ELb1EEvPKvS3_PT_PKiS7_S7_iiiiiii
; %bb.0:
	s_load_dwordx4 s[4:7], s[0:1], 0x18
	s_mov_b32 s8, s3
	s_mov_b32 s9, 0
	s_lshl_b64 s[10:11], s[8:9], 2
	s_waitcnt lgkmcnt(0)
	s_add_u32 s6, s6, s10
	s_addc_u32 s7, s7, s11
	s_load_dword s3, s[6:7], 0x0
	s_waitcnt lgkmcnt(0)
	s_cmpk_gt_u32 s3, 0xff
	s_cbranch_scc1 .LBB230_48
; %bb.1:
	s_load_dwordx2 s[6:7], s[0:1], 0x28
	s_waitcnt lgkmcnt(0)
	s_load_dword s7, s[6:7], 0x0
	s_lshl_b32 s6, s8, 3
	s_waitcnt lgkmcnt(0)
	s_cmp_gt_u32 s6, s7
	s_cbranch_scc1 .LBB230_48
; %bb.2:
	v_bfe_u32 v2, v0, 10, 10
	v_mov_b32_e32 v4, s4
	v_mov_b32_e32 v5, s5
	v_add_u32_e32 v10, s6, v2
	v_mov_b32_e32 v11, 0
	v_lshl_add_u64 v[4:5], v[10:11], 2, v[4:5]
	global_load_dword v1, v[4:5], off
	s_load_dwordx8 s[4:11], s[0:1], 0x30
	s_load_dwordx2 s[16:17], s[0:1], 0x10
	s_waitcnt lgkmcnt(0)
	s_lshl_b32 s11, s2, 7
	s_mov_b32 s26, 0
	s_cmpk_lt_i32 s5, 0x100
	s_cbranch_scc1 .LBB230_38
; %bb.3:
	s_load_dwordx4 s[12:15], s[0:1], 0x0
	s_ashr_i32 s0, s5, 31
	s_lshr_b32 s0, s0, 24
	s_add_i32 s0, s5, s0
	s_ashr_i32 s27, s0, 8
	s_ashr_i32 s0, s8, 31
	s_lshr_b32 s0, s0, 27
	s_add_i32 s0, s8, s0
	s_mul_i32 s3, s3, s4
	s_ashr_i32 s8, s0, 5
	s_ashr_i32 s0, s3, 31
	s_waitcnt lgkmcnt(0)
	s_add_u32 s1, s12, s3
	s_mul_i32 s2, s27, s11
	s_addc_u32 s0, s13, s0
	s_mul_hi_i32 s3, s2, 0x6e
	s_mulk_i32 s2, 0x6e
	s_add_u32 s28, s1, s2
	s_addc_u32 s29, s0, s3
	s_not_b32 s1, s11
	s_add_i32 s1, s1, s6
	v_and_b32_e32 v15, 0x3ff, v0
	v_min_i32_e32 v5, s1, v2
	v_lshlrev_b32_e32 v4, 2, v15
	s_movk_i32 s0, 0x84
	v_mul_lo_u32 v14, v5, s27
	v_mad_u64_u32 v[16:17], s[2:3], v5, s0, v[4:5]
	v_add_u32_e32 v5, 8, v2
	v_min_i32_e32 v5, s1, v5
	v_mul_lo_u32 v18, v5, s27
	v_mad_u64_u32 v[20:21], s[2:3], v5, s0, v[4:5]
	v_add_u32_e32 v5, 16, v2
	v_min_i32_e32 v5, s1, v5
	;; [unrolled: 4-line block ×15, first 2 shown]
	v_lshlrev_b32_e32 v6, 4, v2
	v_lshrrev_b32_e32 v7, 1, v15
	v_mul_lo_u32 v74, v5, s27
	v_mad_u64_u32 v[76:77], s[2:3], v5, s0, v[4:5]
	v_add_u32_e32 v5, v7, v6
	v_and_b32_e32 v5, 0x7f, v5
	v_min_i32_e32 v5, s1, v5
	v_ashrrev_i32_e32 v8, 31, v5
	v_lshrrev_b32_e32 v8, 28, v8
	v_add_u32_e32 v8, v5, v8
	v_and_b32_e32 v78, 1, v15
	v_ashrrev_i32_e32 v8, 4, v8
	v_lshrrev_b32_e32 v10, 4, v15
	v_lshlrev_b32_e32 v8, 2, v8
	v_lshlrev_b32_e32 v9, 2, v78
	s_movk_i32 s2, 0x7380
	v_mul_lo_u32 v80, v5, s27
	v_add3_u32 v8, v8, v9, s2
	v_lshlrev_b32_e32 v9, 3, v5
	v_lshl_add_u32 v5, v2, 1, v10
	v_min_i32_e32 v11, s1, v5
	v_lshrrev_b32_e32 v17, 31, v11
	v_and_b32_e32 v3, 15, v15
	v_add_lshl_u32 v17, v11, v17, 1
	v_lshlrev_b32_e32 v12, 2, v3
	v_and_b32_e32 v17, -4, v17
	s_movk_i32 s3, 0x4200
	v_add3_u32 v51, v17, v12, s3
	v_add_u32_e32 v17, 16, v5
	v_min_i32_e32 v17, s1, v17
	v_lshrrev_b32_e32 v19, 31, v17
	v_mul_lo_u32 v88, v17, s27
	v_add_lshl_u32 v19, v17, v19, 1
	v_lshlrev_b32_e32 v63, 6, v17
	v_add_u32_e32 v17, 32, v5
	v_and_b32_e32 v19, -4, v19
	v_min_i32_e32 v17, s1, v17
	v_add3_u32 v61, v19, v12, s3
	v_lshrrev_b32_e32 v19, 31, v17
	v_mul_lo_u32 v90, v17, s27
	v_add_lshl_u32 v19, v17, v19, 1
	v_lshlrev_b32_e32 v103, 6, v17
	v_add_u32_e32 v17, 48, v5
	v_and_b32_e32 v19, -4, v19
	v_min_i32_e32 v17, s1, v17
	v_add3_u32 v101, v19, v12, s3
	;; [unrolled: 8-line block ×4, first 2 shown]
	v_lshrrev_b32_e32 v19, 31, v17
	v_mul_lo_u32 v96, v17, s27
	v_add_lshl_u32 v19, v17, v19, 1
	v_lshlrev_b32_e32 v119, 6, v17
	v_add_u32_e32 v17, 0x60, v5
	v_and_b32_e32 v19, -4, v19
	v_min_i32_e32 v17, s1, v17
	v_add_u32_e32 v5, 0x70, v5
	v_add3_u32 v118, v19, v12, s3
	v_lshrrev_b32_e32 v19, 31, v17
	v_min_i32_e32 v5, s1, v5
	v_mul_lo_u32 v98, v17, s27
	v_add_lshl_u32 v19, v17, v19, 1
	v_lshlrev_b32_e32 v121, 6, v17
	v_lshrrev_b32_e32 v17, 31, v5
	v_cmp_lt_u32_e32 vcc, 7, v3
	v_and_b32_e32 v3, 7, v15
	v_add_lshl_u32 v17, v5, v17, 1
	v_cndmask_b32_e64 v82, 0, 1, vcc
	v_lshlrev_b32_e32 v84, 2, v3
	v_and_b32_e32 v19, -4, v19
	v_and_b32_e32 v17, -4, v17
	v_cmp_lt_u32_e32 vcc, 3, v3
	v_and_b32_e32 v3, 3, v15
	v_add3_u32 v120, v19, v12, s3
	v_add3_u32 v122, v17, v12, s3
	v_lshlrev_b32_e32 v25, 2, v2
	v_lshrrev_b32_e32 v17, 3, v15
	v_cndmask_b32_e64 v102, 0, 1, vcc
	v_add_u16_e32 v19, -2, v3
	v_cmp_gt_u32_e32 vcc, 2, v3
	v_mul_lo_u32 v100, v5, s27
	v_lshlrev_b32_e32 v123, 6, v5
	v_add_u32_e32 v5, v17, v25
	v_cndmask_b32_e32 v21, v19, v3, vcc
	v_mov_b32_e32 v23, 2
	v_cmp_lt_u32_e32 vcc, 1, v3
	v_lshlrev_b32_sdwa v104, v23, v21 dst_sel:DWORD dst_unused:UNUSED_PAD src0_sel:DWORD src1_sel:BYTE_0
	v_lshlrev_b32_e32 v21, 1, v3
	v_min_i32_e32 v3, s1, v5
	v_ashrrev_i32_e32 v23, 31, v3
	v_lshrrev_b32_e32 v23, 30, v23
	v_add_u32_e32 v23, v3, v23
	v_and_b32_e32 v23, -4, v23
	s_movk_i32 s3, 0x6300
	v_add3_u32 v124, v23, v84, s3
	v_add_u32_e32 v23, 32, v5
	v_min_i32_e32 v23, s1, v23
	v_ashrrev_i32_e32 v27, 31, v23
	v_lshrrev_b32_e32 v27, 30, v27
	v_mul_lo_u32 v108, v23, s27
	v_add_u32_e32 v27, v23, v27
	v_lshlrev_b32_e32 v126, 5, v23
	v_add_u32_e32 v23, 64, v5
	v_and_b32_e32 v27, -4, v27
	v_min_i32_e32 v23, s1, v23
	v_add3_u32 v125, v27, v84, s3
	v_ashrrev_i32_e32 v27, 31, v23
	v_add_u32_e32 v5, 0x60, v5
	v_lshrrev_b32_e32 v27, 30, v27
	v_min_i32_e32 v5, s1, v5
	v_mul_lo_u32 v110, v23, s27
	v_add_u32_e32 v27, v23, v27
	v_lshlrev_b32_e32 v128, 5, v23
	v_ashrrev_i32_e32 v23, 31, v5
	v_lshrrev_b32_e32 v23, 30, v23
	v_add_u32_e32 v23, v5, v23
	v_mov_b32_e32 v13, 0
	v_and_b32_e32 v23, -4, v23
	v_mul_lo_u32 v112, v5, s27
	v_add3_u32 v129, v23, v84, s3
	v_lshlrev_b32_e32 v130, 5, v5
	v_and_b32_e32 v23, 31, v15
	v_and_b32_e32 v4, 28, v4
	v_mov_b32_e32 v5, v13
	v_lshlrev_b32_e32 v2, 7, v2
	v_lshl_add_u64 v[114:115], s[14:15], 0, v[4:5]
	v_lshl_or_b32 v4, v23, 2, v2
	v_add_u32_e32 v23, 0x77a0, v4
	v_or_b32_e32 v4, v25, v15
	v_mov_b32_e32 v5, 0x7ba0
	v_lshl_add_u32 v25, v4, 2, v5
	v_add_u32_e32 v4, 32, v15
	v_lshrrev_b32_e32 v5, 1, v4
	v_lshl_add_u32 v35, v4, 4, v5
	v_mov_b32_e32 v5, 0x1080
	v_lshl_add_u32 v29, v15, 4, v7
	v_lshlrev_b32_e32 v7, 2, v10
	v_lshlrev_b32_e32 v33, 3, v15
	v_mad_u32_u24 v37, v15, s0, v5
	v_lshrrev_b32_e32 v5, 2, v4
	v_add3_u32 v33, v7, v33, s2
	v_and_b32_e32 v5, 0x7c, v5
	v_lshlrev_b32_e32 v7, 3, v4
	v_and_b32_e32 v27, -4, v27
	v_add_u32_e32 v67, 64, v15
	v_add3_u32 v39, v7, v5, s2
	v_mov_b32_e32 v5, 0x2100
	v_add3_u32 v127, v27, v84, s3
	v_mad_u32_u24 v43, v15, s0, v5
	v_lshrrev_b32_e32 v5, 2, v67
	s_abs_i32 s3, s10
	v_and_b32_e32 v5, 0x7c, v5
	v_lshlrev_b32_e32 v7, 3, v67
	v_cvt_f32_u32_e32 v59, s3
	v_add_u32_e32 v65, 0x60, v15
	v_add3_u32 v45, v7, v5, s2
	v_mov_b32_e32 v5, 0x3180
	v_mad_u32_u24 v49, v15, s0, v5
	v_lshrrev_b32_e32 v5, 2, v65
	v_and_b32_e32 v5, 0x7c, v5
	v_lshlrev_b32_e32 v7, 3, v65
	v_add3_u32 v53, v7, v5, s2
	v_rcp_iflag_f32_e32 v5, v59
	s_sub_i32 s0, 0, s3
	s_waitcnt vmcnt(0)
	v_sub_u32_e32 v69, 0, v1
	v_max_i32_e32 v69, v1, v69
	v_mul_f32_e32 v5, 0x4f7ffffe, v5
	v_cvt_u32_f32_e32 v5, v5
	v_xor_b32_e32 v7, s10, v1
	s_add_u32 s12, s14, 0x90
	v_ashrrev_i32_e32 v7, 31, v7
	v_mul_lo_u32 v71, s0, v5
	v_mul_hi_u32 v71, v5, v71
	v_add_u32_e32 v5, v5, v71
	v_mul_hi_u32 v5, v69, v5
	v_mul_lo_u32 v71, v5, s3
	v_sub_u32_e32 v69, v69, v71
	v_add_u32_e32 v71, 1, v5
	v_cmp_le_u32_e64 s[0:1], s3, v69
	s_addc_u32 s13, s15, 0
	s_add_u32 s18, s14, 0x120
	v_cndmask_b32_e64 v5, v5, v71, s[0:1]
	v_subrev_u32_e32 v71, s3, v69
	v_cndmask_b32_e64 v69, v69, v71, s[0:1]
	v_add_u32_e32 v71, 1, v5
	v_cmp_le_u32_e64 s[0:1], s3, v69
	v_lshrrev_b32_e32 v41, 1, v67
	v_lshrrev_b32_e32 v47, 1, v65
	v_cndmask_b32_e64 v5, v5, v71, s[0:1]
	v_xor_b32_e32 v5, v5, v7
	v_sub_u32_e32 v5, v5, v7
	s_addc_u32 s19, s15, 0
	v_mul_lo_u32 v86, v11, s27
	v_lshlrev_b32_e32 v11, 6, v11
	v_cndmask_b32_e64 v19, 0, 1, vcc
	v_mul_lo_u32 v106, v3, s27
	v_lshlrev_b32_e32 v3, 5, v3
	v_lshlrev_b32_e32 v27, 5, v15
	v_lshl_add_u32 v41, v67, 4, v41
	v_lshl_add_u32 v47, v65, 4, v47
	v_lshrrev_b32_e32 v57, 3, v67
	v_lshrrev_b32_e32 v59, 3, v65
	v_mul_lo_u32 v116, v5, s8
	s_add_u32 s20, s14, 0x1b0
	v_and_b32_e32 v65, 0x1fc, v65
	v_and_b32_e32 v67, 0x1fc, v67
	;; [unrolled: 1-line block ×4, first 2 shown]
	s_movk_i32 s4, 0x6e
	v_mov_b32_e32 v85, v13
	v_lshlrev_b32_e32 v19, 2, v19
	v_mov_b32_e32 v105, v13
	v_cmp_gt_u32_e32 vcc, 4, v15
	v_mul_u32_u24_e32 v31, 0x84, v15
	v_lshrrev_b32_e32 v55, 3, v4
	v_cmp_gt_i32_e64 s[0:1], s7, v5
	v_ashrrev_i32_e32 v117, 31, v116
	s_addc_u32 s21, s15, 0
	v_add_u32_e32 v73, 0x77a0, v2
	v_add_u32_e32 v75, 0x7ba0, v6
	;; [unrolled: 1-line block ×19, first 2 shown]
	s_mov_b64 s[22:23], 0x60
	s_mov_b32 s6, 0x30303030
	s_movk_i32 s30, 0x3f00
	s_movk_i32 s31, 0xe000
	v_add_u32_e32 v118, v124, v3
	v_add_u32_e32 v119, v125, v126
	;; [unrolled: 1-line block ×4, first 2 shown]
	v_mov_b32_e32 v122, 8
	v_mov_b32_e32 v63, v13
	;; [unrolled: 1-line block ×5, first 2 shown]
	s_branch .LBB230_5
.LBB230_4:                              ;   in Loop: Header=BB230_5 Depth=1
	s_add_i32 s26, s26, 2
	s_cmp_ge_i32 s26, s27
	s_cbranch_scc1 .LBB230_39
.LBB230_5:                              ; =>This Loop Header: Depth=1
                                        ;     Child Loop BB230_12 Depth 2
                                        ;     Child Loop BB230_20 Depth 2
	;; [unrolled: 1-line block ×4, first 2 shown]
	s_mul_i32 s2, s26, 0x6e
	s_mul_hi_u32 s3, s26, 0x6e
	s_add_u32 s2, s28, s2
	s_addc_u32 s3, s29, s3
	v_mov_b64_e32 v[2:3], s[2:3]
	v_mad_u64_u32 v[4:5], s[2:3], v10, s4, v[2:3]
	v_lshl_add_u64 v[4:5], v[4:5], 0, v[12:13]
	v_lshl_add_u64 v[4:5], v[4:5], 0, 32
	v_mad_i64_i32 v[6:7], s[2:3], v14, s4, v[4:5]
	v_mad_i64_i32 v[8:9], s[2:3], v18, s4, v[4:5]
	;; [unrolled: 1-line block ×8, first 2 shown]
	global_load_dword v123, v[6:7], off
	global_load_dword v136, v[8:9], off
	;; [unrolled: 1-line block ×8, first 2 shown]
	v_mad_i64_i32 v[6:7], s[2:3], v46, s4, v[4:5]
	v_mad_i64_i32 v[8:9], s[2:3], v50, s4, v[4:5]
	;; [unrolled: 1-line block ×8, first 2 shown]
	global_load_dword v143, v[6:7], off
	global_load_dword v144, v[8:9], off
	;; [unrolled: 1-line block ×8, first 2 shown]
	v_mad_u64_u32 v[6:7], s[2:3], v82, s4, v[2:3]
	v_mad_i64_i32 v[4:5], s[2:3], v80, s4, v[2:3]
	v_lshl_add_u64 v[6:7], v[6:7], 0, v[84:85]
	v_mad_u64_u32 v[4:5], s[2:3], v78, s4, v[4:5]
	v_mad_i64_i32 v[124:125], s[2:3], v88, s4, v[6:7]
	v_mad_i64_i32 v[126:127], s[2:3], v90, s4, v[6:7]
	;; [unrolled: 1-line block ×3, first 2 shown]
	v_mad_u64_u32 v[2:3], s[2:3], v102, s4, v[2:3]
	v_mad_i64_i32 v[8:9], s[2:3], v86, s4, v[6:7]
	v_mad_i64_i32 v[130:131], s[2:3], v94, s4, v[6:7]
	;; [unrolled: 1-line block ×4, first 2 shown]
	global_load_ushort v151, v[4:5], off offset:108
	global_load_dword v152, v[8:9], off
	s_nop 0
	global_load_dword v124, v[124:125], off
	s_nop 0
	;; [unrolled: 2-line block ×3, first 2 shown]
	global_load_dword v126, v[128:129], off
	global_load_dword v127, v[130:131], off
	s_nop 0
	global_load_dword v128, v[132:133], off
	global_load_dword v129, v[134:135], off
	v_mad_i64_i32 v[4:5], s[2:3], v100, s4, v[6:7]
	v_lshl_add_u64 v[2:3], v[2:3], 0, s[22:23]
	global_load_dword v130, v[4:5], off
	v_mad_i64_i32 v[4:5], s[2:3], v106, s4, v[2:3]
	v_lshl_add_u64 v[6:7], v[4:5], 0, v[104:105]
	global_load_dword v131, v[6:7], off
	v_mad_i64_i32 v[6:7], s[2:3], v108, s4, v[2:3]
	v_mad_i64_i32 v[8:9], s[2:3], v110, s4, v[2:3]
	;; [unrolled: 1-line block ×3, first 2 shown]
	global_load_dword v132, v[2:3], off offset:8
	global_load_dword v133, v[8:9], off offset:8
	global_load_dword v134, v[6:7], off offset:8
	global_load_dword v135, v[4:5], off offset:8
	v_lshl_add_u64 v[4:5], v[6:7], 0, v[104:105]
	global_load_dword v6, v[4:5], off
	v_lshl_add_u64 v[4:5], v[8:9], 0, v[104:105]
	global_load_dword v4, v[4:5], off
	s_waitcnt vmcnt(31)
	ds_write_b32 v16, v123
	s_waitcnt vmcnt(30)
	ds_write_b32 v20, v136
	;; [unrolled: 2-line block ×6, first 2 shown]
	v_lshl_add_u64 v[2:3], v[2:3], 0, v[104:105]
	global_load_dword v2, v[2:3], off
	s_waitcnt vmcnt(26)
	ds_write_b32 v40, v141
	s_waitcnt vmcnt(25)
	ds_write_b32 v44, v142
	;; [unrolled: 2-line block ×7, first 2 shown]
	s_lshl_b32 s34, s26, 8
	s_cmp_lt_i32 s34, s5
	s_waitcnt vmcnt(16)
	v_cvt_f32_f16_e32 v3, v151
	ds_write_b32 v68, v148
	ds_write_b32 v72, v149
	;; [unrolled: 1-line block ×4, first 2 shown]
	s_waitcnt vmcnt(15)
	v_not_b32_e32 v3, v152
	ds_write_b32 v97, v3
	s_waitcnt vmcnt(14)
	v_not_b32_e32 v3, v124
	ds_write_b32 v99, v3
	;; [unrolled: 3-line block ×8, first 2 shown]
	s_waitcnt vmcnt(7)
	v_ashrrev_i32_e32 v3, v19, v131
	v_and_b32_e32 v3, 0xf0f0f0f, v3
	s_waitcnt vmcnt(3)
	v_ashrrev_i32_e32 v5, v21, v135
	v_lshlrev_b32_e32 v5, 4, v5
	v_and_or_b32 v3, v5, s6, v3
	v_lshlrev_b16_e32 v7, 8, v3
	v_and_b32_e32 v5, 0x3f00, v3
	v_add_u16_e32 v7, 0xe000, v7
	v_or_b32_sdwa v5, v5, v7 dst_sel:DWORD dst_unused:UNUSED_PAD src0_sel:DWORD src1_sel:BYTE_1
	v_and_b32_sdwa v7, v3, s30 dst_sel:DWORD dst_unused:UNUSED_PAD src0_sel:WORD_1 src1_sel:DWORD
	v_lshlrev_b16_sdwa v3, v122, v3 dst_sel:DWORD dst_unused:UNUSED_PAD src0_sel:DWORD src1_sel:WORD_1
	v_add_u16_e32 v3, 0xe000, v3
	v_or_b32_sdwa v3, v7, v3 dst_sel:DWORD dst_unused:UNUSED_PAD src0_sel:DWORD src1_sel:BYTE_1
	v_add_u16_e32 v5, 0xe000, v5
	v_add_u16_sdwa v3, v3, s31 dst_sel:WORD_1 dst_unused:UNUSED_PAD src0_sel:DWORD src1_sel:DWORD
	s_waitcnt vmcnt(0)
	v_ashrrev_i32_e32 v2, v19, v2
	v_or_b32_e32 v3, v5, v3
	ds_write_b32 v118, v3
	v_ashrrev_i32_e32 v3, v19, v6
	v_ashrrev_i32_e32 v5, v21, v134
	v_and_b32_e32 v3, 0xf0f0f0f, v3
	v_lshlrev_b32_e32 v5, 4, v5
	v_and_or_b32 v3, v5, s6, v3
	v_lshlrev_b16_e32 v6, 8, v3
	v_and_b32_e32 v5, 0x3f00, v3
	v_add_u16_e32 v6, 0xe000, v6
	v_or_b32_sdwa v5, v5, v6 dst_sel:DWORD dst_unused:UNUSED_PAD src0_sel:DWORD src1_sel:BYTE_1
	v_and_b32_sdwa v6, v3, s30 dst_sel:DWORD dst_unused:UNUSED_PAD src0_sel:WORD_1 src1_sel:DWORD
	v_lshlrev_b16_sdwa v3, v122, v3 dst_sel:DWORD dst_unused:UNUSED_PAD src0_sel:DWORD src1_sel:WORD_1
	v_add_u16_e32 v3, 0xe000, v3
	v_or_b32_sdwa v3, v6, v3 dst_sel:DWORD dst_unused:UNUSED_PAD src0_sel:DWORD src1_sel:BYTE_1
	v_add_u16_e32 v5, 0xe000, v5
	v_add_u16_sdwa v3, v3, s31 dst_sel:WORD_1 dst_unused:UNUSED_PAD src0_sel:DWORD src1_sel:DWORD
	v_and_b32_e32 v2, 0xf0f0f0f, v2
	v_or_b32_e32 v3, v5, v3
	ds_write_b32 v119, v3
	v_ashrrev_i32_e32 v3, v19, v4
	v_ashrrev_i32_e32 v4, v21, v133
	v_and_b32_e32 v3, 0xf0f0f0f, v3
	v_lshlrev_b32_e32 v4, 4, v4
	v_and_or_b32 v3, v4, s6, v3
	v_lshlrev_b16_e32 v5, 8, v3
	v_and_b32_e32 v4, 0x3f00, v3
	v_add_u16_e32 v5, 0xe000, v5
	v_or_b32_sdwa v4, v4, v5 dst_sel:DWORD dst_unused:UNUSED_PAD src0_sel:DWORD src1_sel:BYTE_1
	v_and_b32_sdwa v5, v3, s30 dst_sel:DWORD dst_unused:UNUSED_PAD src0_sel:WORD_1 src1_sel:DWORD
	v_lshlrev_b16_sdwa v3, v122, v3 dst_sel:DWORD dst_unused:UNUSED_PAD src0_sel:DWORD src1_sel:WORD_1
	v_add_u16_e32 v3, 0xe000, v3
	v_or_b32_sdwa v3, v5, v3 dst_sel:DWORD dst_unused:UNUSED_PAD src0_sel:DWORD src1_sel:BYTE_1
	v_add_u16_e32 v4, 0xe000, v4
	v_add_u16_sdwa v3, v3, s31 dst_sel:WORD_1 dst_unused:UNUSED_PAD src0_sel:DWORD src1_sel:DWORD
	s_nop 0
	v_or_b32_e32 v3, v4, v3
	ds_write_b32 v120, v3
	v_ashrrev_i32_e32 v3, v21, v132
	v_lshlrev_b32_e32 v3, 4, v3
	v_and_or_b32 v2, v3, s6, v2
	v_lshlrev_b16_e32 v4, 8, v2
	v_and_b32_e32 v3, 0x3f00, v2
	v_add_u16_e32 v4, 0xe000, v4
	v_or_b32_sdwa v3, v3, v4 dst_sel:DWORD dst_unused:UNUSED_PAD src0_sel:DWORD src1_sel:BYTE_1
	v_and_b32_sdwa v4, v2, s30 dst_sel:DWORD dst_unused:UNUSED_PAD src0_sel:WORD_1 src1_sel:DWORD
	v_lshlrev_b16_sdwa v2, v122, v2 dst_sel:DWORD dst_unused:UNUSED_PAD src0_sel:DWORD src1_sel:WORD_1
	v_add_u16_e32 v2, 0xe000, v2
	v_or_b32_sdwa v2, v4, v2 dst_sel:DWORD dst_unused:UNUSED_PAD src0_sel:DWORD src1_sel:BYTE_1
	v_add_u16_e32 v3, 0xe000, v3
	v_add_u16_sdwa v2, v2, s31 dst_sel:WORD_1 dst_unused:UNUSED_PAD src0_sel:DWORD src1_sel:DWORD
	s_nop 0
	v_or_b32_e32 v2, v3, v2
	ds_write_b32 v121, v2
	s_cbranch_scc0 .LBB230_4
; %bb.6:                                ;   in Loop: Header=BB230_5 Depth=1
	s_lshl_b32 s33, s26, 3
	v_add_u32_e32 v2, s33, v17
	v_cmp_gt_i32_e64 s[2:3], s8, v2
	s_and_b64 s[24:25], s[0:1], s[2:3]
	s_and_saveexec_b64 s[2:3], s[24:25]
	s_cbranch_execz .LBB230_8
; %bb.7:                                ;   in Loop: Header=BB230_5 Depth=1
	v_add_u32_e32 v2, v116, v2
	v_mad_i64_i32 v[2:3], s[24:25], v2, 36, v[114:115]
	global_load_dword v2, v[2:3], off offset:4
	s_waitcnt vmcnt(0)
	ds_write_b32 v23, v2
.LBB230_8:                              ;   in Loop: Header=BB230_5 Depth=1
	s_or_b64 exec, exec, s[2:3]
	s_and_saveexec_b64 s[24:25], vcc
	s_cbranch_execz .LBB230_11
; %bb.9:                                ;   in Loop: Header=BB230_5 Depth=1
	v_or_b32_e32 v2, s33, v15
	v_cmp_gt_i32_e64 s[2:3], s8, v2
	s_and_b64 s[2:3], s[0:1], s[2:3]
	s_and_b64 exec, exec, s[2:3]
	s_cbranch_execz .LBB230_11
; %bb.10:                               ;   in Loop: Header=BB230_5 Depth=1
	v_add_u32_e32 v2, v116, v2
	v_mad_i64_i32 v[2:3], s[2:3], v2, 36, s[14:15]
	global_load_dword v2, v[2:3], off
	s_waitcnt vmcnt(0)
	v_cvt_f32_f16_e32 v2, v2
	ds_write_b32 v25, v2
.LBB230_11:                             ;   in Loop: Header=BB230_5 Depth=1
	s_or_b64 exec, exec, s[24:25]
	s_mov_b32 s24, -2
	s_mov_b32 s2, 0
	v_mov_b32_e32 v123, v75
	v_mov_b32_e32 v124, v73
	s_mov_b32 s3, 0
	s_waitcnt lgkmcnt(0)
	s_barrier
.LBB230_12:                             ;   Parent Loop BB230_5 Depth=1
                                        ; =>  This Inner Loop Header: Depth=2
	s_and_b32 s25, s3, -16
	v_add_u32_e32 v126, s25, v27
	s_add_i32 s25, s24, 2
	s_lshr_b32 s37, s25, 4
	s_and_b32 s36, s25, 0x3ffffff8
	s_lshl_b32 s35, s37, 3
	s_lshl_b32 s36, s36, 2
	v_add_lshl_u32 v133, v29, s35, 2
	v_add_u32_e32 v127, s36, v31
	v_add_u32_e32 v130, 0x4200, v133
	ds_read_b32 v125, v123
	ds_read_b128 v[6:9], v124
	ds_read_b128 v[2:5], v124 offset:16
	ds_read2_b32 v[128:129], v127 offset1:1
	ds_read2_b32 v[130:131], v130 offset1:1
	s_lshl_b32 s37, s37, 2
	s_add_i32 s3, s3, 2
	v_add_u32_e32 v124, 32, v124
	s_waitcnt lgkmcnt(1)
	v_ashrrev_i32_e32 v128, s25, v128
	s_waitcnt lgkmcnt(0)
	v_ashrrev_i32_e32 v130, s2, v130
	v_lshlrev_b32_e32 v130, 2, v130
	v_and_b32_e32 v132, 0x3030303, v128
	v_bfe_u32 v128, v128, 24, 2
	v_and_b32_e32 v130, 0x4040404, v130
	v_sub_u16_e32 v134, v132, v130
	v_sub_u16_sdwa v135, v132, v130 dst_sel:BYTE_1 dst_unused:UNUSED_PAD src0_sel:BYTE_1 src1_sel:BYTE_1
	v_sub_u16_sdwa v128, v128, v130 dst_sel:BYTE_1 dst_unused:UNUSED_PAD src0_sel:DWORD src1_sel:BYTE_3
	v_sub_u16_sdwa v130, v132, v130 dst_sel:DWORD dst_unused:UNUSED_PAD src0_sel:WORD_1 src1_sel:WORD_1
	v_or_b32_sdwa v134, v134, v135 dst_sel:DWORD dst_unused:UNUSED_PAD src0_sel:BYTE_0 src1_sel:DWORD
	v_or_b32_sdwa v128, v130, v128 dst_sel:WORD_1 dst_unused:UNUSED_PAD src0_sel:BYTE_0 src1_sel:DWORD
	v_ashrrev_i32_e32 v130, s2, v131
	v_or_b32_sdwa v132, v134, v128 dst_sel:DWORD dst_unused:UNUSED_PAD src0_sel:WORD_0 src1_sel:DWORD
	v_ashrrev_i32_e32 v128, s25, v129
	v_lshlrev_b32_e32 v130, 2, v130
	v_and_b32_e32 v129, 0x3030303, v128
	v_bfe_u32 v128, v128, 24, 2
	v_and_b32_e32 v130, 0x4040404, v130
	v_sub_u16_e32 v131, v129, v130
	v_sub_u16_sdwa v134, v129, v130 dst_sel:BYTE_1 dst_unused:UNUSED_PAD src0_sel:BYTE_1 src1_sel:BYTE_1
	v_sub_u16_sdwa v128, v128, v130 dst_sel:BYTE_1 dst_unused:UNUSED_PAD src0_sel:DWORD src1_sel:BYTE_3
	v_sub_u16_sdwa v129, v129, v130 dst_sel:DWORD dst_unused:UNUSED_PAD src0_sel:WORD_1 src1_sel:WORD_1
	v_or_b32_sdwa v131, v131, v134 dst_sel:DWORD dst_unused:UNUSED_PAD src0_sel:BYTE_0 src1_sel:DWORD
	v_or_b32_sdwa v128, v129, v128 dst_sel:WORD_1 dst_unused:UNUSED_PAD src0_sel:BYTE_0 src1_sel:DWORD
	v_add_u32_e32 v130, 0x4208, v133
	v_or_b32_sdwa v134, v131, v128 dst_sel:DWORD dst_unused:UNUSED_PAD src0_sel:WORD_0 src1_sel:DWORD
	ds_read2_b32 v[128:129], v127 offset0:2 offset1:3
	ds_read2_b32 v[130:131], v130 offset1:1
	v_add_u32_e32 v123, 4, v123
	s_waitcnt lgkmcnt(1)
	v_ashrrev_i32_e32 v128, s25, v128
	s_waitcnt lgkmcnt(0)
	v_ashrrev_i32_e32 v130, s2, v130
	v_lshlrev_b32_e32 v130, 2, v130
	v_and_b32_e32 v135, 0x3030303, v128
	v_bfe_u32 v128, v128, 24, 2
	v_and_b32_e32 v130, 0x4040404, v130
	v_sub_u16_e32 v136, v135, v130
	v_sub_u16_sdwa v137, v135, v130 dst_sel:BYTE_1 dst_unused:UNUSED_PAD src0_sel:BYTE_1 src1_sel:BYTE_1
	v_sub_u16_sdwa v128, v128, v130 dst_sel:BYTE_1 dst_unused:UNUSED_PAD src0_sel:DWORD src1_sel:BYTE_3
	v_sub_u16_sdwa v130, v135, v130 dst_sel:DWORD dst_unused:UNUSED_PAD src0_sel:WORD_1 src1_sel:WORD_1
	v_or_b32_sdwa v136, v136, v137 dst_sel:DWORD dst_unused:UNUSED_PAD src0_sel:BYTE_0 src1_sel:DWORD
	v_or_b32_sdwa v128, v130, v128 dst_sel:WORD_1 dst_unused:UNUSED_PAD src0_sel:BYTE_0 src1_sel:DWORD
	v_ashrrev_i32_e32 v130, s2, v131
	v_or_b32_sdwa v135, v136, v128 dst_sel:DWORD dst_unused:UNUSED_PAD src0_sel:WORD_0 src1_sel:DWORD
	v_ashrrev_i32_e32 v128, s25, v129
	v_lshlrev_b32_e32 v130, 2, v130
	v_and_b32_e32 v129, 0x3030303, v128
	v_bfe_u32 v128, v128, 24, 2
	v_and_b32_e32 v130, 0x4040404, v130
	v_sub_u16_e32 v131, v129, v130
	v_sub_u16_sdwa v136, v129, v130 dst_sel:BYTE_1 dst_unused:UNUSED_PAD src0_sel:BYTE_1 src1_sel:BYTE_1
	v_sub_u16_sdwa v128, v128, v130 dst_sel:BYTE_1 dst_unused:UNUSED_PAD src0_sel:DWORD src1_sel:BYTE_3
	v_sub_u16_sdwa v129, v129, v130 dst_sel:DWORD dst_unused:UNUSED_PAD src0_sel:WORD_1 src1_sel:WORD_1
	v_or_b32_sdwa v131, v131, v136 dst_sel:DWORD dst_unused:UNUSED_PAD src0_sel:BYTE_0 src1_sel:DWORD
	v_or_b32_sdwa v128, v129, v128 dst_sel:WORD_1 dst_unused:UNUSED_PAD src0_sel:BYTE_0 src1_sel:DWORD
	v_add_u32_e32 v130, 0x4210, v133
	v_or_b32_sdwa v136, v131, v128 dst_sel:DWORD dst_unused:UNUSED_PAD src0_sel:WORD_0 src1_sel:DWORD
	ds_read2_b32 v[128:129], v127 offset0:4 offset1:5
	ds_read2_b32 v[130:131], v130 offset1:1
	s_waitcnt lgkmcnt(1)
	v_ashrrev_i32_e32 v128, s25, v128
	s_waitcnt lgkmcnt(0)
	v_ashrrev_i32_e32 v130, s2, v130
	v_lshlrev_b32_e32 v130, 2, v130
	v_and_b32_e32 v137, 0x3030303, v128
	v_bfe_u32 v128, v128, 24, 2
	v_and_b32_e32 v130, 0x4040404, v130
	v_sub_u16_e32 v138, v137, v130
	v_sub_u16_sdwa v139, v137, v130 dst_sel:BYTE_1 dst_unused:UNUSED_PAD src0_sel:BYTE_1 src1_sel:BYTE_1
	v_sub_u16_sdwa v128, v128, v130 dst_sel:BYTE_1 dst_unused:UNUSED_PAD src0_sel:DWORD src1_sel:BYTE_3
	v_sub_u16_sdwa v130, v137, v130 dst_sel:DWORD dst_unused:UNUSED_PAD src0_sel:WORD_1 src1_sel:WORD_1
	v_or_b32_sdwa v138, v138, v139 dst_sel:DWORD dst_unused:UNUSED_PAD src0_sel:BYTE_0 src1_sel:DWORD
	v_or_b32_sdwa v128, v130, v128 dst_sel:WORD_1 dst_unused:UNUSED_PAD src0_sel:BYTE_0 src1_sel:DWORD
	v_ashrrev_i32_e32 v130, s2, v131
	v_or_b32_sdwa v137, v138, v128 dst_sel:DWORD dst_unused:UNUSED_PAD src0_sel:WORD_0 src1_sel:DWORD
	v_ashrrev_i32_e32 v128, s25, v129
	v_lshlrev_b32_e32 v130, 2, v130
	v_and_b32_e32 v129, 0x3030303, v128
	v_bfe_u32 v128, v128, 24, 2
	v_and_b32_e32 v130, 0x4040404, v130
	v_sub_u16_e32 v131, v129, v130
	v_sub_u16_sdwa v138, v129, v130 dst_sel:BYTE_1 dst_unused:UNUSED_PAD src0_sel:BYTE_1 src1_sel:BYTE_1
	v_sub_u16_sdwa v128, v128, v130 dst_sel:BYTE_1 dst_unused:UNUSED_PAD src0_sel:DWORD src1_sel:BYTE_3
	v_sub_u16_sdwa v129, v129, v130 dst_sel:DWORD dst_unused:UNUSED_PAD src0_sel:WORD_1 src1_sel:WORD_1
	v_or_b32_sdwa v131, v131, v138 dst_sel:DWORD dst_unused:UNUSED_PAD src0_sel:BYTE_0 src1_sel:DWORD
	v_or_b32_sdwa v128, v129, v128 dst_sel:WORD_1 dst_unused:UNUSED_PAD src0_sel:BYTE_0 src1_sel:DWORD
	v_add_u32_e32 v130, 0x4218, v133
	v_or_b32_sdwa v138, v131, v128 dst_sel:DWORD dst_unused:UNUSED_PAD src0_sel:WORD_0 src1_sel:DWORD
	ds_read2_b32 v[128:129], v127 offset0:6 offset1:7
	ds_read2_b32 v[130:131], v130 offset1:1
	s_waitcnt lgkmcnt(1)
	v_ashrrev_i32_e32 v127, s25, v128
	s_waitcnt lgkmcnt(0)
	v_ashrrev_i32_e32 v130, s2, v130
	v_lshlrev_b32_e32 v130, 2, v130
	v_and_b32_e32 v128, 0x3030303, v127
	v_bfe_u32 v127, v127, 24, 2
	v_and_b32_e32 v130, 0x4040404, v130
	v_sub_u16_e32 v133, v128, v130
	v_sub_u16_sdwa v139, v128, v130 dst_sel:BYTE_1 dst_unused:UNUSED_PAD src0_sel:BYTE_1 src1_sel:BYTE_1
	v_sub_u16_sdwa v127, v127, v130 dst_sel:BYTE_1 dst_unused:UNUSED_PAD src0_sel:DWORD src1_sel:BYTE_3
	v_sub_u16_sdwa v128, v128, v130 dst_sel:DWORD dst_unused:UNUSED_PAD src0_sel:WORD_1 src1_sel:WORD_1
	v_ashrrev_i32_e32 v130, s2, v131
	v_or_b32_sdwa v127, v128, v127 dst_sel:WORD_1 dst_unused:UNUSED_PAD src0_sel:BYTE_0 src1_sel:DWORD
	v_ashrrev_i32_e32 v128, s25, v129
	v_lshlrev_b32_e32 v130, 2, v130
	v_or_b32_sdwa v133, v133, v139 dst_sel:DWORD dst_unused:UNUSED_PAD src0_sel:BYTE_0 src1_sel:DWORD
	v_and_b32_e32 v129, 0x3030303, v128
	v_bfe_u32 v128, v128, 24, 2
	v_and_b32_e32 v130, 0x4040404, v130
	v_or_b32_sdwa v127, v133, v127 dst_sel:DWORD dst_unused:UNUSED_PAD src0_sel:WORD_0 src1_sel:DWORD
	v_sub_u16_e32 v131, v129, v130
	v_sub_u16_sdwa v133, v129, v130 dst_sel:BYTE_1 dst_unused:UNUSED_PAD src0_sel:BYTE_1 src1_sel:BYTE_1
	v_sub_u16_sdwa v128, v128, v130 dst_sel:BYTE_1 dst_unused:UNUSED_PAD src0_sel:DWORD src1_sel:BYTE_3
	v_sub_u16_sdwa v129, v129, v130 dst_sel:DWORD dst_unused:UNUSED_PAD src0_sel:WORD_1 src1_sel:WORD_1
	v_or_b32_sdwa v131, v131, v133 dst_sel:DWORD dst_unused:UNUSED_PAD src0_sel:BYTE_0 src1_sel:DWORD
	v_or_b32_sdwa v128, v129, v128 dst_sel:WORD_1 dst_unused:UNUSED_PAD src0_sel:BYTE_0 src1_sel:DWORD
	v_add_u32_e32 v130, s37, v33
	v_or_b32_sdwa v129, v131, v128 dst_sel:DWORD dst_unused:UNUSED_PAD src0_sel:WORD_0 src1_sel:DWORD
	v_add3_u32 v128, v71, s24, v126
	ds_read_b32 v130, v130
	ds_read_u16 v128, v128 offset:25346
	v_mov_b32_e32 v131, 0
	v_dot4c_i32_i8_e32 v131, v132, v6
	v_dot4c_i32_i8_e32 v131, v134, v7
	;; [unrolled: 1-line block ×4, first 2 shown]
	s_waitcnt lgkmcnt(0)
	v_lshrrev_b16_e32 v132, 8, v128
	v_bfe_i32 v128, v128, 0, 8
	v_add_lshl_u32 v133, v35, s35, 2
	v_mul_lo_u32 v128, v131, v128
	v_mov_b32_e32 v131, 0
	v_dot4c_i32_i8_e32 v131, v137, v2
	v_dot4c_i32_i8_e32 v131, v138, v3
	;; [unrolled: 1-line block ×4, first 2 shown]
	v_bfe_i32 v127, v132, 0, 8
	s_nop 1
	v_mad_u64_u32 v[128:129], s[38:39], v131, v127, v[128:129]
	v_cvt_f32_i32_e32 v128, v128
	v_mul_f32_e32 v127, v125, v130
	v_add_u32_e32 v130, 0x4200, v133
	ds_read2_b32 v[130:131], v130 offset1:1
	v_fmac_f32_e32 v63, v127, v128
	v_add_u32_e32 v127, s36, v37
	ds_read2_b32 v[128:129], v127 offset1:1
	s_waitcnt lgkmcnt(1)
	v_ashrrev_i32_e32 v130, s2, v130
	v_lshlrev_b32_e32 v130, 2, v130
	v_and_b32_e32 v130, 0x4040404, v130
	s_waitcnt lgkmcnt(0)
	v_ashrrev_i32_e32 v128, s25, v128
	v_and_b32_e32 v132, 0x3030303, v128
	v_bfe_u32 v128, v128, 24, 2
	v_sub_u16_e32 v134, v132, v130
	v_sub_u16_sdwa v135, v132, v130 dst_sel:BYTE_1 dst_unused:UNUSED_PAD src0_sel:BYTE_1 src1_sel:BYTE_1
	v_sub_u16_sdwa v128, v128, v130 dst_sel:BYTE_1 dst_unused:UNUSED_PAD src0_sel:DWORD src1_sel:BYTE_3
	v_sub_u16_sdwa v130, v132, v130 dst_sel:DWORD dst_unused:UNUSED_PAD src0_sel:WORD_1 src1_sel:WORD_1
	v_or_b32_sdwa v134, v134, v135 dst_sel:DWORD dst_unused:UNUSED_PAD src0_sel:BYTE_0 src1_sel:DWORD
	v_or_b32_sdwa v128, v130, v128 dst_sel:WORD_1 dst_unused:UNUSED_PAD src0_sel:BYTE_0 src1_sel:DWORD
	v_ashrrev_i32_e32 v130, s2, v131
	v_or_b32_sdwa v132, v134, v128 dst_sel:DWORD dst_unused:UNUSED_PAD src0_sel:WORD_0 src1_sel:DWORD
	v_ashrrev_i32_e32 v128, s25, v129
	v_lshlrev_b32_e32 v130, 2, v130
	v_and_b32_e32 v129, 0x3030303, v128
	v_bfe_u32 v128, v128, 24, 2
	v_and_b32_e32 v130, 0x4040404, v130
	v_sub_u16_e32 v131, v129, v130
	v_sub_u16_sdwa v134, v129, v130 dst_sel:BYTE_1 dst_unused:UNUSED_PAD src0_sel:BYTE_1 src1_sel:BYTE_1
	v_sub_u16_sdwa v128, v128, v130 dst_sel:BYTE_1 dst_unused:UNUSED_PAD src0_sel:DWORD src1_sel:BYTE_3
	v_sub_u16_sdwa v129, v129, v130 dst_sel:DWORD dst_unused:UNUSED_PAD src0_sel:WORD_1 src1_sel:WORD_1
	v_or_b32_sdwa v131, v131, v134 dst_sel:DWORD dst_unused:UNUSED_PAD src0_sel:BYTE_0 src1_sel:DWORD
	v_or_b32_sdwa v128, v129, v128 dst_sel:WORD_1 dst_unused:UNUSED_PAD src0_sel:BYTE_0 src1_sel:DWORD
	v_add_u32_e32 v130, 0x4208, v133
	v_or_b32_sdwa v134, v131, v128 dst_sel:DWORD dst_unused:UNUSED_PAD src0_sel:WORD_0 src1_sel:DWORD
	ds_read2_b32 v[128:129], v127 offset0:2 offset1:3
	ds_read2_b32 v[130:131], v130 offset1:1
	s_waitcnt lgkmcnt(1)
	v_ashrrev_i32_e32 v128, s25, v128
	s_waitcnt lgkmcnt(0)
	v_ashrrev_i32_e32 v130, s2, v130
	v_lshlrev_b32_e32 v130, 2, v130
	v_and_b32_e32 v135, 0x3030303, v128
	v_bfe_u32 v128, v128, 24, 2
	v_and_b32_e32 v130, 0x4040404, v130
	v_sub_u16_e32 v136, v135, v130
	v_sub_u16_sdwa v137, v135, v130 dst_sel:BYTE_1 dst_unused:UNUSED_PAD src0_sel:BYTE_1 src1_sel:BYTE_1
	v_sub_u16_sdwa v128, v128, v130 dst_sel:BYTE_1 dst_unused:UNUSED_PAD src0_sel:DWORD src1_sel:BYTE_3
	v_sub_u16_sdwa v130, v135, v130 dst_sel:DWORD dst_unused:UNUSED_PAD src0_sel:WORD_1 src1_sel:WORD_1
	v_or_b32_sdwa v136, v136, v137 dst_sel:DWORD dst_unused:UNUSED_PAD src0_sel:BYTE_0 src1_sel:DWORD
	v_or_b32_sdwa v128, v130, v128 dst_sel:WORD_1 dst_unused:UNUSED_PAD src0_sel:BYTE_0 src1_sel:DWORD
	v_ashrrev_i32_e32 v130, s2, v131
	v_or_b32_sdwa v135, v136, v128 dst_sel:DWORD dst_unused:UNUSED_PAD src0_sel:WORD_0 src1_sel:DWORD
	v_ashrrev_i32_e32 v128, s25, v129
	v_lshlrev_b32_e32 v130, 2, v130
	v_and_b32_e32 v129, 0x3030303, v128
	v_bfe_u32 v128, v128, 24, 2
	v_and_b32_e32 v130, 0x4040404, v130
	v_sub_u16_e32 v131, v129, v130
	v_sub_u16_sdwa v136, v129, v130 dst_sel:BYTE_1 dst_unused:UNUSED_PAD src0_sel:BYTE_1 src1_sel:BYTE_1
	v_sub_u16_sdwa v128, v128, v130 dst_sel:BYTE_1 dst_unused:UNUSED_PAD src0_sel:DWORD src1_sel:BYTE_3
	v_sub_u16_sdwa v129, v129, v130 dst_sel:DWORD dst_unused:UNUSED_PAD src0_sel:WORD_1 src1_sel:WORD_1
	v_or_b32_sdwa v131, v131, v136 dst_sel:DWORD dst_unused:UNUSED_PAD src0_sel:BYTE_0 src1_sel:DWORD
	v_or_b32_sdwa v128, v129, v128 dst_sel:WORD_1 dst_unused:UNUSED_PAD src0_sel:BYTE_0 src1_sel:DWORD
	v_add_u32_e32 v130, 0x4210, v133
	v_or_b32_sdwa v136, v131, v128 dst_sel:DWORD dst_unused:UNUSED_PAD src0_sel:WORD_0 src1_sel:DWORD
	ds_read2_b32 v[128:129], v127 offset0:4 offset1:5
	ds_read2_b32 v[130:131], v130 offset1:1
	s_waitcnt lgkmcnt(1)
	v_ashrrev_i32_e32 v128, s25, v128
	s_waitcnt lgkmcnt(0)
	v_ashrrev_i32_e32 v130, s2, v130
	v_lshlrev_b32_e32 v130, 2, v130
	v_and_b32_e32 v137, 0x3030303, v128
	v_bfe_u32 v128, v128, 24, 2
	v_and_b32_e32 v130, 0x4040404, v130
	;; [unrolled: 31-line block ×3, first 2 shown]
	v_sub_u16_e32 v133, v128, v130
	v_sub_u16_sdwa v139, v128, v130 dst_sel:BYTE_1 dst_unused:UNUSED_PAD src0_sel:BYTE_1 src1_sel:BYTE_1
	v_sub_u16_sdwa v127, v127, v130 dst_sel:BYTE_1 dst_unused:UNUSED_PAD src0_sel:DWORD src1_sel:BYTE_3
	v_sub_u16_sdwa v128, v128, v130 dst_sel:DWORD dst_unused:UNUSED_PAD src0_sel:WORD_1 src1_sel:WORD_1
	v_ashrrev_i32_e32 v130, s2, v131
	v_or_b32_sdwa v127, v128, v127 dst_sel:WORD_1 dst_unused:UNUSED_PAD src0_sel:BYTE_0 src1_sel:DWORD
	v_ashrrev_i32_e32 v128, s25, v129
	v_lshlrev_b32_e32 v130, 2, v130
	v_or_b32_sdwa v133, v133, v139 dst_sel:DWORD dst_unused:UNUSED_PAD src0_sel:BYTE_0 src1_sel:DWORD
	v_and_b32_e32 v129, 0x3030303, v128
	v_bfe_u32 v128, v128, 24, 2
	v_and_b32_e32 v130, 0x4040404, v130
	v_or_b32_sdwa v127, v133, v127 dst_sel:DWORD dst_unused:UNUSED_PAD src0_sel:WORD_0 src1_sel:DWORD
	v_sub_u16_e32 v131, v129, v130
	v_sub_u16_sdwa v133, v129, v130 dst_sel:BYTE_1 dst_unused:UNUSED_PAD src0_sel:BYTE_1 src1_sel:BYTE_1
	v_sub_u16_sdwa v128, v128, v130 dst_sel:BYTE_1 dst_unused:UNUSED_PAD src0_sel:DWORD src1_sel:BYTE_3
	v_sub_u16_sdwa v129, v129, v130 dst_sel:DWORD dst_unused:UNUSED_PAD src0_sel:WORD_1 src1_sel:WORD_1
	v_or_b32_sdwa v131, v131, v133 dst_sel:DWORD dst_unused:UNUSED_PAD src0_sel:BYTE_0 src1_sel:DWORD
	v_or_b32_sdwa v128, v129, v128 dst_sel:WORD_1 dst_unused:UNUSED_PAD src0_sel:BYTE_0 src1_sel:DWORD
	v_add_u32_e32 v130, s37, v39
	v_or_b32_sdwa v129, v131, v128 dst_sel:DWORD dst_unused:UNUSED_PAD src0_sel:WORD_0 src1_sel:DWORD
	v_add3_u32 v128, v69, s24, v126
	ds_read_b32 v130, v130
	ds_read_u16 v128, v128 offset:26370
	v_mov_b32_e32 v131, 0
	v_dot4c_i32_i8_e32 v131, v132, v6
	v_dot4c_i32_i8_e32 v131, v134, v7
	;; [unrolled: 1-line block ×4, first 2 shown]
	s_waitcnt lgkmcnt(0)
	v_lshrrev_b16_e32 v132, 8, v128
	v_bfe_i32 v128, v128, 0, 8
	v_add_lshl_u32 v133, v41, s35, 2
	v_mul_lo_u32 v128, v131, v128
	v_mov_b32_e32 v131, 0
	v_dot4c_i32_i8_e32 v131, v137, v2
	v_dot4c_i32_i8_e32 v131, v138, v3
	;; [unrolled: 1-line block ×4, first 2 shown]
	v_bfe_i32 v127, v132, 0, 8
	s_nop 1
	v_mad_u64_u32 v[128:129], s[38:39], v131, v127, v[128:129]
	v_cvt_f32_i32_e32 v128, v128
	v_mul_f32_e32 v127, v125, v130
	v_add_u32_e32 v130, 0x4200, v133
	ds_read2_b32 v[130:131], v130 offset1:1
	v_fmac_f32_e32 v61, v127, v128
	v_add_u32_e32 v127, s36, v43
	ds_read2_b32 v[128:129], v127 offset1:1
	s_waitcnt lgkmcnt(1)
	v_ashrrev_i32_e32 v130, s2, v130
	v_lshlrev_b32_e32 v130, 2, v130
	v_and_b32_e32 v130, 0x4040404, v130
	s_waitcnt lgkmcnt(0)
	v_ashrrev_i32_e32 v128, s25, v128
	v_and_b32_e32 v132, 0x3030303, v128
	v_bfe_u32 v128, v128, 24, 2
	v_sub_u16_e32 v134, v132, v130
	v_sub_u16_sdwa v135, v132, v130 dst_sel:BYTE_1 dst_unused:UNUSED_PAD src0_sel:BYTE_1 src1_sel:BYTE_1
	v_sub_u16_sdwa v128, v128, v130 dst_sel:BYTE_1 dst_unused:UNUSED_PAD src0_sel:DWORD src1_sel:BYTE_3
	v_sub_u16_sdwa v130, v132, v130 dst_sel:DWORD dst_unused:UNUSED_PAD src0_sel:WORD_1 src1_sel:WORD_1
	v_or_b32_sdwa v134, v134, v135 dst_sel:DWORD dst_unused:UNUSED_PAD src0_sel:BYTE_0 src1_sel:DWORD
	v_or_b32_sdwa v128, v130, v128 dst_sel:WORD_1 dst_unused:UNUSED_PAD src0_sel:BYTE_0 src1_sel:DWORD
	v_ashrrev_i32_e32 v130, s2, v131
	v_or_b32_sdwa v132, v134, v128 dst_sel:DWORD dst_unused:UNUSED_PAD src0_sel:WORD_0 src1_sel:DWORD
	v_ashrrev_i32_e32 v128, s25, v129
	v_lshlrev_b32_e32 v130, 2, v130
	v_and_b32_e32 v129, 0x3030303, v128
	v_bfe_u32 v128, v128, 24, 2
	v_and_b32_e32 v130, 0x4040404, v130
	v_sub_u16_e32 v131, v129, v130
	v_sub_u16_sdwa v134, v129, v130 dst_sel:BYTE_1 dst_unused:UNUSED_PAD src0_sel:BYTE_1 src1_sel:BYTE_1
	v_sub_u16_sdwa v128, v128, v130 dst_sel:BYTE_1 dst_unused:UNUSED_PAD src0_sel:DWORD src1_sel:BYTE_3
	v_sub_u16_sdwa v129, v129, v130 dst_sel:DWORD dst_unused:UNUSED_PAD src0_sel:WORD_1 src1_sel:WORD_1
	v_or_b32_sdwa v131, v131, v134 dst_sel:DWORD dst_unused:UNUSED_PAD src0_sel:BYTE_0 src1_sel:DWORD
	v_or_b32_sdwa v128, v129, v128 dst_sel:WORD_1 dst_unused:UNUSED_PAD src0_sel:BYTE_0 src1_sel:DWORD
	v_add_u32_e32 v130, 0x4208, v133
	v_or_b32_sdwa v134, v131, v128 dst_sel:DWORD dst_unused:UNUSED_PAD src0_sel:WORD_0 src1_sel:DWORD
	ds_read2_b32 v[128:129], v127 offset0:2 offset1:3
	ds_read2_b32 v[130:131], v130 offset1:1
	s_waitcnt lgkmcnt(1)
	v_ashrrev_i32_e32 v128, s25, v128
	s_waitcnt lgkmcnt(0)
	v_ashrrev_i32_e32 v130, s2, v130
	v_lshlrev_b32_e32 v130, 2, v130
	v_and_b32_e32 v135, 0x3030303, v128
	v_bfe_u32 v128, v128, 24, 2
	v_and_b32_e32 v130, 0x4040404, v130
	v_sub_u16_e32 v136, v135, v130
	v_sub_u16_sdwa v137, v135, v130 dst_sel:BYTE_1 dst_unused:UNUSED_PAD src0_sel:BYTE_1 src1_sel:BYTE_1
	v_sub_u16_sdwa v128, v128, v130 dst_sel:BYTE_1 dst_unused:UNUSED_PAD src0_sel:DWORD src1_sel:BYTE_3
	v_sub_u16_sdwa v130, v135, v130 dst_sel:DWORD dst_unused:UNUSED_PAD src0_sel:WORD_1 src1_sel:WORD_1
	v_or_b32_sdwa v136, v136, v137 dst_sel:DWORD dst_unused:UNUSED_PAD src0_sel:BYTE_0 src1_sel:DWORD
	v_or_b32_sdwa v128, v130, v128 dst_sel:WORD_1 dst_unused:UNUSED_PAD src0_sel:BYTE_0 src1_sel:DWORD
	v_ashrrev_i32_e32 v130, s2, v131
	v_or_b32_sdwa v135, v136, v128 dst_sel:DWORD dst_unused:UNUSED_PAD src0_sel:WORD_0 src1_sel:DWORD
	v_ashrrev_i32_e32 v128, s25, v129
	v_lshlrev_b32_e32 v130, 2, v130
	v_and_b32_e32 v129, 0x3030303, v128
	v_bfe_u32 v128, v128, 24, 2
	v_and_b32_e32 v130, 0x4040404, v130
	v_sub_u16_e32 v131, v129, v130
	v_sub_u16_sdwa v136, v129, v130 dst_sel:BYTE_1 dst_unused:UNUSED_PAD src0_sel:BYTE_1 src1_sel:BYTE_1
	v_sub_u16_sdwa v128, v128, v130 dst_sel:BYTE_1 dst_unused:UNUSED_PAD src0_sel:DWORD src1_sel:BYTE_3
	v_sub_u16_sdwa v129, v129, v130 dst_sel:DWORD dst_unused:UNUSED_PAD src0_sel:WORD_1 src1_sel:WORD_1
	v_or_b32_sdwa v131, v131, v136 dst_sel:DWORD dst_unused:UNUSED_PAD src0_sel:BYTE_0 src1_sel:DWORD
	v_or_b32_sdwa v128, v129, v128 dst_sel:WORD_1 dst_unused:UNUSED_PAD src0_sel:BYTE_0 src1_sel:DWORD
	v_add_u32_e32 v130, 0x4210, v133
	v_or_b32_sdwa v136, v131, v128 dst_sel:DWORD dst_unused:UNUSED_PAD src0_sel:WORD_0 src1_sel:DWORD
	ds_read2_b32 v[128:129], v127 offset0:4 offset1:5
	ds_read2_b32 v[130:131], v130 offset1:1
	s_waitcnt lgkmcnt(1)
	v_ashrrev_i32_e32 v128, s25, v128
	s_waitcnt lgkmcnt(0)
	v_ashrrev_i32_e32 v130, s2, v130
	v_lshlrev_b32_e32 v130, 2, v130
	v_and_b32_e32 v137, 0x3030303, v128
	v_bfe_u32 v128, v128, 24, 2
	v_and_b32_e32 v130, 0x4040404, v130
	;; [unrolled: 31-line block ×3, first 2 shown]
	v_sub_u16_e32 v133, v128, v130
	v_sub_u16_sdwa v139, v128, v130 dst_sel:BYTE_1 dst_unused:UNUSED_PAD src0_sel:BYTE_1 src1_sel:BYTE_1
	v_sub_u16_sdwa v127, v127, v130 dst_sel:BYTE_1 dst_unused:UNUSED_PAD src0_sel:DWORD src1_sel:BYTE_3
	v_sub_u16_sdwa v128, v128, v130 dst_sel:DWORD dst_unused:UNUSED_PAD src0_sel:WORD_1 src1_sel:WORD_1
	v_ashrrev_i32_e32 v130, s2, v131
	v_or_b32_sdwa v127, v128, v127 dst_sel:WORD_1 dst_unused:UNUSED_PAD src0_sel:BYTE_0 src1_sel:DWORD
	v_ashrrev_i32_e32 v128, s25, v129
	v_lshlrev_b32_e32 v130, 2, v130
	v_or_b32_sdwa v133, v133, v139 dst_sel:DWORD dst_unused:UNUSED_PAD src0_sel:BYTE_0 src1_sel:DWORD
	v_and_b32_e32 v129, 0x3030303, v128
	v_bfe_u32 v128, v128, 24, 2
	v_and_b32_e32 v130, 0x4040404, v130
	v_or_b32_sdwa v127, v133, v127 dst_sel:DWORD dst_unused:UNUSED_PAD src0_sel:WORD_0 src1_sel:DWORD
	v_sub_u16_e32 v131, v129, v130
	v_sub_u16_sdwa v133, v129, v130 dst_sel:BYTE_1 dst_unused:UNUSED_PAD src0_sel:BYTE_1 src1_sel:BYTE_1
	v_sub_u16_sdwa v128, v128, v130 dst_sel:BYTE_1 dst_unused:UNUSED_PAD src0_sel:DWORD src1_sel:BYTE_3
	v_sub_u16_sdwa v129, v129, v130 dst_sel:DWORD dst_unused:UNUSED_PAD src0_sel:WORD_1 src1_sel:WORD_1
	v_or_b32_sdwa v131, v131, v133 dst_sel:DWORD dst_unused:UNUSED_PAD src0_sel:BYTE_0 src1_sel:DWORD
	v_or_b32_sdwa v128, v129, v128 dst_sel:WORD_1 dst_unused:UNUSED_PAD src0_sel:BYTE_0 src1_sel:DWORD
	v_add_u32_e32 v130, s37, v45
	v_or_b32_sdwa v129, v131, v128 dst_sel:DWORD dst_unused:UNUSED_PAD src0_sel:WORD_0 src1_sel:DWORD
	v_add3_u32 v128, v67, s24, v126
	ds_read_b32 v130, v130
	ds_read_u16 v128, v128 offset:27394
	v_mov_b32_e32 v131, 0
	v_dot4c_i32_i8_e32 v131, v132, v6
	v_dot4c_i32_i8_e32 v131, v134, v7
	;; [unrolled: 1-line block ×4, first 2 shown]
	s_waitcnt lgkmcnt(0)
	v_lshrrev_b16_e32 v132, 8, v128
	v_bfe_i32 v128, v128, 0, 8
	v_add_lshl_u32 v133, v47, s35, 2
	v_mul_lo_u32 v128, v131, v128
	v_mov_b32_e32 v131, 0
	v_dot4c_i32_i8_e32 v131, v137, v2
	v_dot4c_i32_i8_e32 v131, v138, v3
	;; [unrolled: 1-line block ×4, first 2 shown]
	v_bfe_i32 v127, v132, 0, 8
	v_add3_u32 v126, v65, s24, v126
	s_mov_b32 s24, s25
	v_mad_u64_u32 v[128:129], s[38:39], v131, v127, v[128:129]
	v_cvt_f32_i32_e32 v128, v128
	v_mul_f32_e32 v127, v125, v130
	v_add_u32_e32 v130, 0x4200, v133
	ds_read2_b32 v[130:131], v130 offset1:1
	v_fmac_f32_e32 v51, v127, v128
	v_add_u32_e32 v127, s36, v49
	ds_read2_b32 v[128:129], v127 offset1:1
	s_waitcnt lgkmcnt(1)
	v_ashrrev_i32_e32 v130, s2, v130
	v_lshlrev_b32_e32 v130, 2, v130
	v_and_b32_e32 v130, 0x4040404, v130
	s_waitcnt lgkmcnt(0)
	v_ashrrev_i32_e32 v128, s25, v128
	v_and_b32_e32 v132, 0x3030303, v128
	v_bfe_u32 v128, v128, 24, 2
	v_sub_u16_e32 v134, v132, v130
	v_sub_u16_sdwa v135, v132, v130 dst_sel:BYTE_1 dst_unused:UNUSED_PAD src0_sel:BYTE_1 src1_sel:BYTE_1
	v_sub_u16_sdwa v128, v128, v130 dst_sel:BYTE_1 dst_unused:UNUSED_PAD src0_sel:DWORD src1_sel:BYTE_3
	v_sub_u16_sdwa v130, v132, v130 dst_sel:DWORD dst_unused:UNUSED_PAD src0_sel:WORD_1 src1_sel:WORD_1
	v_or_b32_sdwa v134, v134, v135 dst_sel:DWORD dst_unused:UNUSED_PAD src0_sel:BYTE_0 src1_sel:DWORD
	v_or_b32_sdwa v128, v130, v128 dst_sel:WORD_1 dst_unused:UNUSED_PAD src0_sel:BYTE_0 src1_sel:DWORD
	v_ashrrev_i32_e32 v130, s2, v131
	v_or_b32_sdwa v132, v134, v128 dst_sel:DWORD dst_unused:UNUSED_PAD src0_sel:WORD_0 src1_sel:DWORD
	v_ashrrev_i32_e32 v128, s25, v129
	v_lshlrev_b32_e32 v130, 2, v130
	v_and_b32_e32 v129, 0x3030303, v128
	v_bfe_u32 v128, v128, 24, 2
	v_and_b32_e32 v130, 0x4040404, v130
	v_sub_u16_e32 v131, v129, v130
	v_sub_u16_sdwa v134, v129, v130 dst_sel:BYTE_1 dst_unused:UNUSED_PAD src0_sel:BYTE_1 src1_sel:BYTE_1
	v_sub_u16_sdwa v128, v128, v130 dst_sel:BYTE_1 dst_unused:UNUSED_PAD src0_sel:DWORD src1_sel:BYTE_3
	v_sub_u16_sdwa v129, v129, v130 dst_sel:DWORD dst_unused:UNUSED_PAD src0_sel:WORD_1 src1_sel:WORD_1
	v_or_b32_sdwa v131, v131, v134 dst_sel:DWORD dst_unused:UNUSED_PAD src0_sel:BYTE_0 src1_sel:DWORD
	v_or_b32_sdwa v128, v129, v128 dst_sel:WORD_1 dst_unused:UNUSED_PAD src0_sel:BYTE_0 src1_sel:DWORD
	v_add_u32_e32 v130, 0x4208, v133
	v_or_b32_sdwa v134, v131, v128 dst_sel:DWORD dst_unused:UNUSED_PAD src0_sel:WORD_0 src1_sel:DWORD
	ds_read2_b32 v[128:129], v127 offset0:2 offset1:3
	ds_read2_b32 v[130:131], v130 offset1:1
	s_waitcnt lgkmcnt(1)
	v_ashrrev_i32_e32 v128, s25, v128
	s_waitcnt lgkmcnt(0)
	v_ashrrev_i32_e32 v130, s2, v130
	v_lshlrev_b32_e32 v130, 2, v130
	v_and_b32_e32 v135, 0x3030303, v128
	v_bfe_u32 v128, v128, 24, 2
	v_and_b32_e32 v130, 0x4040404, v130
	v_sub_u16_e32 v136, v135, v130
	v_sub_u16_sdwa v137, v135, v130 dst_sel:BYTE_1 dst_unused:UNUSED_PAD src0_sel:BYTE_1 src1_sel:BYTE_1
	v_sub_u16_sdwa v128, v128, v130 dst_sel:BYTE_1 dst_unused:UNUSED_PAD src0_sel:DWORD src1_sel:BYTE_3
	v_sub_u16_sdwa v130, v135, v130 dst_sel:DWORD dst_unused:UNUSED_PAD src0_sel:WORD_1 src1_sel:WORD_1
	v_or_b32_sdwa v136, v136, v137 dst_sel:DWORD dst_unused:UNUSED_PAD src0_sel:BYTE_0 src1_sel:DWORD
	v_or_b32_sdwa v128, v130, v128 dst_sel:WORD_1 dst_unused:UNUSED_PAD src0_sel:BYTE_0 src1_sel:DWORD
	v_ashrrev_i32_e32 v130, s2, v131
	v_or_b32_sdwa v135, v136, v128 dst_sel:DWORD dst_unused:UNUSED_PAD src0_sel:WORD_0 src1_sel:DWORD
	v_ashrrev_i32_e32 v128, s25, v129
	v_lshlrev_b32_e32 v130, 2, v130
	v_and_b32_e32 v129, 0x3030303, v128
	v_bfe_u32 v128, v128, 24, 2
	v_and_b32_e32 v130, 0x4040404, v130
	v_sub_u16_e32 v131, v129, v130
	v_sub_u16_sdwa v136, v129, v130 dst_sel:BYTE_1 dst_unused:UNUSED_PAD src0_sel:BYTE_1 src1_sel:BYTE_1
	v_sub_u16_sdwa v128, v128, v130 dst_sel:BYTE_1 dst_unused:UNUSED_PAD src0_sel:DWORD src1_sel:BYTE_3
	v_sub_u16_sdwa v129, v129, v130 dst_sel:DWORD dst_unused:UNUSED_PAD src0_sel:WORD_1 src1_sel:WORD_1
	v_or_b32_sdwa v131, v131, v136 dst_sel:DWORD dst_unused:UNUSED_PAD src0_sel:BYTE_0 src1_sel:DWORD
	v_or_b32_sdwa v128, v129, v128 dst_sel:WORD_1 dst_unused:UNUSED_PAD src0_sel:BYTE_0 src1_sel:DWORD
	v_add_u32_e32 v130, 0x4210, v133
	v_or_b32_sdwa v136, v131, v128 dst_sel:DWORD dst_unused:UNUSED_PAD src0_sel:WORD_0 src1_sel:DWORD
	ds_read2_b32 v[128:129], v127 offset0:4 offset1:5
	ds_read2_b32 v[130:131], v130 offset1:1
	s_waitcnt lgkmcnt(1)
	v_ashrrev_i32_e32 v128, s25, v128
	s_waitcnt lgkmcnt(0)
	v_ashrrev_i32_e32 v130, s2, v130
	v_lshlrev_b32_e32 v130, 2, v130
	v_and_b32_e32 v137, 0x3030303, v128
	v_bfe_u32 v128, v128, 24, 2
	v_and_b32_e32 v130, 0x4040404, v130
	;; [unrolled: 31-line block ×3, first 2 shown]
	v_sub_u16_e32 v133, v128, v130
	v_sub_u16_sdwa v139, v128, v130 dst_sel:BYTE_1 dst_unused:UNUSED_PAD src0_sel:BYTE_1 src1_sel:BYTE_1
	v_sub_u16_sdwa v127, v127, v130 dst_sel:BYTE_1 dst_unused:UNUSED_PAD src0_sel:DWORD src1_sel:BYTE_3
	v_sub_u16_sdwa v128, v128, v130 dst_sel:DWORD dst_unused:UNUSED_PAD src0_sel:WORD_1 src1_sel:WORD_1
	v_ashrrev_i32_e32 v130, s2, v131
	v_or_b32_sdwa v127, v128, v127 dst_sel:WORD_1 dst_unused:UNUSED_PAD src0_sel:BYTE_0 src1_sel:DWORD
	v_ashrrev_i32_e32 v128, s25, v129
	v_lshlrev_b32_e32 v130, 2, v130
	v_or_b32_sdwa v133, v133, v139 dst_sel:DWORD dst_unused:UNUSED_PAD src0_sel:BYTE_0 src1_sel:DWORD
	v_and_b32_e32 v129, 0x3030303, v128
	v_bfe_u32 v128, v128, 24, 2
	v_and_b32_e32 v130, 0x4040404, v130
	v_or_b32_sdwa v127, v133, v127 dst_sel:DWORD dst_unused:UNUSED_PAD src0_sel:WORD_0 src1_sel:DWORD
	v_sub_u16_e32 v131, v129, v130
	v_sub_u16_sdwa v133, v129, v130 dst_sel:BYTE_1 dst_unused:UNUSED_PAD src0_sel:BYTE_1 src1_sel:BYTE_1
	v_sub_u16_sdwa v128, v128, v130 dst_sel:BYTE_1 dst_unused:UNUSED_PAD src0_sel:DWORD src1_sel:BYTE_3
	v_sub_u16_sdwa v129, v129, v130 dst_sel:DWORD dst_unused:UNUSED_PAD src0_sel:WORD_1 src1_sel:WORD_1
	v_or_b32_sdwa v128, v129, v128 dst_sel:WORD_1 dst_unused:UNUSED_PAD src0_sel:BYTE_0 src1_sel:DWORD
	v_add_u32_e32 v129, s37, v53
	v_mov_b32_e32 v130, 0
	ds_read_b32 v129, v129
	v_dot4c_i32_i8_e32 v130, v132, v6
	ds_read_u16 v6, v126 offset:28418
	v_dot4c_i32_i8_e32 v130, v134, v7
	v_dot4c_i32_i8_e32 v130, v135, v8
	v_mov_b32_e32 v8, 0
	v_dot4c_i32_i8_e32 v8, v137, v2
	v_or_b32_sdwa v131, v131, v133 dst_sel:DWORD dst_unused:UNUSED_PAD src0_sel:BYTE_0 src1_sel:DWORD
	v_dot4c_i32_i8_e32 v8, v138, v3
	v_or_b32_sdwa v128, v131, v128 dst_sel:DWORD dst_unused:UNUSED_PAD src0_sel:WORD_0 src1_sel:DWORD
	v_dot4c_i32_i8_e32 v130, v136, v9
	s_waitcnt lgkmcnt(0)
	v_lshrrev_b16_e32 v7, 8, v6
	v_bfe_i32 v6, v6, 0, 8
	v_dot4c_i32_i8_e32 v8, v127, v4
	v_mul_lo_u32 v6, v130, v6
	v_dot4c_i32_i8_e32 v8, v128, v5
	v_bfe_i32 v2, v7, 0, 8
	s_add_i32 s2, s2, 1
	s_cmp_lt_u32 s25, 6
	v_mad_u64_u32 v[2:3], s[36:37], v8, v2, v[6:7]
	v_cvt_f32_i32_e32 v2, v2
	v_mul_f32_e32 v3, v125, v129
	v_fmac_f32_e32 v11, v3, v2
	s_cbranch_scc1 .LBB230_12
; %bb.13:                               ;   in Loop: Header=BB230_5 Depth=1
	s_or_b32 s2, s34, 0x80
	s_cmp_ge_i32 s2, s5
	s_barrier
	s_cbranch_scc1 .LBB230_4
; %bb.14:                               ;   in Loop: Header=BB230_5 Depth=1
	v_add_u32_e32 v2, s33, v55
	v_cmp_gt_i32_e64 s[2:3], s8, v2
	s_and_b64 s[24:25], s[0:1], s[2:3]
	s_and_saveexec_b64 s[2:3], s[24:25]
	s_cbranch_execz .LBB230_16
; %bb.15:                               ;   in Loop: Header=BB230_5 Depth=1
	v_add_u32_e32 v2, v116, v2
	v_mad_i64_i32 v[2:3], s[24:25], v2, 36, v[114:115]
	global_load_dword v2, v[2:3], off offset:4
	s_waitcnt vmcnt(0)
	ds_write_b32 v23, v2
.LBB230_16:                             ;   in Loop: Header=BB230_5 Depth=1
	s_or_b64 exec, exec, s[2:3]
	s_and_saveexec_b64 s[24:25], vcc
	s_cbranch_execz .LBB230_19
; %bb.17:                               ;   in Loop: Header=BB230_5 Depth=1
	v_or_b32_e32 v2, s33, v15
	v_or_b32_e32 v3, 4, v2
	v_cmp_gt_i32_e64 s[2:3], s8, v3
	s_and_b64 s[2:3], s[0:1], s[2:3]
	s_and_b64 exec, exec, s[2:3]
	s_cbranch_execz .LBB230_19
; %bb.18:                               ;   in Loop: Header=BB230_5 Depth=1
	v_ashrrev_i32_e32 v3, 31, v2
	v_lshl_add_u64 v[2:3], v[116:117], 0, v[2:3]
	v_mad_u64_u32 v[4:5], s[2:3], v2, 36, s[12:13]
	v_mad_i32_i24 v5, v3, 36, v5
	global_load_dword v2, v[4:5], off
	s_waitcnt vmcnt(0)
	v_cvt_f32_f16_e32 v2, v2
	ds_write_b32 v25, v2
.LBB230_19:                             ;   in Loop: Header=BB230_5 Depth=1
	s_or_b64 exec, exec, s[24:25]
	s_mov_b32 s2, 8
	s_mov_b32 s3, 0
	;; [unrolled: 1-line block ×3, first 2 shown]
	v_mov_b32_e32 v123, v73
	v_mov_b32_e32 v124, v75
	s_waitcnt lgkmcnt(0)
	s_barrier
.LBB230_20:                             ;   Parent Loop BB230_5 Depth=1
                                        ; =>  This Inner Loop Header: Depth=2
	s_add_i32 s25, s3, 8
	s_lshr_b32 s38, s25, 4
	s_and_b32 s37, s25, 0x3ffffff8
	s_lshl_b32 s36, s38, 3
	s_lshl_b32 s37, s37, 2
	v_add_lshl_u32 v132, v29, s36, 2
	v_add_u32_e32 v130, s37, v31
	v_add_u32_e32 v128, 0x4200, v132
	ds_read_b32 v125, v124
	ds_read_b128 v[6:9], v123
	ds_read_b128 v[2:5], v123 offset:16
	ds_read2_b32 v[126:127], v130 offset1:1
	ds_read2_b32 v[128:129], v128 offset1:1
	s_and_b32 s35, s2, -16
	s_lshl_b32 s38, s38, 2
	s_add_i32 s2, s2, 2
	s_waitcnt lgkmcnt(1)
	v_ashrrev_i32_e32 v126, s3, v126
	s_waitcnt lgkmcnt(0)
	v_ashrrev_i32_e32 v128, s24, v128
	v_lshlrev_b32_e32 v128, 2, v128
	v_and_b32_e32 v131, 0x3030303, v126
	v_bfe_u32 v126, v126, 24, 2
	v_and_b32_e32 v128, 0x4040404, v128
	v_sub_u16_e32 v133, v131, v128
	v_sub_u16_sdwa v134, v131, v128 dst_sel:BYTE_1 dst_unused:UNUSED_PAD src0_sel:BYTE_1 src1_sel:BYTE_1
	v_sub_u16_sdwa v126, v126, v128 dst_sel:BYTE_1 dst_unused:UNUSED_PAD src0_sel:DWORD src1_sel:BYTE_3
	v_sub_u16_sdwa v128, v131, v128 dst_sel:DWORD dst_unused:UNUSED_PAD src0_sel:WORD_1 src1_sel:WORD_1
	v_or_b32_sdwa v133, v133, v134 dst_sel:DWORD dst_unused:UNUSED_PAD src0_sel:BYTE_0 src1_sel:DWORD
	v_or_b32_sdwa v126, v128, v126 dst_sel:WORD_1 dst_unused:UNUSED_PAD src0_sel:BYTE_0 src1_sel:DWORD
	v_ashrrev_i32_e32 v128, s24, v129
	v_or_b32_sdwa v131, v133, v126 dst_sel:DWORD dst_unused:UNUSED_PAD src0_sel:WORD_0 src1_sel:DWORD
	v_ashrrev_i32_e32 v126, s3, v127
	v_lshlrev_b32_e32 v128, 2, v128
	v_and_b32_e32 v127, 0x3030303, v126
	v_bfe_u32 v126, v126, 24, 2
	v_and_b32_e32 v128, 0x4040404, v128
	v_sub_u16_e32 v129, v127, v128
	v_sub_u16_sdwa v133, v127, v128 dst_sel:BYTE_1 dst_unused:UNUSED_PAD src0_sel:BYTE_1 src1_sel:BYTE_1
	v_sub_u16_sdwa v126, v126, v128 dst_sel:BYTE_1 dst_unused:UNUSED_PAD src0_sel:DWORD src1_sel:BYTE_3
	v_sub_u16_sdwa v127, v127, v128 dst_sel:DWORD dst_unused:UNUSED_PAD src0_sel:WORD_1 src1_sel:WORD_1
	v_or_b32_sdwa v129, v129, v133 dst_sel:DWORD dst_unused:UNUSED_PAD src0_sel:BYTE_0 src1_sel:DWORD
	v_or_b32_sdwa v126, v127, v126 dst_sel:WORD_1 dst_unused:UNUSED_PAD src0_sel:BYTE_0 src1_sel:DWORD
	v_add_u32_e32 v128, 0x4208, v132
	v_or_b32_sdwa v133, v129, v126 dst_sel:DWORD dst_unused:UNUSED_PAD src0_sel:WORD_0 src1_sel:DWORD
	ds_read2_b32 v[126:127], v130 offset0:2 offset1:3
	ds_read2_b32 v[128:129], v128 offset1:1
	v_add_u32_e32 v124, 4, v124
	v_add_u32_e32 v123, 32, v123
	s_waitcnt lgkmcnt(1)
	v_ashrrev_i32_e32 v126, s3, v126
	s_waitcnt lgkmcnt(0)
	v_ashrrev_i32_e32 v128, s24, v128
	v_lshlrev_b32_e32 v128, 2, v128
	v_and_b32_e32 v134, 0x3030303, v126
	v_bfe_u32 v126, v126, 24, 2
	v_and_b32_e32 v128, 0x4040404, v128
	v_sub_u16_e32 v135, v134, v128
	v_sub_u16_sdwa v136, v134, v128 dst_sel:BYTE_1 dst_unused:UNUSED_PAD src0_sel:BYTE_1 src1_sel:BYTE_1
	v_sub_u16_sdwa v126, v126, v128 dst_sel:BYTE_1 dst_unused:UNUSED_PAD src0_sel:DWORD src1_sel:BYTE_3
	v_sub_u16_sdwa v128, v134, v128 dst_sel:DWORD dst_unused:UNUSED_PAD src0_sel:WORD_1 src1_sel:WORD_1
	v_or_b32_sdwa v135, v135, v136 dst_sel:DWORD dst_unused:UNUSED_PAD src0_sel:BYTE_0 src1_sel:DWORD
	v_or_b32_sdwa v126, v128, v126 dst_sel:WORD_1 dst_unused:UNUSED_PAD src0_sel:BYTE_0 src1_sel:DWORD
	v_ashrrev_i32_e32 v128, s24, v129
	v_or_b32_sdwa v134, v135, v126 dst_sel:DWORD dst_unused:UNUSED_PAD src0_sel:WORD_0 src1_sel:DWORD
	v_ashrrev_i32_e32 v126, s3, v127
	v_lshlrev_b32_e32 v128, 2, v128
	v_and_b32_e32 v127, 0x3030303, v126
	v_bfe_u32 v126, v126, 24, 2
	v_and_b32_e32 v128, 0x4040404, v128
	v_sub_u16_e32 v129, v127, v128
	v_sub_u16_sdwa v135, v127, v128 dst_sel:BYTE_1 dst_unused:UNUSED_PAD src0_sel:BYTE_1 src1_sel:BYTE_1
	v_sub_u16_sdwa v126, v126, v128 dst_sel:BYTE_1 dst_unused:UNUSED_PAD src0_sel:DWORD src1_sel:BYTE_3
	v_sub_u16_sdwa v127, v127, v128 dst_sel:DWORD dst_unused:UNUSED_PAD src0_sel:WORD_1 src1_sel:WORD_1
	v_or_b32_sdwa v129, v129, v135 dst_sel:DWORD dst_unused:UNUSED_PAD src0_sel:BYTE_0 src1_sel:DWORD
	v_or_b32_sdwa v126, v127, v126 dst_sel:WORD_1 dst_unused:UNUSED_PAD src0_sel:BYTE_0 src1_sel:DWORD
	v_add_u32_e32 v128, 0x4210, v132
	v_or_b32_sdwa v135, v129, v126 dst_sel:DWORD dst_unused:UNUSED_PAD src0_sel:WORD_0 src1_sel:DWORD
	ds_read2_b32 v[126:127], v130 offset0:4 offset1:5
	ds_read2_b32 v[128:129], v128 offset1:1
	s_waitcnt lgkmcnt(1)
	v_ashrrev_i32_e32 v126, s3, v126
	s_waitcnt lgkmcnt(0)
	v_ashrrev_i32_e32 v128, s24, v128
	v_lshlrev_b32_e32 v128, 2, v128
	v_and_b32_e32 v136, 0x3030303, v126
	v_bfe_u32 v126, v126, 24, 2
	v_and_b32_e32 v128, 0x4040404, v128
	v_sub_u16_e32 v137, v136, v128
	v_sub_u16_sdwa v138, v136, v128 dst_sel:BYTE_1 dst_unused:UNUSED_PAD src0_sel:BYTE_1 src1_sel:BYTE_1
	v_sub_u16_sdwa v126, v126, v128 dst_sel:BYTE_1 dst_unused:UNUSED_PAD src0_sel:DWORD src1_sel:BYTE_3
	v_sub_u16_sdwa v128, v136, v128 dst_sel:DWORD dst_unused:UNUSED_PAD src0_sel:WORD_1 src1_sel:WORD_1
	v_or_b32_sdwa v137, v137, v138 dst_sel:DWORD dst_unused:UNUSED_PAD src0_sel:BYTE_0 src1_sel:DWORD
	v_or_b32_sdwa v126, v128, v126 dst_sel:WORD_1 dst_unused:UNUSED_PAD src0_sel:BYTE_0 src1_sel:DWORD
	v_ashrrev_i32_e32 v128, s24, v129
	v_or_b32_sdwa v136, v137, v126 dst_sel:DWORD dst_unused:UNUSED_PAD src0_sel:WORD_0 src1_sel:DWORD
	v_ashrrev_i32_e32 v126, s3, v127
	v_lshlrev_b32_e32 v128, 2, v128
	v_and_b32_e32 v127, 0x3030303, v126
	v_bfe_u32 v126, v126, 24, 2
	v_and_b32_e32 v128, 0x4040404, v128
	v_sub_u16_e32 v129, v127, v128
	v_sub_u16_sdwa v137, v127, v128 dst_sel:BYTE_1 dst_unused:UNUSED_PAD src0_sel:BYTE_1 src1_sel:BYTE_1
	v_sub_u16_sdwa v126, v126, v128 dst_sel:BYTE_1 dst_unused:UNUSED_PAD src0_sel:DWORD src1_sel:BYTE_3
	v_sub_u16_sdwa v127, v127, v128 dst_sel:DWORD dst_unused:UNUSED_PAD src0_sel:WORD_1 src1_sel:WORD_1
	v_or_b32_sdwa v129, v129, v137 dst_sel:DWORD dst_unused:UNUSED_PAD src0_sel:BYTE_0 src1_sel:DWORD
	v_or_b32_sdwa v126, v127, v126 dst_sel:WORD_1 dst_unused:UNUSED_PAD src0_sel:BYTE_0 src1_sel:DWORD
	v_add_u32_e32 v128, 0x4218, v132
	v_or_b32_sdwa v137, v129, v126 dst_sel:DWORD dst_unused:UNUSED_PAD src0_sel:WORD_0 src1_sel:DWORD
	ds_read2_b32 v[126:127], v130 offset0:6 offset1:7
	ds_read2_b32 v[128:129], v128 offset1:1
	s_waitcnt lgkmcnt(1)
	v_ashrrev_i32_e32 v126, s3, v126
	s_waitcnt lgkmcnt(0)
	v_ashrrev_i32_e32 v128, s24, v128
	v_lshlrev_b32_e32 v128, 2, v128
	v_and_b32_e32 v130, 0x3030303, v126
	v_bfe_u32 v126, v126, 24, 2
	v_and_b32_e32 v128, 0x4040404, v128
	v_sub_u16_e32 v132, v130, v128
	v_sub_u16_sdwa v138, v130, v128 dst_sel:BYTE_1 dst_unused:UNUSED_PAD src0_sel:BYTE_1 src1_sel:BYTE_1
	v_sub_u16_sdwa v126, v126, v128 dst_sel:BYTE_1 dst_unused:UNUSED_PAD src0_sel:DWORD src1_sel:BYTE_3
	v_sub_u16_sdwa v128, v130, v128 dst_sel:DWORD dst_unused:UNUSED_PAD src0_sel:WORD_1 src1_sel:WORD_1
	v_or_b32_sdwa v132, v132, v138 dst_sel:DWORD dst_unused:UNUSED_PAD src0_sel:BYTE_0 src1_sel:DWORD
	v_or_b32_sdwa v126, v128, v126 dst_sel:WORD_1 dst_unused:UNUSED_PAD src0_sel:BYTE_0 src1_sel:DWORD
	v_ashrrev_i32_e32 v128, s24, v129
	v_or_b32_sdwa v130, v132, v126 dst_sel:DWORD dst_unused:UNUSED_PAD src0_sel:WORD_0 src1_sel:DWORD
	v_ashrrev_i32_e32 v126, s3, v127
	v_lshlrev_b32_e32 v128, 2, v128
	v_and_b32_e32 v127, 0x3030303, v126
	v_bfe_u32 v126, v126, 24, 2
	v_and_b32_e32 v128, 0x4040404, v128
	v_sub_u16_e32 v129, v127, v128
	v_sub_u16_sdwa v132, v127, v128 dst_sel:BYTE_1 dst_unused:UNUSED_PAD src0_sel:BYTE_1 src1_sel:BYTE_1
	v_sub_u16_sdwa v126, v126, v128 dst_sel:BYTE_1 dst_unused:UNUSED_PAD src0_sel:DWORD src1_sel:BYTE_3
	v_sub_u16_sdwa v127, v127, v128 dst_sel:DWORD dst_unused:UNUSED_PAD src0_sel:WORD_1 src1_sel:WORD_1
	v_or_b32_sdwa v129, v129, v132 dst_sel:DWORD dst_unused:UNUSED_PAD src0_sel:BYTE_0 src1_sel:DWORD
	v_or_b32_sdwa v126, v127, v126 dst_sel:WORD_1 dst_unused:UNUSED_PAD src0_sel:BYTE_0 src1_sel:DWORD
	s_nop 0
	v_or_b32_sdwa v127, v129, v126 dst_sel:DWORD dst_unused:UNUSED_PAD src0_sel:WORD_0 src1_sel:DWORD
	v_add_u32_e32 v126, s3, v27
	v_add3_u32 v128, v83, s35, v126
	v_add_u32_e32 v129, s38, v33
	ds_read_b32 v132, v129
	ds_read_u16 v128, v128
	v_mov_b32_e32 v129, 0
	v_dot4c_i32_i8_e32 v129, v131, v6
	v_dot4c_i32_i8_e32 v129, v133, v7
	v_dot4c_i32_i8_e32 v129, v134, v8
	v_dot4c_i32_i8_e32 v129, v135, v9
	s_waitcnt lgkmcnt(0)
	v_lshrrev_b16_e32 v131, 8, v128
	v_bfe_i32 v128, v128, 0, 8
	v_add_lshl_u32 v133, v35, s36, 2
	v_mul_lo_u32 v128, v129, v128
	v_mov_b32_e32 v129, 0
	v_dot4c_i32_i8_e32 v129, v136, v2
	v_dot4c_i32_i8_e32 v129, v137, v3
	;; [unrolled: 1-line block ×4, first 2 shown]
	v_bfe_i32 v127, v131, 0, 8
	v_add_u32_e32 v130, 0x4200, v133
	ds_read2_b32 v[130:131], v130 offset1:1
	v_mad_u64_u32 v[128:129], s[40:41], v129, v127, v[128:129]
	v_cvt_f32_i32_e32 v128, v128
	v_mul_f32_e32 v127, v125, v132
	s_waitcnt lgkmcnt(0)
	v_ashrrev_i32_e32 v130, s24, v130
	v_lshlrev_b32_e32 v130, 2, v130
	v_fmac_f32_e32 v63, v127, v128
	v_add_u32_e32 v127, s37, v37
	ds_read2_b32 v[128:129], v127 offset1:1
	v_and_b32_e32 v130, 0x4040404, v130
	s_waitcnt lgkmcnt(0)
	v_ashrrev_i32_e32 v128, s3, v128
	v_and_b32_e32 v132, 0x3030303, v128
	v_bfe_u32 v128, v128, 24, 2
	v_sub_u16_e32 v134, v132, v130
	v_sub_u16_sdwa v135, v132, v130 dst_sel:BYTE_1 dst_unused:UNUSED_PAD src0_sel:BYTE_1 src1_sel:BYTE_1
	v_sub_u16_sdwa v128, v128, v130 dst_sel:BYTE_1 dst_unused:UNUSED_PAD src0_sel:DWORD src1_sel:BYTE_3
	v_sub_u16_sdwa v130, v132, v130 dst_sel:DWORD dst_unused:UNUSED_PAD src0_sel:WORD_1 src1_sel:WORD_1
	v_or_b32_sdwa v134, v134, v135 dst_sel:DWORD dst_unused:UNUSED_PAD src0_sel:BYTE_0 src1_sel:DWORD
	v_or_b32_sdwa v128, v130, v128 dst_sel:WORD_1 dst_unused:UNUSED_PAD src0_sel:BYTE_0 src1_sel:DWORD
	v_ashrrev_i32_e32 v130, s24, v131
	v_or_b32_sdwa v132, v134, v128 dst_sel:DWORD dst_unused:UNUSED_PAD src0_sel:WORD_0 src1_sel:DWORD
	v_ashrrev_i32_e32 v128, s3, v129
	v_lshlrev_b32_e32 v130, 2, v130
	v_and_b32_e32 v129, 0x3030303, v128
	v_bfe_u32 v128, v128, 24, 2
	v_and_b32_e32 v130, 0x4040404, v130
	v_sub_u16_e32 v131, v129, v130
	v_sub_u16_sdwa v134, v129, v130 dst_sel:BYTE_1 dst_unused:UNUSED_PAD src0_sel:BYTE_1 src1_sel:BYTE_1
	v_sub_u16_sdwa v128, v128, v130 dst_sel:BYTE_1 dst_unused:UNUSED_PAD src0_sel:DWORD src1_sel:BYTE_3
	v_sub_u16_sdwa v129, v129, v130 dst_sel:DWORD dst_unused:UNUSED_PAD src0_sel:WORD_1 src1_sel:WORD_1
	v_or_b32_sdwa v131, v131, v134 dst_sel:DWORD dst_unused:UNUSED_PAD src0_sel:BYTE_0 src1_sel:DWORD
	v_or_b32_sdwa v128, v129, v128 dst_sel:WORD_1 dst_unused:UNUSED_PAD src0_sel:BYTE_0 src1_sel:DWORD
	v_add_u32_e32 v130, 0x4208, v133
	v_or_b32_sdwa v134, v131, v128 dst_sel:DWORD dst_unused:UNUSED_PAD src0_sel:WORD_0 src1_sel:DWORD
	ds_read2_b32 v[128:129], v127 offset0:2 offset1:3
	ds_read2_b32 v[130:131], v130 offset1:1
	s_waitcnt lgkmcnt(1)
	v_ashrrev_i32_e32 v128, s3, v128
	s_waitcnt lgkmcnt(0)
	v_ashrrev_i32_e32 v130, s24, v130
	v_lshlrev_b32_e32 v130, 2, v130
	v_and_b32_e32 v135, 0x3030303, v128
	v_bfe_u32 v128, v128, 24, 2
	v_and_b32_e32 v130, 0x4040404, v130
	v_sub_u16_e32 v136, v135, v130
	v_sub_u16_sdwa v137, v135, v130 dst_sel:BYTE_1 dst_unused:UNUSED_PAD src0_sel:BYTE_1 src1_sel:BYTE_1
	v_sub_u16_sdwa v128, v128, v130 dst_sel:BYTE_1 dst_unused:UNUSED_PAD src0_sel:DWORD src1_sel:BYTE_3
	v_sub_u16_sdwa v130, v135, v130 dst_sel:DWORD dst_unused:UNUSED_PAD src0_sel:WORD_1 src1_sel:WORD_1
	v_or_b32_sdwa v136, v136, v137 dst_sel:DWORD dst_unused:UNUSED_PAD src0_sel:BYTE_0 src1_sel:DWORD
	v_or_b32_sdwa v128, v130, v128 dst_sel:WORD_1 dst_unused:UNUSED_PAD src0_sel:BYTE_0 src1_sel:DWORD
	v_ashrrev_i32_e32 v130, s24, v131
	v_or_b32_sdwa v135, v136, v128 dst_sel:DWORD dst_unused:UNUSED_PAD src0_sel:WORD_0 src1_sel:DWORD
	v_ashrrev_i32_e32 v128, s3, v129
	v_lshlrev_b32_e32 v130, 2, v130
	v_and_b32_e32 v129, 0x3030303, v128
	v_bfe_u32 v128, v128, 24, 2
	v_and_b32_e32 v130, 0x4040404, v130
	v_sub_u16_e32 v131, v129, v130
	v_sub_u16_sdwa v136, v129, v130 dst_sel:BYTE_1 dst_unused:UNUSED_PAD src0_sel:BYTE_1 src1_sel:BYTE_1
	v_sub_u16_sdwa v128, v128, v130 dst_sel:BYTE_1 dst_unused:UNUSED_PAD src0_sel:DWORD src1_sel:BYTE_3
	v_sub_u16_sdwa v129, v129, v130 dst_sel:DWORD dst_unused:UNUSED_PAD src0_sel:WORD_1 src1_sel:WORD_1
	v_or_b32_sdwa v131, v131, v136 dst_sel:DWORD dst_unused:UNUSED_PAD src0_sel:BYTE_0 src1_sel:DWORD
	v_or_b32_sdwa v128, v129, v128 dst_sel:WORD_1 dst_unused:UNUSED_PAD src0_sel:BYTE_0 src1_sel:DWORD
	v_add_u32_e32 v130, 0x4210, v133
	v_or_b32_sdwa v136, v131, v128 dst_sel:DWORD dst_unused:UNUSED_PAD src0_sel:WORD_0 src1_sel:DWORD
	ds_read2_b32 v[128:129], v127 offset0:4 offset1:5
	ds_read2_b32 v[130:131], v130 offset1:1
	s_waitcnt lgkmcnt(1)
	v_ashrrev_i32_e32 v128, s3, v128
	s_waitcnt lgkmcnt(0)
	v_ashrrev_i32_e32 v130, s24, v130
	v_lshlrev_b32_e32 v130, 2, v130
	v_and_b32_e32 v137, 0x3030303, v128
	v_bfe_u32 v128, v128, 24, 2
	v_and_b32_e32 v130, 0x4040404, v130
	;; [unrolled: 31-line block ×3, first 2 shown]
	v_sub_u16_e32 v133, v128, v130
	v_sub_u16_sdwa v139, v128, v130 dst_sel:BYTE_1 dst_unused:UNUSED_PAD src0_sel:BYTE_1 src1_sel:BYTE_1
	v_sub_u16_sdwa v127, v127, v130 dst_sel:BYTE_1 dst_unused:UNUSED_PAD src0_sel:DWORD src1_sel:BYTE_3
	v_sub_u16_sdwa v128, v128, v130 dst_sel:DWORD dst_unused:UNUSED_PAD src0_sel:WORD_1 src1_sel:WORD_1
	v_ashrrev_i32_e32 v130, s24, v131
	v_or_b32_sdwa v127, v128, v127 dst_sel:WORD_1 dst_unused:UNUSED_PAD src0_sel:BYTE_0 src1_sel:DWORD
	v_ashrrev_i32_e32 v128, s3, v129
	v_lshlrev_b32_e32 v130, 2, v130
	v_or_b32_sdwa v133, v133, v139 dst_sel:DWORD dst_unused:UNUSED_PAD src0_sel:BYTE_0 src1_sel:DWORD
	v_and_b32_e32 v129, 0x3030303, v128
	v_bfe_u32 v128, v128, 24, 2
	v_and_b32_e32 v130, 0x4040404, v130
	v_or_b32_sdwa v127, v133, v127 dst_sel:DWORD dst_unused:UNUSED_PAD src0_sel:WORD_0 src1_sel:DWORD
	v_sub_u16_e32 v131, v129, v130
	v_sub_u16_sdwa v133, v129, v130 dst_sel:BYTE_1 dst_unused:UNUSED_PAD src0_sel:BYTE_1 src1_sel:BYTE_1
	v_sub_u16_sdwa v128, v128, v130 dst_sel:BYTE_1 dst_unused:UNUSED_PAD src0_sel:DWORD src1_sel:BYTE_3
	v_sub_u16_sdwa v129, v129, v130 dst_sel:DWORD dst_unused:UNUSED_PAD src0_sel:WORD_1 src1_sel:WORD_1
	v_or_b32_sdwa v131, v131, v133 dst_sel:DWORD dst_unused:UNUSED_PAD src0_sel:BYTE_0 src1_sel:DWORD
	v_or_b32_sdwa v128, v129, v128 dst_sel:WORD_1 dst_unused:UNUSED_PAD src0_sel:BYTE_0 src1_sel:DWORD
	v_add_u32_e32 v130, s38, v39
	v_or_b32_sdwa v129, v131, v128 dst_sel:DWORD dst_unused:UNUSED_PAD src0_sel:WORD_0 src1_sel:DWORD
	v_add3_u32 v128, v81, s35, v126
	ds_read_b32 v130, v130
	ds_read_u16 v128, v128
	v_mov_b32_e32 v131, 0
	v_dot4c_i32_i8_e32 v131, v132, v6
	v_dot4c_i32_i8_e32 v131, v134, v7
	;; [unrolled: 1-line block ×4, first 2 shown]
	s_waitcnt lgkmcnt(0)
	v_lshrrev_b16_e32 v132, 8, v128
	v_bfe_i32 v128, v128, 0, 8
	v_add_lshl_u32 v133, v41, s36, 2
	v_mul_lo_u32 v128, v131, v128
	v_mov_b32_e32 v131, 0
	v_dot4c_i32_i8_e32 v131, v137, v2
	v_dot4c_i32_i8_e32 v131, v138, v3
	;; [unrolled: 1-line block ×4, first 2 shown]
	v_bfe_i32 v127, v132, 0, 8
                                        ; kill: def $vgpr129 killed $sgpr0 killed $exec
	s_nop 1
	v_mad_u64_u32 v[128:129], s[40:41], v131, v127, v[128:129]
	v_cvt_f32_i32_e32 v128, v128
	v_mul_f32_e32 v127, v125, v130
	v_add_u32_e32 v130, 0x4200, v133
	ds_read2_b32 v[130:131], v130 offset1:1
	v_fmac_f32_e32 v61, v127, v128
	v_add_u32_e32 v127, s37, v43
	ds_read2_b32 v[128:129], v127 offset1:1
	s_waitcnt lgkmcnt(1)
	v_ashrrev_i32_e32 v130, s24, v130
	v_lshlrev_b32_e32 v130, 2, v130
	v_and_b32_e32 v130, 0x4040404, v130
	s_waitcnt lgkmcnt(0)
	v_ashrrev_i32_e32 v128, s3, v128
	v_and_b32_e32 v132, 0x3030303, v128
	v_bfe_u32 v128, v128, 24, 2
	v_sub_u16_e32 v134, v132, v130
	v_sub_u16_sdwa v135, v132, v130 dst_sel:BYTE_1 dst_unused:UNUSED_PAD src0_sel:BYTE_1 src1_sel:BYTE_1
	v_sub_u16_sdwa v128, v128, v130 dst_sel:BYTE_1 dst_unused:UNUSED_PAD src0_sel:DWORD src1_sel:BYTE_3
	v_sub_u16_sdwa v130, v132, v130 dst_sel:DWORD dst_unused:UNUSED_PAD src0_sel:WORD_1 src1_sel:WORD_1
	v_or_b32_sdwa v134, v134, v135 dst_sel:DWORD dst_unused:UNUSED_PAD src0_sel:BYTE_0 src1_sel:DWORD
	v_or_b32_sdwa v128, v130, v128 dst_sel:WORD_1 dst_unused:UNUSED_PAD src0_sel:BYTE_0 src1_sel:DWORD
	v_ashrrev_i32_e32 v130, s24, v131
	v_or_b32_sdwa v132, v134, v128 dst_sel:DWORD dst_unused:UNUSED_PAD src0_sel:WORD_0 src1_sel:DWORD
	v_ashrrev_i32_e32 v128, s3, v129
	v_lshlrev_b32_e32 v130, 2, v130
	v_and_b32_e32 v129, 0x3030303, v128
	v_bfe_u32 v128, v128, 24, 2
	v_and_b32_e32 v130, 0x4040404, v130
	v_sub_u16_e32 v131, v129, v130
	v_sub_u16_sdwa v134, v129, v130 dst_sel:BYTE_1 dst_unused:UNUSED_PAD src0_sel:BYTE_1 src1_sel:BYTE_1
	v_sub_u16_sdwa v128, v128, v130 dst_sel:BYTE_1 dst_unused:UNUSED_PAD src0_sel:DWORD src1_sel:BYTE_3
	v_sub_u16_sdwa v129, v129, v130 dst_sel:DWORD dst_unused:UNUSED_PAD src0_sel:WORD_1 src1_sel:WORD_1
	v_or_b32_sdwa v131, v131, v134 dst_sel:DWORD dst_unused:UNUSED_PAD src0_sel:BYTE_0 src1_sel:DWORD
	v_or_b32_sdwa v128, v129, v128 dst_sel:WORD_1 dst_unused:UNUSED_PAD src0_sel:BYTE_0 src1_sel:DWORD
	v_add_u32_e32 v130, 0x4208, v133
	v_or_b32_sdwa v134, v131, v128 dst_sel:DWORD dst_unused:UNUSED_PAD src0_sel:WORD_0 src1_sel:DWORD
	ds_read2_b32 v[128:129], v127 offset0:2 offset1:3
	ds_read2_b32 v[130:131], v130 offset1:1
	s_waitcnt lgkmcnt(1)
	v_ashrrev_i32_e32 v128, s3, v128
	s_waitcnt lgkmcnt(0)
	v_ashrrev_i32_e32 v130, s24, v130
	v_lshlrev_b32_e32 v130, 2, v130
	v_and_b32_e32 v135, 0x3030303, v128
	v_bfe_u32 v128, v128, 24, 2
	v_and_b32_e32 v130, 0x4040404, v130
	v_sub_u16_e32 v136, v135, v130
	v_sub_u16_sdwa v137, v135, v130 dst_sel:BYTE_1 dst_unused:UNUSED_PAD src0_sel:BYTE_1 src1_sel:BYTE_1
	v_sub_u16_sdwa v128, v128, v130 dst_sel:BYTE_1 dst_unused:UNUSED_PAD src0_sel:DWORD src1_sel:BYTE_3
	v_sub_u16_sdwa v130, v135, v130 dst_sel:DWORD dst_unused:UNUSED_PAD src0_sel:WORD_1 src1_sel:WORD_1
	v_or_b32_sdwa v136, v136, v137 dst_sel:DWORD dst_unused:UNUSED_PAD src0_sel:BYTE_0 src1_sel:DWORD
	v_or_b32_sdwa v128, v130, v128 dst_sel:WORD_1 dst_unused:UNUSED_PAD src0_sel:BYTE_0 src1_sel:DWORD
	v_ashrrev_i32_e32 v130, s24, v131
	v_or_b32_sdwa v135, v136, v128 dst_sel:DWORD dst_unused:UNUSED_PAD src0_sel:WORD_0 src1_sel:DWORD
	v_ashrrev_i32_e32 v128, s3, v129
	v_lshlrev_b32_e32 v130, 2, v130
	v_and_b32_e32 v129, 0x3030303, v128
	v_bfe_u32 v128, v128, 24, 2
	v_and_b32_e32 v130, 0x4040404, v130
	v_sub_u16_e32 v131, v129, v130
	v_sub_u16_sdwa v136, v129, v130 dst_sel:BYTE_1 dst_unused:UNUSED_PAD src0_sel:BYTE_1 src1_sel:BYTE_1
	v_sub_u16_sdwa v128, v128, v130 dst_sel:BYTE_1 dst_unused:UNUSED_PAD src0_sel:DWORD src1_sel:BYTE_3
	v_sub_u16_sdwa v129, v129, v130 dst_sel:DWORD dst_unused:UNUSED_PAD src0_sel:WORD_1 src1_sel:WORD_1
	v_or_b32_sdwa v131, v131, v136 dst_sel:DWORD dst_unused:UNUSED_PAD src0_sel:BYTE_0 src1_sel:DWORD
	v_or_b32_sdwa v128, v129, v128 dst_sel:WORD_1 dst_unused:UNUSED_PAD src0_sel:BYTE_0 src1_sel:DWORD
	v_add_u32_e32 v130, 0x4210, v133
	v_or_b32_sdwa v136, v131, v128 dst_sel:DWORD dst_unused:UNUSED_PAD src0_sel:WORD_0 src1_sel:DWORD
	ds_read2_b32 v[128:129], v127 offset0:4 offset1:5
	ds_read2_b32 v[130:131], v130 offset1:1
	s_waitcnt lgkmcnt(1)
	v_ashrrev_i32_e32 v128, s3, v128
	s_waitcnt lgkmcnt(0)
	v_ashrrev_i32_e32 v130, s24, v130
	v_lshlrev_b32_e32 v130, 2, v130
	v_and_b32_e32 v137, 0x3030303, v128
	v_bfe_u32 v128, v128, 24, 2
	v_and_b32_e32 v130, 0x4040404, v130
	;; [unrolled: 31-line block ×3, first 2 shown]
	v_sub_u16_e32 v133, v128, v130
	v_sub_u16_sdwa v139, v128, v130 dst_sel:BYTE_1 dst_unused:UNUSED_PAD src0_sel:BYTE_1 src1_sel:BYTE_1
	v_sub_u16_sdwa v127, v127, v130 dst_sel:BYTE_1 dst_unused:UNUSED_PAD src0_sel:DWORD src1_sel:BYTE_3
	v_sub_u16_sdwa v128, v128, v130 dst_sel:DWORD dst_unused:UNUSED_PAD src0_sel:WORD_1 src1_sel:WORD_1
	v_ashrrev_i32_e32 v130, s24, v131
	v_or_b32_sdwa v127, v128, v127 dst_sel:WORD_1 dst_unused:UNUSED_PAD src0_sel:BYTE_0 src1_sel:DWORD
	v_ashrrev_i32_e32 v128, s3, v129
	v_lshlrev_b32_e32 v130, 2, v130
	v_or_b32_sdwa v133, v133, v139 dst_sel:DWORD dst_unused:UNUSED_PAD src0_sel:BYTE_0 src1_sel:DWORD
	v_and_b32_e32 v129, 0x3030303, v128
	v_bfe_u32 v128, v128, 24, 2
	v_and_b32_e32 v130, 0x4040404, v130
	v_or_b32_sdwa v127, v133, v127 dst_sel:DWORD dst_unused:UNUSED_PAD src0_sel:WORD_0 src1_sel:DWORD
	v_sub_u16_e32 v131, v129, v130
	v_sub_u16_sdwa v133, v129, v130 dst_sel:BYTE_1 dst_unused:UNUSED_PAD src0_sel:BYTE_1 src1_sel:BYTE_1
	v_sub_u16_sdwa v128, v128, v130 dst_sel:BYTE_1 dst_unused:UNUSED_PAD src0_sel:DWORD src1_sel:BYTE_3
	v_sub_u16_sdwa v129, v129, v130 dst_sel:DWORD dst_unused:UNUSED_PAD src0_sel:WORD_1 src1_sel:WORD_1
	v_or_b32_sdwa v131, v131, v133 dst_sel:DWORD dst_unused:UNUSED_PAD src0_sel:BYTE_0 src1_sel:DWORD
	v_or_b32_sdwa v128, v129, v128 dst_sel:WORD_1 dst_unused:UNUSED_PAD src0_sel:BYTE_0 src1_sel:DWORD
	v_add_u32_e32 v130, s38, v45
	v_or_b32_sdwa v129, v131, v128 dst_sel:DWORD dst_unused:UNUSED_PAD src0_sel:WORD_0 src1_sel:DWORD
	v_add3_u32 v128, v79, s35, v126
	ds_read_b32 v130, v130
	ds_read_u16 v128, v128
	v_mov_b32_e32 v131, 0
	v_dot4c_i32_i8_e32 v131, v132, v6
	v_dot4c_i32_i8_e32 v131, v134, v7
	;; [unrolled: 1-line block ×4, first 2 shown]
	s_waitcnt lgkmcnt(0)
	v_lshrrev_b16_e32 v132, 8, v128
	v_bfe_i32 v128, v128, 0, 8
	v_add_lshl_u32 v133, v47, s36, 2
	v_mul_lo_u32 v128, v131, v128
	v_mov_b32_e32 v131, 0
	v_dot4c_i32_i8_e32 v131, v137, v2
	v_dot4c_i32_i8_e32 v131, v138, v3
	;; [unrolled: 1-line block ×4, first 2 shown]
	v_bfe_i32 v127, v132, 0, 8
                                        ; kill: def $vgpr129 killed $sgpr0 killed $exec
	v_add3_u32 v126, v77, s35, v126
	s_nop 0
	v_mad_u64_u32 v[128:129], s[40:41], v131, v127, v[128:129]
	v_cvt_f32_i32_e32 v128, v128
	v_mul_f32_e32 v127, v125, v130
	v_add_u32_e32 v130, 0x4200, v133
	ds_read2_b32 v[130:131], v130 offset1:1
	v_fmac_f32_e32 v51, v127, v128
	v_add_u32_e32 v127, s37, v49
	ds_read2_b32 v[128:129], v127 offset1:1
	s_waitcnt lgkmcnt(1)
	v_ashrrev_i32_e32 v130, s24, v130
	v_lshlrev_b32_e32 v130, 2, v130
	v_and_b32_e32 v130, 0x4040404, v130
	s_waitcnt lgkmcnt(0)
	v_ashrrev_i32_e32 v128, s3, v128
	v_and_b32_e32 v132, 0x3030303, v128
	v_bfe_u32 v128, v128, 24, 2
	v_sub_u16_e32 v134, v132, v130
	v_sub_u16_sdwa v135, v132, v130 dst_sel:BYTE_1 dst_unused:UNUSED_PAD src0_sel:BYTE_1 src1_sel:BYTE_1
	v_sub_u16_sdwa v128, v128, v130 dst_sel:BYTE_1 dst_unused:UNUSED_PAD src0_sel:DWORD src1_sel:BYTE_3
	v_sub_u16_sdwa v130, v132, v130 dst_sel:DWORD dst_unused:UNUSED_PAD src0_sel:WORD_1 src1_sel:WORD_1
	v_or_b32_sdwa v134, v134, v135 dst_sel:DWORD dst_unused:UNUSED_PAD src0_sel:BYTE_0 src1_sel:DWORD
	v_or_b32_sdwa v128, v130, v128 dst_sel:WORD_1 dst_unused:UNUSED_PAD src0_sel:BYTE_0 src1_sel:DWORD
	v_ashrrev_i32_e32 v130, s24, v131
	v_or_b32_sdwa v132, v134, v128 dst_sel:DWORD dst_unused:UNUSED_PAD src0_sel:WORD_0 src1_sel:DWORD
	v_ashrrev_i32_e32 v128, s3, v129
	v_lshlrev_b32_e32 v130, 2, v130
	v_and_b32_e32 v129, 0x3030303, v128
	v_bfe_u32 v128, v128, 24, 2
	v_and_b32_e32 v130, 0x4040404, v130
	v_sub_u16_e32 v131, v129, v130
	v_sub_u16_sdwa v134, v129, v130 dst_sel:BYTE_1 dst_unused:UNUSED_PAD src0_sel:BYTE_1 src1_sel:BYTE_1
	v_sub_u16_sdwa v128, v128, v130 dst_sel:BYTE_1 dst_unused:UNUSED_PAD src0_sel:DWORD src1_sel:BYTE_3
	v_sub_u16_sdwa v129, v129, v130 dst_sel:DWORD dst_unused:UNUSED_PAD src0_sel:WORD_1 src1_sel:WORD_1
	v_or_b32_sdwa v131, v131, v134 dst_sel:DWORD dst_unused:UNUSED_PAD src0_sel:BYTE_0 src1_sel:DWORD
	v_or_b32_sdwa v128, v129, v128 dst_sel:WORD_1 dst_unused:UNUSED_PAD src0_sel:BYTE_0 src1_sel:DWORD
	v_add_u32_e32 v130, 0x4208, v133
	v_or_b32_sdwa v134, v131, v128 dst_sel:DWORD dst_unused:UNUSED_PAD src0_sel:WORD_0 src1_sel:DWORD
	ds_read2_b32 v[128:129], v127 offset0:2 offset1:3
	ds_read2_b32 v[130:131], v130 offset1:1
	s_waitcnt lgkmcnt(1)
	v_ashrrev_i32_e32 v128, s3, v128
	s_waitcnt lgkmcnt(0)
	v_ashrrev_i32_e32 v130, s24, v130
	v_lshlrev_b32_e32 v130, 2, v130
	v_and_b32_e32 v135, 0x3030303, v128
	v_bfe_u32 v128, v128, 24, 2
	v_and_b32_e32 v130, 0x4040404, v130
	v_sub_u16_e32 v136, v135, v130
	v_sub_u16_sdwa v137, v135, v130 dst_sel:BYTE_1 dst_unused:UNUSED_PAD src0_sel:BYTE_1 src1_sel:BYTE_1
	v_sub_u16_sdwa v128, v128, v130 dst_sel:BYTE_1 dst_unused:UNUSED_PAD src0_sel:DWORD src1_sel:BYTE_3
	v_sub_u16_sdwa v130, v135, v130 dst_sel:DWORD dst_unused:UNUSED_PAD src0_sel:WORD_1 src1_sel:WORD_1
	v_or_b32_sdwa v136, v136, v137 dst_sel:DWORD dst_unused:UNUSED_PAD src0_sel:BYTE_0 src1_sel:DWORD
	v_or_b32_sdwa v128, v130, v128 dst_sel:WORD_1 dst_unused:UNUSED_PAD src0_sel:BYTE_0 src1_sel:DWORD
	v_ashrrev_i32_e32 v130, s24, v131
	v_or_b32_sdwa v135, v136, v128 dst_sel:DWORD dst_unused:UNUSED_PAD src0_sel:WORD_0 src1_sel:DWORD
	v_ashrrev_i32_e32 v128, s3, v129
	v_lshlrev_b32_e32 v130, 2, v130
	v_and_b32_e32 v129, 0x3030303, v128
	v_bfe_u32 v128, v128, 24, 2
	v_and_b32_e32 v130, 0x4040404, v130
	v_sub_u16_e32 v131, v129, v130
	v_sub_u16_sdwa v136, v129, v130 dst_sel:BYTE_1 dst_unused:UNUSED_PAD src0_sel:BYTE_1 src1_sel:BYTE_1
	v_sub_u16_sdwa v128, v128, v130 dst_sel:BYTE_1 dst_unused:UNUSED_PAD src0_sel:DWORD src1_sel:BYTE_3
	v_sub_u16_sdwa v129, v129, v130 dst_sel:DWORD dst_unused:UNUSED_PAD src0_sel:WORD_1 src1_sel:WORD_1
	v_or_b32_sdwa v131, v131, v136 dst_sel:DWORD dst_unused:UNUSED_PAD src0_sel:BYTE_0 src1_sel:DWORD
	v_or_b32_sdwa v128, v129, v128 dst_sel:WORD_1 dst_unused:UNUSED_PAD src0_sel:BYTE_0 src1_sel:DWORD
	v_add_u32_e32 v130, 0x4210, v133
	v_or_b32_sdwa v136, v131, v128 dst_sel:DWORD dst_unused:UNUSED_PAD src0_sel:WORD_0 src1_sel:DWORD
	ds_read2_b32 v[128:129], v127 offset0:4 offset1:5
	ds_read2_b32 v[130:131], v130 offset1:1
	s_waitcnt lgkmcnt(1)
	v_ashrrev_i32_e32 v128, s3, v128
	s_waitcnt lgkmcnt(0)
	v_ashrrev_i32_e32 v130, s24, v130
	v_lshlrev_b32_e32 v130, 2, v130
	v_and_b32_e32 v137, 0x3030303, v128
	v_bfe_u32 v128, v128, 24, 2
	v_and_b32_e32 v130, 0x4040404, v130
	;; [unrolled: 31-line block ×3, first 2 shown]
	v_sub_u16_e32 v133, v128, v130
	v_sub_u16_sdwa v139, v128, v130 dst_sel:BYTE_1 dst_unused:UNUSED_PAD src0_sel:BYTE_1 src1_sel:BYTE_1
	v_sub_u16_sdwa v127, v127, v130 dst_sel:BYTE_1 dst_unused:UNUSED_PAD src0_sel:DWORD src1_sel:BYTE_3
	v_sub_u16_sdwa v128, v128, v130 dst_sel:DWORD dst_unused:UNUSED_PAD src0_sel:WORD_1 src1_sel:WORD_1
	v_ashrrev_i32_e32 v130, s24, v131
	v_or_b32_sdwa v127, v128, v127 dst_sel:WORD_1 dst_unused:UNUSED_PAD src0_sel:BYTE_0 src1_sel:DWORD
	v_ashrrev_i32_e32 v128, s3, v129
	v_lshlrev_b32_e32 v130, 2, v130
	v_or_b32_sdwa v133, v133, v139 dst_sel:DWORD dst_unused:UNUSED_PAD src0_sel:BYTE_0 src1_sel:DWORD
	v_and_b32_e32 v129, 0x3030303, v128
	v_bfe_u32 v128, v128, 24, 2
	v_and_b32_e32 v130, 0x4040404, v130
	v_or_b32_sdwa v127, v133, v127 dst_sel:DWORD dst_unused:UNUSED_PAD src0_sel:WORD_0 src1_sel:DWORD
	v_sub_u16_e32 v131, v129, v130
	v_sub_u16_sdwa v133, v129, v130 dst_sel:BYTE_1 dst_unused:UNUSED_PAD src0_sel:BYTE_1 src1_sel:BYTE_1
	v_sub_u16_sdwa v128, v128, v130 dst_sel:BYTE_1 dst_unused:UNUSED_PAD src0_sel:DWORD src1_sel:BYTE_3
	v_sub_u16_sdwa v129, v129, v130 dst_sel:DWORD dst_unused:UNUSED_PAD src0_sel:WORD_1 src1_sel:WORD_1
	v_or_b32_sdwa v128, v129, v128 dst_sel:WORD_1 dst_unused:UNUSED_PAD src0_sel:BYTE_0 src1_sel:DWORD
	v_add_u32_e32 v129, s38, v53
	v_mov_b32_e32 v130, 0
	ds_read_b32 v129, v129
	v_dot4c_i32_i8_e32 v130, v132, v6
	ds_read_u16 v6, v126
	v_dot4c_i32_i8_e32 v130, v134, v7
	v_dot4c_i32_i8_e32 v130, v135, v8
	v_mov_b32_e32 v8, 0
	v_dot4c_i32_i8_e32 v8, v137, v2
	v_or_b32_sdwa v131, v131, v133 dst_sel:DWORD dst_unused:UNUSED_PAD src0_sel:BYTE_0 src1_sel:DWORD
	v_dot4c_i32_i8_e32 v8, v138, v3
	v_or_b32_sdwa v128, v131, v128 dst_sel:DWORD dst_unused:UNUSED_PAD src0_sel:WORD_0 src1_sel:DWORD
	v_dot4c_i32_i8_e32 v130, v136, v9
	s_waitcnt lgkmcnt(0)
	v_lshrrev_b16_e32 v7, 8, v6
	v_bfe_i32 v6, v6, 0, 8
	v_dot4c_i32_i8_e32 v8, v127, v4
	v_mul_lo_u32 v6, v130, v6
	v_dot4c_i32_i8_e32 v8, v128, v5
	v_bfe_i32 v2, v7, 0, 8
	s_add_i32 s3, s3, 2
	s_add_i32 s24, s24, 1
	v_mad_u64_u32 v[2:3], s[36:37], v8, v2, v[6:7]
	v_cvt_f32_i32_e32 v2, v2
	v_mul_f32_e32 v3, v125, v129
	s_cmp_lt_u32 s25, 14
	v_fmac_f32_e32 v11, v3, v2
	s_cbranch_scc1 .LBB230_20
; %bb.21:                               ;   in Loop: Header=BB230_5 Depth=1
	s_or_b32 s2, s34, 0x100
	s_cmp_ge_i32 s2, s5
	s_barrier
	s_cbranch_scc1 .LBB230_4
; %bb.22:                               ;   in Loop: Header=BB230_5 Depth=1
	v_add_u32_e32 v2, s33, v57
	v_cmp_gt_i32_e64 s[2:3], s8, v2
	s_and_b64 s[24:25], s[0:1], s[2:3]
	s_and_saveexec_b64 s[2:3], s[24:25]
	s_cbranch_execz .LBB230_24
; %bb.23:                               ;   in Loop: Header=BB230_5 Depth=1
	v_add_u32_e32 v2, v116, v2
	v_mad_i64_i32 v[2:3], s[24:25], v2, 36, v[114:115]
	global_load_dword v2, v[2:3], off offset:4
	s_waitcnt vmcnt(0)
	ds_write_b32 v23, v2
.LBB230_24:                             ;   in Loop: Header=BB230_5 Depth=1
	s_or_b64 exec, exec, s[2:3]
	s_and_saveexec_b64 s[24:25], vcc
	s_cbranch_execz .LBB230_27
; %bb.25:                               ;   in Loop: Header=BB230_5 Depth=1
	v_or_b32_e32 v2, s33, v15
	v_or_b32_e32 v3, 8, v2
	v_cmp_gt_i32_e64 s[2:3], s8, v3
	s_and_b64 s[2:3], s[0:1], s[2:3]
	s_and_b64 exec, exec, s[2:3]
	s_cbranch_execz .LBB230_27
; %bb.26:                               ;   in Loop: Header=BB230_5 Depth=1
	v_ashrrev_i32_e32 v3, 31, v2
	v_lshl_add_u64 v[2:3], v[116:117], 0, v[2:3]
	v_mad_u64_u32 v[4:5], s[2:3], v2, 36, s[18:19]
	v_mad_i32_i24 v5, v3, 36, v5
	global_load_dword v2, v[4:5], off
	s_waitcnt vmcnt(0)
	v_cvt_f32_f16_e32 v2, v2
	ds_write_b32 v25, v2
.LBB230_27:                             ;   in Loop: Header=BB230_5 Depth=1
	s_or_b64 exec, exec, s[24:25]
	s_mov_b32 s2, 16
	s_mov_b32 s36, 14
	;; [unrolled: 1-line block ×3, first 2 shown]
	v_mov_b32_e32 v123, v73
	v_mov_b32_e32 v124, v75
	s_waitcnt lgkmcnt(0)
	s_barrier
.LBB230_28:                             ;   Parent Loop BB230_5 Depth=1
                                        ; =>  This Inner Loop Header: Depth=2
	s_add_i32 s24, s36, 2
	s_lshr_b32 s39, s24, 4
	s_and_b32 s37, s24, 0x3ffffff8
	s_lshl_b32 s35, s39, 3
	s_lshl_b32 s37, s37, 2
	v_add_lshl_u32 v132, v29, s35, 2
	v_add_u32_e32 v130, s37, v31
	v_add_u32_e32 v128, 0x4200, v132
	ds_read_b32 v125, v124
	ds_read_b128 v[6:9], v123
	ds_read_b128 v[2:5], v123 offset:16
	ds_read2_b32 v[126:127], v130 offset1:1
	ds_read2_b32 v[128:129], v128 offset1:1
	s_add_i32 s25, s36, -14
	s_and_b32 s38, s2, -16
	s_add_i32 s36, s36, s38
	s_waitcnt lgkmcnt(1)
	v_ashrrev_i32_e32 v126, s25, v126
	s_waitcnt lgkmcnt(0)
	v_ashrrev_i32_e32 v128, s3, v128
	v_lshlrev_b32_e32 v128, 2, v128
	v_and_b32_e32 v131, 0x3030303, v126
	v_bfe_u32 v126, v126, 24, 2
	v_and_b32_e32 v128, 0x4040404, v128
	v_sub_u16_e32 v133, v131, v128
	v_sub_u16_sdwa v134, v131, v128 dst_sel:BYTE_1 dst_unused:UNUSED_PAD src0_sel:BYTE_1 src1_sel:BYTE_1
	v_sub_u16_sdwa v126, v126, v128 dst_sel:BYTE_1 dst_unused:UNUSED_PAD src0_sel:DWORD src1_sel:BYTE_3
	v_sub_u16_sdwa v128, v131, v128 dst_sel:DWORD dst_unused:UNUSED_PAD src0_sel:WORD_1 src1_sel:WORD_1
	v_or_b32_sdwa v133, v133, v134 dst_sel:DWORD dst_unused:UNUSED_PAD src0_sel:BYTE_0 src1_sel:DWORD
	v_or_b32_sdwa v126, v128, v126 dst_sel:WORD_1 dst_unused:UNUSED_PAD src0_sel:BYTE_0 src1_sel:DWORD
	v_ashrrev_i32_e32 v128, s3, v129
	v_or_b32_sdwa v131, v133, v126 dst_sel:DWORD dst_unused:UNUSED_PAD src0_sel:WORD_0 src1_sel:DWORD
	v_ashrrev_i32_e32 v126, s25, v127
	v_lshlrev_b32_e32 v128, 2, v128
	v_and_b32_e32 v127, 0x3030303, v126
	v_bfe_u32 v126, v126, 24, 2
	v_and_b32_e32 v128, 0x4040404, v128
	v_sub_u16_e32 v129, v127, v128
	v_sub_u16_sdwa v133, v127, v128 dst_sel:BYTE_1 dst_unused:UNUSED_PAD src0_sel:BYTE_1 src1_sel:BYTE_1
	v_sub_u16_sdwa v126, v126, v128 dst_sel:BYTE_1 dst_unused:UNUSED_PAD src0_sel:DWORD src1_sel:BYTE_3
	v_sub_u16_sdwa v127, v127, v128 dst_sel:DWORD dst_unused:UNUSED_PAD src0_sel:WORD_1 src1_sel:WORD_1
	v_or_b32_sdwa v129, v129, v133 dst_sel:DWORD dst_unused:UNUSED_PAD src0_sel:BYTE_0 src1_sel:DWORD
	v_or_b32_sdwa v126, v127, v126 dst_sel:WORD_1 dst_unused:UNUSED_PAD src0_sel:BYTE_0 src1_sel:DWORD
	v_add_u32_e32 v128, 0x4208, v132
	v_or_b32_sdwa v133, v129, v126 dst_sel:DWORD dst_unused:UNUSED_PAD src0_sel:WORD_0 src1_sel:DWORD
	ds_read2_b32 v[126:127], v130 offset0:2 offset1:3
	ds_read2_b32 v[128:129], v128 offset1:1
	s_lshl_b32 s38, s39, 2
	s_add_i32 s2, s2, 2
	v_add_u32_e32 v124, 4, v124
	s_waitcnt lgkmcnt(1)
	v_ashrrev_i32_e32 v126, s25, v126
	s_waitcnt lgkmcnt(0)
	v_ashrrev_i32_e32 v128, s3, v128
	v_lshlrev_b32_e32 v128, 2, v128
	v_and_b32_e32 v134, 0x3030303, v126
	v_bfe_u32 v126, v126, 24, 2
	v_and_b32_e32 v128, 0x4040404, v128
	v_sub_u16_e32 v135, v134, v128
	v_sub_u16_sdwa v136, v134, v128 dst_sel:BYTE_1 dst_unused:UNUSED_PAD src0_sel:BYTE_1 src1_sel:BYTE_1
	v_sub_u16_sdwa v126, v126, v128 dst_sel:BYTE_1 dst_unused:UNUSED_PAD src0_sel:DWORD src1_sel:BYTE_3
	v_sub_u16_sdwa v128, v134, v128 dst_sel:DWORD dst_unused:UNUSED_PAD src0_sel:WORD_1 src1_sel:WORD_1
	v_or_b32_sdwa v135, v135, v136 dst_sel:DWORD dst_unused:UNUSED_PAD src0_sel:BYTE_0 src1_sel:DWORD
	v_or_b32_sdwa v126, v128, v126 dst_sel:WORD_1 dst_unused:UNUSED_PAD src0_sel:BYTE_0 src1_sel:DWORD
	v_ashrrev_i32_e32 v128, s3, v129
	v_or_b32_sdwa v134, v135, v126 dst_sel:DWORD dst_unused:UNUSED_PAD src0_sel:WORD_0 src1_sel:DWORD
	v_ashrrev_i32_e32 v126, s25, v127
	v_lshlrev_b32_e32 v128, 2, v128
	v_and_b32_e32 v127, 0x3030303, v126
	v_bfe_u32 v126, v126, 24, 2
	v_and_b32_e32 v128, 0x4040404, v128
	v_sub_u16_e32 v129, v127, v128
	v_sub_u16_sdwa v135, v127, v128 dst_sel:BYTE_1 dst_unused:UNUSED_PAD src0_sel:BYTE_1 src1_sel:BYTE_1
	v_sub_u16_sdwa v126, v126, v128 dst_sel:BYTE_1 dst_unused:UNUSED_PAD src0_sel:DWORD src1_sel:BYTE_3
	v_sub_u16_sdwa v127, v127, v128 dst_sel:DWORD dst_unused:UNUSED_PAD src0_sel:WORD_1 src1_sel:WORD_1
	v_or_b32_sdwa v129, v129, v135 dst_sel:DWORD dst_unused:UNUSED_PAD src0_sel:BYTE_0 src1_sel:DWORD
	v_or_b32_sdwa v126, v127, v126 dst_sel:WORD_1 dst_unused:UNUSED_PAD src0_sel:BYTE_0 src1_sel:DWORD
	v_add_u32_e32 v128, 0x4210, v132
	v_or_b32_sdwa v135, v129, v126 dst_sel:DWORD dst_unused:UNUSED_PAD src0_sel:WORD_0 src1_sel:DWORD
	ds_read2_b32 v[126:127], v130 offset0:4 offset1:5
	ds_read2_b32 v[128:129], v128 offset1:1
	v_add_u32_e32 v123, 32, v123
	s_waitcnt lgkmcnt(1)
	v_ashrrev_i32_e32 v126, s25, v126
	s_waitcnt lgkmcnt(0)
	v_ashrrev_i32_e32 v128, s3, v128
	v_lshlrev_b32_e32 v128, 2, v128
	v_and_b32_e32 v136, 0x3030303, v126
	v_bfe_u32 v126, v126, 24, 2
	v_and_b32_e32 v128, 0x4040404, v128
	v_sub_u16_e32 v137, v136, v128
	v_sub_u16_sdwa v138, v136, v128 dst_sel:BYTE_1 dst_unused:UNUSED_PAD src0_sel:BYTE_1 src1_sel:BYTE_1
	v_sub_u16_sdwa v126, v126, v128 dst_sel:BYTE_1 dst_unused:UNUSED_PAD src0_sel:DWORD src1_sel:BYTE_3
	v_sub_u16_sdwa v128, v136, v128 dst_sel:DWORD dst_unused:UNUSED_PAD src0_sel:WORD_1 src1_sel:WORD_1
	v_or_b32_sdwa v137, v137, v138 dst_sel:DWORD dst_unused:UNUSED_PAD src0_sel:BYTE_0 src1_sel:DWORD
	v_or_b32_sdwa v126, v128, v126 dst_sel:WORD_1 dst_unused:UNUSED_PAD src0_sel:BYTE_0 src1_sel:DWORD
	v_ashrrev_i32_e32 v128, s3, v129
	v_or_b32_sdwa v136, v137, v126 dst_sel:DWORD dst_unused:UNUSED_PAD src0_sel:WORD_0 src1_sel:DWORD
	v_ashrrev_i32_e32 v126, s25, v127
	v_lshlrev_b32_e32 v128, 2, v128
	v_and_b32_e32 v127, 0x3030303, v126
	v_bfe_u32 v126, v126, 24, 2
	v_and_b32_e32 v128, 0x4040404, v128
	v_sub_u16_e32 v129, v127, v128
	v_sub_u16_sdwa v137, v127, v128 dst_sel:BYTE_1 dst_unused:UNUSED_PAD src0_sel:BYTE_1 src1_sel:BYTE_1
	v_sub_u16_sdwa v126, v126, v128 dst_sel:BYTE_1 dst_unused:UNUSED_PAD src0_sel:DWORD src1_sel:BYTE_3
	v_sub_u16_sdwa v127, v127, v128 dst_sel:DWORD dst_unused:UNUSED_PAD src0_sel:WORD_1 src1_sel:WORD_1
	v_or_b32_sdwa v129, v129, v137 dst_sel:DWORD dst_unused:UNUSED_PAD src0_sel:BYTE_0 src1_sel:DWORD
	v_or_b32_sdwa v126, v127, v126 dst_sel:WORD_1 dst_unused:UNUSED_PAD src0_sel:BYTE_0 src1_sel:DWORD
	v_add_u32_e32 v128, 0x4218, v132
	v_or_b32_sdwa v137, v129, v126 dst_sel:DWORD dst_unused:UNUSED_PAD src0_sel:WORD_0 src1_sel:DWORD
	ds_read2_b32 v[126:127], v130 offset0:6 offset1:7
	ds_read2_b32 v[128:129], v128 offset1:1
	s_waitcnt lgkmcnt(1)
	v_ashrrev_i32_e32 v126, s25, v126
	s_waitcnt lgkmcnt(0)
	v_ashrrev_i32_e32 v128, s3, v128
	v_lshlrev_b32_e32 v128, 2, v128
	v_and_b32_e32 v130, 0x3030303, v126
	v_bfe_u32 v126, v126, 24, 2
	v_and_b32_e32 v128, 0x4040404, v128
	v_sub_u16_e32 v132, v130, v128
	v_sub_u16_sdwa v138, v130, v128 dst_sel:BYTE_1 dst_unused:UNUSED_PAD src0_sel:BYTE_1 src1_sel:BYTE_1
	v_sub_u16_sdwa v126, v126, v128 dst_sel:BYTE_1 dst_unused:UNUSED_PAD src0_sel:DWORD src1_sel:BYTE_3
	v_sub_u16_sdwa v128, v130, v128 dst_sel:DWORD dst_unused:UNUSED_PAD src0_sel:WORD_1 src1_sel:WORD_1
	v_or_b32_sdwa v132, v132, v138 dst_sel:DWORD dst_unused:UNUSED_PAD src0_sel:BYTE_0 src1_sel:DWORD
	v_or_b32_sdwa v126, v128, v126 dst_sel:WORD_1 dst_unused:UNUSED_PAD src0_sel:BYTE_0 src1_sel:DWORD
	v_ashrrev_i32_e32 v129, s3, v129
	v_or_b32_sdwa v128, v132, v126 dst_sel:DWORD dst_unused:UNUSED_PAD src0_sel:WORD_0 src1_sel:DWORD
	v_ashrrev_i32_e32 v126, s25, v127
	v_lshlrev_b32_e32 v129, 2, v129
	v_and_b32_e32 v127, 0x3030303, v126
	v_bfe_u32 v126, v126, 24, 2
	v_and_b32_e32 v129, 0x4040404, v129
	v_sub_u16_e32 v130, v127, v129
	v_sub_u16_sdwa v132, v127, v129 dst_sel:BYTE_1 dst_unused:UNUSED_PAD src0_sel:BYTE_1 src1_sel:BYTE_1
	v_sub_u16_sdwa v126, v126, v129 dst_sel:BYTE_1 dst_unused:UNUSED_PAD src0_sel:DWORD src1_sel:BYTE_3
	v_sub_u16_sdwa v127, v127, v129 dst_sel:DWORD dst_unused:UNUSED_PAD src0_sel:WORD_1 src1_sel:WORD_1
	v_or_b32_sdwa v130, v130, v132 dst_sel:DWORD dst_unused:UNUSED_PAD src0_sel:BYTE_0 src1_sel:DWORD
	v_or_b32_sdwa v126, v127, v126 dst_sel:WORD_1 dst_unused:UNUSED_PAD src0_sel:BYTE_0 src1_sel:DWORD
	v_add_u32_e32 v129, s38, v33
	v_or_b32_sdwa v127, v130, v126 dst_sel:DWORD dst_unused:UNUSED_PAD src0_sel:WORD_0 src1_sel:DWORD
	v_add_u32_e32 v126, s36, v93
	ds_read_b32 v129, v129
	ds_read_u16 v126, v126 offset:25330
	v_mov_b32_e32 v130, 0
	v_dot4c_i32_i8_e32 v130, v131, v6
	v_dot4c_i32_i8_e32 v130, v133, v7
	v_dot4c_i32_i8_e32 v130, v134, v8
	v_dot4c_i32_i8_e32 v130, v135, v9
	s_waitcnt lgkmcnt(0)
	v_lshrrev_b16_e32 v131, 8, v126
	v_bfe_i32 v126, v126, 0, 8
	v_add_lshl_u32 v132, v35, s35, 2
	v_mul_lo_u32 v126, v130, v126
	v_mov_b32_e32 v130, 0
	v_dot4c_i32_i8_e32 v130, v136, v2
	v_dot4c_i32_i8_e32 v130, v137, v3
	;; [unrolled: 1-line block ×4, first 2 shown]
	v_bfe_i32 v127, v131, 0, 8
	v_add_u32_e32 v128, 0x4200, v132
	s_nop 0
	v_mad_u64_u32 v[126:127], s[40:41], v130, v127, v[126:127]
	v_cvt_f32_i32_e32 v126, v126
	v_mul_f32_e32 v127, v125, v129
	v_add_u32_e32 v130, s37, v37
	ds_read2_b32 v[128:129], v128 offset1:1
	v_fmac_f32_e32 v63, v127, v126
	ds_read2_b32 v[126:127], v130 offset1:1
	s_waitcnt lgkmcnt(1)
	v_ashrrev_i32_e32 v128, s3, v128
	v_lshlrev_b32_e32 v128, 2, v128
	s_waitcnt lgkmcnt(0)
	v_ashrrev_i32_e32 v126, s25, v126
	v_and_b32_e32 v131, 0x3030303, v126
	v_bfe_u32 v126, v126, 24, 2
	v_and_b32_e32 v128, 0x4040404, v128
	v_sub_u16_e32 v133, v131, v128
	v_sub_u16_sdwa v134, v131, v128 dst_sel:BYTE_1 dst_unused:UNUSED_PAD src0_sel:BYTE_1 src1_sel:BYTE_1
	v_sub_u16_sdwa v126, v126, v128 dst_sel:BYTE_1 dst_unused:UNUSED_PAD src0_sel:DWORD src1_sel:BYTE_3
	v_sub_u16_sdwa v128, v131, v128 dst_sel:DWORD dst_unused:UNUSED_PAD src0_sel:WORD_1 src1_sel:WORD_1
	v_or_b32_sdwa v133, v133, v134 dst_sel:DWORD dst_unused:UNUSED_PAD src0_sel:BYTE_0 src1_sel:DWORD
	v_or_b32_sdwa v126, v128, v126 dst_sel:WORD_1 dst_unused:UNUSED_PAD src0_sel:BYTE_0 src1_sel:DWORD
	v_ashrrev_i32_e32 v128, s3, v129
	v_or_b32_sdwa v131, v133, v126 dst_sel:DWORD dst_unused:UNUSED_PAD src0_sel:WORD_0 src1_sel:DWORD
	v_ashrrev_i32_e32 v126, s25, v127
	v_lshlrev_b32_e32 v128, 2, v128
	v_and_b32_e32 v127, 0x3030303, v126
	v_bfe_u32 v126, v126, 24, 2
	v_and_b32_e32 v128, 0x4040404, v128
	v_sub_u16_e32 v129, v127, v128
	v_sub_u16_sdwa v133, v127, v128 dst_sel:BYTE_1 dst_unused:UNUSED_PAD src0_sel:BYTE_1 src1_sel:BYTE_1
	v_sub_u16_sdwa v126, v126, v128 dst_sel:BYTE_1 dst_unused:UNUSED_PAD src0_sel:DWORD src1_sel:BYTE_3
	v_sub_u16_sdwa v127, v127, v128 dst_sel:DWORD dst_unused:UNUSED_PAD src0_sel:WORD_1 src1_sel:WORD_1
	v_or_b32_sdwa v129, v129, v133 dst_sel:DWORD dst_unused:UNUSED_PAD src0_sel:BYTE_0 src1_sel:DWORD
	v_or_b32_sdwa v126, v127, v126 dst_sel:WORD_1 dst_unused:UNUSED_PAD src0_sel:BYTE_0 src1_sel:DWORD
	v_add_u32_e32 v128, 0x4208, v132
	v_or_b32_sdwa v133, v129, v126 dst_sel:DWORD dst_unused:UNUSED_PAD src0_sel:WORD_0 src1_sel:DWORD
	ds_read2_b32 v[126:127], v130 offset0:2 offset1:3
	ds_read2_b32 v[128:129], v128 offset1:1
	s_waitcnt lgkmcnt(1)
	v_ashrrev_i32_e32 v126, s25, v126
	s_waitcnt lgkmcnt(0)
	v_ashrrev_i32_e32 v128, s3, v128
	v_lshlrev_b32_e32 v128, 2, v128
	v_and_b32_e32 v134, 0x3030303, v126
	v_bfe_u32 v126, v126, 24, 2
	v_and_b32_e32 v128, 0x4040404, v128
	v_sub_u16_e32 v135, v134, v128
	v_sub_u16_sdwa v136, v134, v128 dst_sel:BYTE_1 dst_unused:UNUSED_PAD src0_sel:BYTE_1 src1_sel:BYTE_1
	v_sub_u16_sdwa v126, v126, v128 dst_sel:BYTE_1 dst_unused:UNUSED_PAD src0_sel:DWORD src1_sel:BYTE_3
	v_sub_u16_sdwa v128, v134, v128 dst_sel:DWORD dst_unused:UNUSED_PAD src0_sel:WORD_1 src1_sel:WORD_1
	v_or_b32_sdwa v135, v135, v136 dst_sel:DWORD dst_unused:UNUSED_PAD src0_sel:BYTE_0 src1_sel:DWORD
	v_or_b32_sdwa v126, v128, v126 dst_sel:WORD_1 dst_unused:UNUSED_PAD src0_sel:BYTE_0 src1_sel:DWORD
	v_ashrrev_i32_e32 v128, s3, v129
	v_or_b32_sdwa v134, v135, v126 dst_sel:DWORD dst_unused:UNUSED_PAD src0_sel:WORD_0 src1_sel:DWORD
	v_ashrrev_i32_e32 v126, s25, v127
	v_lshlrev_b32_e32 v128, 2, v128
	v_and_b32_e32 v127, 0x3030303, v126
	v_bfe_u32 v126, v126, 24, 2
	v_and_b32_e32 v128, 0x4040404, v128
	v_sub_u16_e32 v129, v127, v128
	v_sub_u16_sdwa v135, v127, v128 dst_sel:BYTE_1 dst_unused:UNUSED_PAD src0_sel:BYTE_1 src1_sel:BYTE_1
	v_sub_u16_sdwa v126, v126, v128 dst_sel:BYTE_1 dst_unused:UNUSED_PAD src0_sel:DWORD src1_sel:BYTE_3
	v_sub_u16_sdwa v127, v127, v128 dst_sel:DWORD dst_unused:UNUSED_PAD src0_sel:WORD_1 src1_sel:WORD_1
	v_or_b32_sdwa v129, v129, v135 dst_sel:DWORD dst_unused:UNUSED_PAD src0_sel:BYTE_0 src1_sel:DWORD
	v_or_b32_sdwa v126, v127, v126 dst_sel:WORD_1 dst_unused:UNUSED_PAD src0_sel:BYTE_0 src1_sel:DWORD
	v_add_u32_e32 v128, 0x4210, v132
	v_or_b32_sdwa v135, v129, v126 dst_sel:DWORD dst_unused:UNUSED_PAD src0_sel:WORD_0 src1_sel:DWORD
	ds_read2_b32 v[126:127], v130 offset0:4 offset1:5
	ds_read2_b32 v[128:129], v128 offset1:1
	s_waitcnt lgkmcnt(1)
	v_ashrrev_i32_e32 v126, s25, v126
	s_waitcnt lgkmcnt(0)
	v_ashrrev_i32_e32 v128, s3, v128
	v_lshlrev_b32_e32 v128, 2, v128
	;; [unrolled: 31-line block ×3, first 2 shown]
	v_and_b32_e32 v130, 0x3030303, v126
	v_bfe_u32 v126, v126, 24, 2
	v_and_b32_e32 v128, 0x4040404, v128
	v_sub_u16_e32 v132, v130, v128
	v_sub_u16_sdwa v138, v130, v128 dst_sel:BYTE_1 dst_unused:UNUSED_PAD src0_sel:BYTE_1 src1_sel:BYTE_1
	v_sub_u16_sdwa v126, v126, v128 dst_sel:BYTE_1 dst_unused:UNUSED_PAD src0_sel:DWORD src1_sel:BYTE_3
	v_sub_u16_sdwa v128, v130, v128 dst_sel:DWORD dst_unused:UNUSED_PAD src0_sel:WORD_1 src1_sel:WORD_1
	v_or_b32_sdwa v132, v132, v138 dst_sel:DWORD dst_unused:UNUSED_PAD src0_sel:BYTE_0 src1_sel:DWORD
	v_or_b32_sdwa v126, v128, v126 dst_sel:WORD_1 dst_unused:UNUSED_PAD src0_sel:BYTE_0 src1_sel:DWORD
	v_ashrrev_i32_e32 v129, s3, v129
	v_or_b32_sdwa v128, v132, v126 dst_sel:DWORD dst_unused:UNUSED_PAD src0_sel:WORD_0 src1_sel:DWORD
	v_ashrrev_i32_e32 v126, s25, v127
	v_lshlrev_b32_e32 v129, 2, v129
	v_and_b32_e32 v127, 0x3030303, v126
	v_bfe_u32 v126, v126, 24, 2
	v_and_b32_e32 v129, 0x4040404, v129
	v_sub_u16_e32 v130, v127, v129
	v_sub_u16_sdwa v132, v127, v129 dst_sel:BYTE_1 dst_unused:UNUSED_PAD src0_sel:BYTE_1 src1_sel:BYTE_1
	v_sub_u16_sdwa v126, v126, v129 dst_sel:BYTE_1 dst_unused:UNUSED_PAD src0_sel:DWORD src1_sel:BYTE_3
	v_sub_u16_sdwa v127, v127, v129 dst_sel:DWORD dst_unused:UNUSED_PAD src0_sel:WORD_1 src1_sel:WORD_1
	v_or_b32_sdwa v130, v130, v132 dst_sel:DWORD dst_unused:UNUSED_PAD src0_sel:BYTE_0 src1_sel:DWORD
	v_or_b32_sdwa v126, v127, v126 dst_sel:WORD_1 dst_unused:UNUSED_PAD src0_sel:BYTE_0 src1_sel:DWORD
	v_add_u32_e32 v129, s38, v39
	v_or_b32_sdwa v127, v130, v126 dst_sel:DWORD dst_unused:UNUSED_PAD src0_sel:WORD_0 src1_sel:DWORD
	v_add_u32_e32 v126, s36, v91
	ds_read_b32 v129, v129
	ds_read_u16 v126, v126 offset:26354
	v_mov_b32_e32 v130, 0
	v_dot4c_i32_i8_e32 v130, v131, v6
	v_dot4c_i32_i8_e32 v130, v133, v7
	;; [unrolled: 1-line block ×4, first 2 shown]
	s_waitcnt lgkmcnt(0)
	v_lshrrev_b16_e32 v131, 8, v126
	v_bfe_i32 v126, v126, 0, 8
	v_add_lshl_u32 v132, v41, s35, 2
	v_mul_lo_u32 v126, v130, v126
	v_mov_b32_e32 v130, 0
	v_dot4c_i32_i8_e32 v130, v136, v2
	v_dot4c_i32_i8_e32 v130, v137, v3
	;; [unrolled: 1-line block ×4, first 2 shown]
	v_bfe_i32 v127, v131, 0, 8
	v_add_u32_e32 v128, 0x4200, v132
	s_nop 0
	v_mad_u64_u32 v[126:127], s[40:41], v130, v127, v[126:127]
	v_cvt_f32_i32_e32 v126, v126
	v_mul_f32_e32 v127, v125, v129
	v_add_u32_e32 v130, s37, v43
	ds_read2_b32 v[128:129], v128 offset1:1
	v_fmac_f32_e32 v61, v127, v126
	ds_read2_b32 v[126:127], v130 offset1:1
	s_waitcnt lgkmcnt(1)
	v_ashrrev_i32_e32 v128, s3, v128
	v_lshlrev_b32_e32 v128, 2, v128
	s_waitcnt lgkmcnt(0)
	v_ashrrev_i32_e32 v126, s25, v126
	v_and_b32_e32 v131, 0x3030303, v126
	v_bfe_u32 v126, v126, 24, 2
	v_and_b32_e32 v128, 0x4040404, v128
	v_sub_u16_e32 v133, v131, v128
	v_sub_u16_sdwa v134, v131, v128 dst_sel:BYTE_1 dst_unused:UNUSED_PAD src0_sel:BYTE_1 src1_sel:BYTE_1
	v_sub_u16_sdwa v126, v126, v128 dst_sel:BYTE_1 dst_unused:UNUSED_PAD src0_sel:DWORD src1_sel:BYTE_3
	v_sub_u16_sdwa v128, v131, v128 dst_sel:DWORD dst_unused:UNUSED_PAD src0_sel:WORD_1 src1_sel:WORD_1
	v_or_b32_sdwa v133, v133, v134 dst_sel:DWORD dst_unused:UNUSED_PAD src0_sel:BYTE_0 src1_sel:DWORD
	v_or_b32_sdwa v126, v128, v126 dst_sel:WORD_1 dst_unused:UNUSED_PAD src0_sel:BYTE_0 src1_sel:DWORD
	v_ashrrev_i32_e32 v128, s3, v129
	v_or_b32_sdwa v131, v133, v126 dst_sel:DWORD dst_unused:UNUSED_PAD src0_sel:WORD_0 src1_sel:DWORD
	v_ashrrev_i32_e32 v126, s25, v127
	v_lshlrev_b32_e32 v128, 2, v128
	v_and_b32_e32 v127, 0x3030303, v126
	v_bfe_u32 v126, v126, 24, 2
	v_and_b32_e32 v128, 0x4040404, v128
	v_sub_u16_e32 v129, v127, v128
	v_sub_u16_sdwa v133, v127, v128 dst_sel:BYTE_1 dst_unused:UNUSED_PAD src0_sel:BYTE_1 src1_sel:BYTE_1
	v_sub_u16_sdwa v126, v126, v128 dst_sel:BYTE_1 dst_unused:UNUSED_PAD src0_sel:DWORD src1_sel:BYTE_3
	v_sub_u16_sdwa v127, v127, v128 dst_sel:DWORD dst_unused:UNUSED_PAD src0_sel:WORD_1 src1_sel:WORD_1
	v_or_b32_sdwa v129, v129, v133 dst_sel:DWORD dst_unused:UNUSED_PAD src0_sel:BYTE_0 src1_sel:DWORD
	v_or_b32_sdwa v126, v127, v126 dst_sel:WORD_1 dst_unused:UNUSED_PAD src0_sel:BYTE_0 src1_sel:DWORD
	v_add_u32_e32 v128, 0x4208, v132
	v_or_b32_sdwa v133, v129, v126 dst_sel:DWORD dst_unused:UNUSED_PAD src0_sel:WORD_0 src1_sel:DWORD
	ds_read2_b32 v[126:127], v130 offset0:2 offset1:3
	ds_read2_b32 v[128:129], v128 offset1:1
	s_waitcnt lgkmcnt(1)
	v_ashrrev_i32_e32 v126, s25, v126
	s_waitcnt lgkmcnt(0)
	v_ashrrev_i32_e32 v128, s3, v128
	v_lshlrev_b32_e32 v128, 2, v128
	v_and_b32_e32 v134, 0x3030303, v126
	v_bfe_u32 v126, v126, 24, 2
	v_and_b32_e32 v128, 0x4040404, v128
	v_sub_u16_e32 v135, v134, v128
	v_sub_u16_sdwa v136, v134, v128 dst_sel:BYTE_1 dst_unused:UNUSED_PAD src0_sel:BYTE_1 src1_sel:BYTE_1
	v_sub_u16_sdwa v126, v126, v128 dst_sel:BYTE_1 dst_unused:UNUSED_PAD src0_sel:DWORD src1_sel:BYTE_3
	v_sub_u16_sdwa v128, v134, v128 dst_sel:DWORD dst_unused:UNUSED_PAD src0_sel:WORD_1 src1_sel:WORD_1
	v_or_b32_sdwa v135, v135, v136 dst_sel:DWORD dst_unused:UNUSED_PAD src0_sel:BYTE_0 src1_sel:DWORD
	v_or_b32_sdwa v126, v128, v126 dst_sel:WORD_1 dst_unused:UNUSED_PAD src0_sel:BYTE_0 src1_sel:DWORD
	v_ashrrev_i32_e32 v128, s3, v129
	v_or_b32_sdwa v134, v135, v126 dst_sel:DWORD dst_unused:UNUSED_PAD src0_sel:WORD_0 src1_sel:DWORD
	v_ashrrev_i32_e32 v126, s25, v127
	v_lshlrev_b32_e32 v128, 2, v128
	v_and_b32_e32 v127, 0x3030303, v126
	v_bfe_u32 v126, v126, 24, 2
	v_and_b32_e32 v128, 0x4040404, v128
	v_sub_u16_e32 v129, v127, v128
	v_sub_u16_sdwa v135, v127, v128 dst_sel:BYTE_1 dst_unused:UNUSED_PAD src0_sel:BYTE_1 src1_sel:BYTE_1
	v_sub_u16_sdwa v126, v126, v128 dst_sel:BYTE_1 dst_unused:UNUSED_PAD src0_sel:DWORD src1_sel:BYTE_3
	v_sub_u16_sdwa v127, v127, v128 dst_sel:DWORD dst_unused:UNUSED_PAD src0_sel:WORD_1 src1_sel:WORD_1
	v_or_b32_sdwa v129, v129, v135 dst_sel:DWORD dst_unused:UNUSED_PAD src0_sel:BYTE_0 src1_sel:DWORD
	v_or_b32_sdwa v126, v127, v126 dst_sel:WORD_1 dst_unused:UNUSED_PAD src0_sel:BYTE_0 src1_sel:DWORD
	v_add_u32_e32 v128, 0x4210, v132
	v_or_b32_sdwa v135, v129, v126 dst_sel:DWORD dst_unused:UNUSED_PAD src0_sel:WORD_0 src1_sel:DWORD
	ds_read2_b32 v[126:127], v130 offset0:4 offset1:5
	ds_read2_b32 v[128:129], v128 offset1:1
	s_waitcnt lgkmcnt(1)
	v_ashrrev_i32_e32 v126, s25, v126
	s_waitcnt lgkmcnt(0)
	v_ashrrev_i32_e32 v128, s3, v128
	v_lshlrev_b32_e32 v128, 2, v128
	;; [unrolled: 31-line block ×3, first 2 shown]
	v_and_b32_e32 v130, 0x3030303, v126
	v_bfe_u32 v126, v126, 24, 2
	v_and_b32_e32 v128, 0x4040404, v128
	v_sub_u16_e32 v132, v130, v128
	v_sub_u16_sdwa v138, v130, v128 dst_sel:BYTE_1 dst_unused:UNUSED_PAD src0_sel:BYTE_1 src1_sel:BYTE_1
	v_sub_u16_sdwa v126, v126, v128 dst_sel:BYTE_1 dst_unused:UNUSED_PAD src0_sel:DWORD src1_sel:BYTE_3
	v_sub_u16_sdwa v128, v130, v128 dst_sel:DWORD dst_unused:UNUSED_PAD src0_sel:WORD_1 src1_sel:WORD_1
	v_or_b32_sdwa v132, v132, v138 dst_sel:DWORD dst_unused:UNUSED_PAD src0_sel:BYTE_0 src1_sel:DWORD
	v_or_b32_sdwa v126, v128, v126 dst_sel:WORD_1 dst_unused:UNUSED_PAD src0_sel:BYTE_0 src1_sel:DWORD
	v_ashrrev_i32_e32 v129, s3, v129
	v_or_b32_sdwa v128, v132, v126 dst_sel:DWORD dst_unused:UNUSED_PAD src0_sel:WORD_0 src1_sel:DWORD
	v_ashrrev_i32_e32 v126, s25, v127
	v_lshlrev_b32_e32 v129, 2, v129
	v_and_b32_e32 v127, 0x3030303, v126
	v_bfe_u32 v126, v126, 24, 2
	v_and_b32_e32 v129, 0x4040404, v129
	v_sub_u16_e32 v130, v127, v129
	v_sub_u16_sdwa v132, v127, v129 dst_sel:BYTE_1 dst_unused:UNUSED_PAD src0_sel:BYTE_1 src1_sel:BYTE_1
	v_sub_u16_sdwa v126, v126, v129 dst_sel:BYTE_1 dst_unused:UNUSED_PAD src0_sel:DWORD src1_sel:BYTE_3
	v_sub_u16_sdwa v127, v127, v129 dst_sel:DWORD dst_unused:UNUSED_PAD src0_sel:WORD_1 src1_sel:WORD_1
	v_or_b32_sdwa v130, v130, v132 dst_sel:DWORD dst_unused:UNUSED_PAD src0_sel:BYTE_0 src1_sel:DWORD
	v_or_b32_sdwa v126, v127, v126 dst_sel:WORD_1 dst_unused:UNUSED_PAD src0_sel:BYTE_0 src1_sel:DWORD
	v_add_u32_e32 v129, s38, v45
	v_or_b32_sdwa v127, v130, v126 dst_sel:DWORD dst_unused:UNUSED_PAD src0_sel:WORD_0 src1_sel:DWORD
	v_add_u32_e32 v126, s36, v89
	ds_read_b32 v129, v129
	ds_read_u16 v126, v126 offset:27378
	v_mov_b32_e32 v130, 0
	v_dot4c_i32_i8_e32 v130, v131, v6
	v_dot4c_i32_i8_e32 v130, v133, v7
	;; [unrolled: 1-line block ×4, first 2 shown]
	s_waitcnt lgkmcnt(0)
	v_lshrrev_b16_e32 v131, 8, v126
	v_bfe_i32 v126, v126, 0, 8
	v_add_lshl_u32 v132, v47, s35, 2
	v_mul_lo_u32 v126, v130, v126
	v_mov_b32_e32 v130, 0
	v_dot4c_i32_i8_e32 v130, v136, v2
	v_dot4c_i32_i8_e32 v130, v137, v3
	;; [unrolled: 1-line block ×4, first 2 shown]
	v_bfe_i32 v127, v131, 0, 8
	v_add_u32_e32 v128, 0x4200, v132
	s_nop 0
	v_mad_u64_u32 v[126:127], s[40:41], v130, v127, v[126:127]
	v_cvt_f32_i32_e32 v126, v126
	v_mul_f32_e32 v127, v125, v129
	v_add_u32_e32 v130, s37, v49
	ds_read2_b32 v[128:129], v128 offset1:1
	v_fmac_f32_e32 v51, v127, v126
	ds_read2_b32 v[126:127], v130 offset1:1
	s_waitcnt lgkmcnt(1)
	v_ashrrev_i32_e32 v128, s3, v128
	v_lshlrev_b32_e32 v128, 2, v128
	s_waitcnt lgkmcnt(0)
	v_ashrrev_i32_e32 v126, s25, v126
	v_and_b32_e32 v131, 0x3030303, v126
	v_bfe_u32 v126, v126, 24, 2
	v_and_b32_e32 v128, 0x4040404, v128
	v_sub_u16_e32 v133, v131, v128
	v_sub_u16_sdwa v134, v131, v128 dst_sel:BYTE_1 dst_unused:UNUSED_PAD src0_sel:BYTE_1 src1_sel:BYTE_1
	v_sub_u16_sdwa v126, v126, v128 dst_sel:BYTE_1 dst_unused:UNUSED_PAD src0_sel:DWORD src1_sel:BYTE_3
	v_sub_u16_sdwa v128, v131, v128 dst_sel:DWORD dst_unused:UNUSED_PAD src0_sel:WORD_1 src1_sel:WORD_1
	v_or_b32_sdwa v133, v133, v134 dst_sel:DWORD dst_unused:UNUSED_PAD src0_sel:BYTE_0 src1_sel:DWORD
	v_or_b32_sdwa v126, v128, v126 dst_sel:WORD_1 dst_unused:UNUSED_PAD src0_sel:BYTE_0 src1_sel:DWORD
	v_ashrrev_i32_e32 v128, s3, v129
	v_or_b32_sdwa v131, v133, v126 dst_sel:DWORD dst_unused:UNUSED_PAD src0_sel:WORD_0 src1_sel:DWORD
	v_ashrrev_i32_e32 v126, s25, v127
	v_lshlrev_b32_e32 v128, 2, v128
	v_and_b32_e32 v127, 0x3030303, v126
	v_bfe_u32 v126, v126, 24, 2
	v_and_b32_e32 v128, 0x4040404, v128
	v_sub_u16_e32 v129, v127, v128
	v_sub_u16_sdwa v133, v127, v128 dst_sel:BYTE_1 dst_unused:UNUSED_PAD src0_sel:BYTE_1 src1_sel:BYTE_1
	v_sub_u16_sdwa v126, v126, v128 dst_sel:BYTE_1 dst_unused:UNUSED_PAD src0_sel:DWORD src1_sel:BYTE_3
	v_sub_u16_sdwa v127, v127, v128 dst_sel:DWORD dst_unused:UNUSED_PAD src0_sel:WORD_1 src1_sel:WORD_1
	v_or_b32_sdwa v129, v129, v133 dst_sel:DWORD dst_unused:UNUSED_PAD src0_sel:BYTE_0 src1_sel:DWORD
	v_or_b32_sdwa v126, v127, v126 dst_sel:WORD_1 dst_unused:UNUSED_PAD src0_sel:BYTE_0 src1_sel:DWORD
	v_add_u32_e32 v128, 0x4208, v132
	v_or_b32_sdwa v133, v129, v126 dst_sel:DWORD dst_unused:UNUSED_PAD src0_sel:WORD_0 src1_sel:DWORD
	ds_read2_b32 v[126:127], v130 offset0:2 offset1:3
	ds_read2_b32 v[128:129], v128 offset1:1
	s_waitcnt lgkmcnt(1)
	v_ashrrev_i32_e32 v126, s25, v126
	s_waitcnt lgkmcnt(0)
	v_ashrrev_i32_e32 v128, s3, v128
	v_lshlrev_b32_e32 v128, 2, v128
	v_and_b32_e32 v134, 0x3030303, v126
	v_bfe_u32 v126, v126, 24, 2
	v_and_b32_e32 v128, 0x4040404, v128
	v_sub_u16_e32 v135, v134, v128
	v_sub_u16_sdwa v136, v134, v128 dst_sel:BYTE_1 dst_unused:UNUSED_PAD src0_sel:BYTE_1 src1_sel:BYTE_1
	v_sub_u16_sdwa v126, v126, v128 dst_sel:BYTE_1 dst_unused:UNUSED_PAD src0_sel:DWORD src1_sel:BYTE_3
	v_sub_u16_sdwa v128, v134, v128 dst_sel:DWORD dst_unused:UNUSED_PAD src0_sel:WORD_1 src1_sel:WORD_1
	v_or_b32_sdwa v135, v135, v136 dst_sel:DWORD dst_unused:UNUSED_PAD src0_sel:BYTE_0 src1_sel:DWORD
	v_or_b32_sdwa v126, v128, v126 dst_sel:WORD_1 dst_unused:UNUSED_PAD src0_sel:BYTE_0 src1_sel:DWORD
	v_ashrrev_i32_e32 v128, s3, v129
	v_or_b32_sdwa v134, v135, v126 dst_sel:DWORD dst_unused:UNUSED_PAD src0_sel:WORD_0 src1_sel:DWORD
	v_ashrrev_i32_e32 v126, s25, v127
	v_lshlrev_b32_e32 v128, 2, v128
	v_and_b32_e32 v127, 0x3030303, v126
	v_bfe_u32 v126, v126, 24, 2
	v_and_b32_e32 v128, 0x4040404, v128
	v_sub_u16_e32 v129, v127, v128
	v_sub_u16_sdwa v135, v127, v128 dst_sel:BYTE_1 dst_unused:UNUSED_PAD src0_sel:BYTE_1 src1_sel:BYTE_1
	v_sub_u16_sdwa v126, v126, v128 dst_sel:BYTE_1 dst_unused:UNUSED_PAD src0_sel:DWORD src1_sel:BYTE_3
	v_sub_u16_sdwa v127, v127, v128 dst_sel:DWORD dst_unused:UNUSED_PAD src0_sel:WORD_1 src1_sel:WORD_1
	v_or_b32_sdwa v129, v129, v135 dst_sel:DWORD dst_unused:UNUSED_PAD src0_sel:BYTE_0 src1_sel:DWORD
	v_or_b32_sdwa v126, v127, v126 dst_sel:WORD_1 dst_unused:UNUSED_PAD src0_sel:BYTE_0 src1_sel:DWORD
	v_add_u32_e32 v128, 0x4210, v132
	v_or_b32_sdwa v135, v129, v126 dst_sel:DWORD dst_unused:UNUSED_PAD src0_sel:WORD_0 src1_sel:DWORD
	ds_read2_b32 v[126:127], v130 offset0:4 offset1:5
	ds_read2_b32 v[128:129], v128 offset1:1
	s_waitcnt lgkmcnt(1)
	v_ashrrev_i32_e32 v126, s25, v126
	s_waitcnt lgkmcnt(0)
	v_ashrrev_i32_e32 v128, s3, v128
	v_lshlrev_b32_e32 v128, 2, v128
	;; [unrolled: 31-line block ×3, first 2 shown]
	v_and_b32_e32 v130, 0x3030303, v126
	v_bfe_u32 v126, v126, 24, 2
	v_and_b32_e32 v128, 0x4040404, v128
	v_ashrrev_i32_e32 v129, s3, v129
	v_sub_u16_e32 v132, v130, v128
	v_sub_u16_sdwa v138, v130, v128 dst_sel:BYTE_1 dst_unused:UNUSED_PAD src0_sel:BYTE_1 src1_sel:BYTE_1
	v_sub_u16_sdwa v126, v126, v128 dst_sel:BYTE_1 dst_unused:UNUSED_PAD src0_sel:DWORD src1_sel:BYTE_3
	v_sub_u16_sdwa v128, v130, v128 dst_sel:DWORD dst_unused:UNUSED_PAD src0_sel:WORD_1 src1_sel:WORD_1
	v_ashrrev_i32_e32 v127, s25, v127
	v_lshlrev_b32_e32 v129, 2, v129
	v_or_b32_sdwa v132, v132, v138 dst_sel:DWORD dst_unused:UNUSED_PAD src0_sel:BYTE_0 src1_sel:DWORD
	v_or_b32_sdwa v126, v128, v126 dst_sel:WORD_1 dst_unused:UNUSED_PAD src0_sel:BYTE_0 src1_sel:DWORD
	v_and_b32_e32 v128, 0x3030303, v127
	v_bfe_u32 v127, v127, 24, 2
	v_and_b32_e32 v129, 0x4040404, v129
	v_or_b32_sdwa v126, v132, v126 dst_sel:DWORD dst_unused:UNUSED_PAD src0_sel:WORD_0 src1_sel:DWORD
	v_sub_u16_e32 v130, v128, v129
	v_sub_u16_sdwa v132, v128, v129 dst_sel:BYTE_1 dst_unused:UNUSED_PAD src0_sel:BYTE_1 src1_sel:BYTE_1
	v_sub_u16_sdwa v127, v127, v129 dst_sel:BYTE_1 dst_unused:UNUSED_PAD src0_sel:DWORD src1_sel:BYTE_3
	v_sub_u16_sdwa v128, v128, v129 dst_sel:DWORD dst_unused:UNUSED_PAD src0_sel:WORD_1 src1_sel:WORD_1
	v_or_b32_sdwa v130, v130, v132 dst_sel:DWORD dst_unused:UNUSED_PAD src0_sel:BYTE_0 src1_sel:DWORD
	v_or_b32_sdwa v127, v128, v127 dst_sel:WORD_1 dst_unused:UNUSED_PAD src0_sel:BYTE_0 src1_sel:DWORD
	v_add_u32_e32 v128, s36, v87
	v_or_b32_sdwa v127, v130, v127 dst_sel:DWORD dst_unused:UNUSED_PAD src0_sel:WORD_0 src1_sel:DWORD
	v_add_u32_e32 v129, s38, v53
	v_mov_b32_e32 v130, 0
	ds_read_b32 v129, v129
	v_dot4c_i32_i8_e32 v130, v131, v6
	ds_read_u16 v6, v128 offset:28402
	v_dot4c_i32_i8_e32 v130, v133, v7
	v_dot4c_i32_i8_e32 v130, v134, v8
	v_mov_b32_e32 v8, 0
	v_dot4c_i32_i8_e32 v8, v136, v2
	v_dot4c_i32_i8_e32 v8, v137, v3
	;; [unrolled: 1-line block ×3, first 2 shown]
	s_waitcnt lgkmcnt(0)
	v_lshrrev_b16_e32 v7, 8, v6
	v_bfe_i32 v6, v6, 0, 8
	v_dot4c_i32_i8_e32 v8, v126, v4
	v_mul_lo_u32 v6, v130, v6
	v_dot4c_i32_i8_e32 v8, v127, v5
	v_bfe_i32 v2, v7, 0, 8
	s_add_i32 s3, s3, 1
	s_cmp_lt_u32 s24, 22
	v_mad_u64_u32 v[2:3], s[36:37], v8, v2, v[6:7]
	v_cvt_f32_i32_e32 v2, v2
	v_mul_f32_e32 v3, v125, v129
	s_mov_b32 s36, s24
	v_fmac_f32_e32 v11, v3, v2
	s_cbranch_scc1 .LBB230_28
; %bb.29:                               ;   in Loop: Header=BB230_5 Depth=1
	s_or_b32 s2, s34, 0x180
	s_cmp_ge_i32 s2, s5
	s_barrier
	s_cbranch_scc1 .LBB230_4
; %bb.30:                               ;   in Loop: Header=BB230_5 Depth=1
	v_add_u32_e32 v2, s33, v59
	v_cmp_gt_i32_e64 s[2:3], s8, v2
	s_and_b64 s[24:25], s[0:1], s[2:3]
	s_and_saveexec_b64 s[2:3], s[24:25]
	s_cbranch_execz .LBB230_32
; %bb.31:                               ;   in Loop: Header=BB230_5 Depth=1
	v_add_u32_e32 v2, v116, v2
	v_mad_i64_i32 v[2:3], s[24:25], v2, 36, v[114:115]
	global_load_dword v2, v[2:3], off offset:4
	s_waitcnt vmcnt(0)
	ds_write_b32 v23, v2
.LBB230_32:                             ;   in Loop: Header=BB230_5 Depth=1
	s_or_b64 exec, exec, s[2:3]
	s_and_saveexec_b64 s[24:25], vcc
	s_cbranch_execz .LBB230_35
; %bb.33:                               ;   in Loop: Header=BB230_5 Depth=1
	v_or_b32_e32 v2, s33, v15
	v_or_b32_e32 v3, 12, v2
	v_cmp_gt_i32_e64 s[2:3], s8, v3
	s_and_b64 s[2:3], s[0:1], s[2:3]
	s_and_b64 exec, exec, s[2:3]
	s_cbranch_execz .LBB230_35
; %bb.34:                               ;   in Loop: Header=BB230_5 Depth=1
	v_ashrrev_i32_e32 v3, 31, v2
	v_lshl_add_u64 v[2:3], v[116:117], 0, v[2:3]
	v_mad_u64_u32 v[4:5], s[2:3], v2, 36, s[20:21]
	v_mad_i32_i24 v5, v3, 36, v5
	global_load_dword v2, v[4:5], off
	s_waitcnt vmcnt(0)
	v_cvt_f32_f16_e32 v2, v2
	ds_write_b32 v25, v2
.LBB230_35:                             ;   in Loop: Header=BB230_5 Depth=1
	s_or_b64 exec, exec, s[24:25]
	s_mov_b32 s2, 24
	s_mov_b32 s34, 22
	;; [unrolled: 1-line block ×3, first 2 shown]
	v_mov_b32_e32 v123, v73
	v_mov_b32_e32 v124, v75
	s_waitcnt lgkmcnt(0)
	s_barrier
.LBB230_36:                             ;   Parent Loop BB230_5 Depth=1
                                        ; =>  This Inner Loop Header: Depth=2
	s_add_i32 s24, s34, 2
	s_lshr_b32 s37, s24, 4
	s_and_b32 s35, s24, 0x3ffffff8
	s_lshl_b32 s33, s37, 3
	s_lshl_b32 s35, s35, 2
	v_add_lshl_u32 v132, v29, s33, 2
	v_add_u32_e32 v130, s35, v31
	v_add_u32_e32 v128, 0x4200, v132
	ds_read_b32 v125, v124
	ds_read_b128 v[6:9], v123
	ds_read_b128 v[2:5], v123 offset:16
	ds_read2_b32 v[126:127], v130 offset1:1
	ds_read2_b32 v[128:129], v128 offset1:1
	s_sub_i32 s25, s34, 22
	s_and_b32 s36, s2, -16
	s_add_i32 s34, s34, s36
	s_waitcnt lgkmcnt(1)
	v_ashrrev_i32_e32 v126, s25, v126
	s_waitcnt lgkmcnt(0)
	v_ashrrev_i32_e32 v128, s3, v128
	v_lshlrev_b32_e32 v128, 2, v128
	v_and_b32_e32 v131, 0x3030303, v126
	v_bfe_u32 v126, v126, 24, 2
	v_and_b32_e32 v128, 0x4040404, v128
	v_sub_u16_e32 v133, v131, v128
	v_sub_u16_sdwa v134, v131, v128 dst_sel:BYTE_1 dst_unused:UNUSED_PAD src0_sel:BYTE_1 src1_sel:BYTE_1
	v_sub_u16_sdwa v126, v126, v128 dst_sel:BYTE_1 dst_unused:UNUSED_PAD src0_sel:DWORD src1_sel:BYTE_3
	v_sub_u16_sdwa v128, v131, v128 dst_sel:DWORD dst_unused:UNUSED_PAD src0_sel:WORD_1 src1_sel:WORD_1
	v_or_b32_sdwa v133, v133, v134 dst_sel:DWORD dst_unused:UNUSED_PAD src0_sel:BYTE_0 src1_sel:DWORD
	v_or_b32_sdwa v126, v128, v126 dst_sel:WORD_1 dst_unused:UNUSED_PAD src0_sel:BYTE_0 src1_sel:DWORD
	v_ashrrev_i32_e32 v128, s3, v129
	v_or_b32_sdwa v131, v133, v126 dst_sel:DWORD dst_unused:UNUSED_PAD src0_sel:WORD_0 src1_sel:DWORD
	v_ashrrev_i32_e32 v126, s25, v127
	v_lshlrev_b32_e32 v128, 2, v128
	v_and_b32_e32 v127, 0x3030303, v126
	v_bfe_u32 v126, v126, 24, 2
	v_and_b32_e32 v128, 0x4040404, v128
	v_sub_u16_e32 v129, v127, v128
	v_sub_u16_sdwa v133, v127, v128 dst_sel:BYTE_1 dst_unused:UNUSED_PAD src0_sel:BYTE_1 src1_sel:BYTE_1
	v_sub_u16_sdwa v126, v126, v128 dst_sel:BYTE_1 dst_unused:UNUSED_PAD src0_sel:DWORD src1_sel:BYTE_3
	v_sub_u16_sdwa v127, v127, v128 dst_sel:DWORD dst_unused:UNUSED_PAD src0_sel:WORD_1 src1_sel:WORD_1
	v_or_b32_sdwa v129, v129, v133 dst_sel:DWORD dst_unused:UNUSED_PAD src0_sel:BYTE_0 src1_sel:DWORD
	v_or_b32_sdwa v126, v127, v126 dst_sel:WORD_1 dst_unused:UNUSED_PAD src0_sel:BYTE_0 src1_sel:DWORD
	v_add_u32_e32 v128, 0x4208, v132
	v_or_b32_sdwa v133, v129, v126 dst_sel:DWORD dst_unused:UNUSED_PAD src0_sel:WORD_0 src1_sel:DWORD
	ds_read2_b32 v[126:127], v130 offset0:2 offset1:3
	ds_read2_b32 v[128:129], v128 offset1:1
	s_lshl_b32 s36, s37, 2
	s_add_i32 s2, s2, 2
	v_add_u32_e32 v124, 4, v124
	s_waitcnt lgkmcnt(1)
	v_ashrrev_i32_e32 v126, s25, v126
	s_waitcnt lgkmcnt(0)
	v_ashrrev_i32_e32 v128, s3, v128
	v_lshlrev_b32_e32 v128, 2, v128
	v_and_b32_e32 v134, 0x3030303, v126
	v_bfe_u32 v126, v126, 24, 2
	v_and_b32_e32 v128, 0x4040404, v128
	v_sub_u16_e32 v135, v134, v128
	v_sub_u16_sdwa v136, v134, v128 dst_sel:BYTE_1 dst_unused:UNUSED_PAD src0_sel:BYTE_1 src1_sel:BYTE_1
	v_sub_u16_sdwa v126, v126, v128 dst_sel:BYTE_1 dst_unused:UNUSED_PAD src0_sel:DWORD src1_sel:BYTE_3
	v_sub_u16_sdwa v128, v134, v128 dst_sel:DWORD dst_unused:UNUSED_PAD src0_sel:WORD_1 src1_sel:WORD_1
	v_or_b32_sdwa v135, v135, v136 dst_sel:DWORD dst_unused:UNUSED_PAD src0_sel:BYTE_0 src1_sel:DWORD
	v_or_b32_sdwa v126, v128, v126 dst_sel:WORD_1 dst_unused:UNUSED_PAD src0_sel:BYTE_0 src1_sel:DWORD
	v_ashrrev_i32_e32 v128, s3, v129
	v_or_b32_sdwa v134, v135, v126 dst_sel:DWORD dst_unused:UNUSED_PAD src0_sel:WORD_0 src1_sel:DWORD
	v_ashrrev_i32_e32 v126, s25, v127
	v_lshlrev_b32_e32 v128, 2, v128
	v_and_b32_e32 v127, 0x3030303, v126
	v_bfe_u32 v126, v126, 24, 2
	v_and_b32_e32 v128, 0x4040404, v128
	v_sub_u16_e32 v129, v127, v128
	v_sub_u16_sdwa v135, v127, v128 dst_sel:BYTE_1 dst_unused:UNUSED_PAD src0_sel:BYTE_1 src1_sel:BYTE_1
	v_sub_u16_sdwa v126, v126, v128 dst_sel:BYTE_1 dst_unused:UNUSED_PAD src0_sel:DWORD src1_sel:BYTE_3
	v_sub_u16_sdwa v127, v127, v128 dst_sel:DWORD dst_unused:UNUSED_PAD src0_sel:WORD_1 src1_sel:WORD_1
	v_or_b32_sdwa v129, v129, v135 dst_sel:DWORD dst_unused:UNUSED_PAD src0_sel:BYTE_0 src1_sel:DWORD
	v_or_b32_sdwa v126, v127, v126 dst_sel:WORD_1 dst_unused:UNUSED_PAD src0_sel:BYTE_0 src1_sel:DWORD
	v_add_u32_e32 v128, 0x4210, v132
	v_or_b32_sdwa v135, v129, v126 dst_sel:DWORD dst_unused:UNUSED_PAD src0_sel:WORD_0 src1_sel:DWORD
	ds_read2_b32 v[126:127], v130 offset0:4 offset1:5
	ds_read2_b32 v[128:129], v128 offset1:1
	v_add_u32_e32 v123, 32, v123
	s_waitcnt lgkmcnt(1)
	v_ashrrev_i32_e32 v126, s25, v126
	s_waitcnt lgkmcnt(0)
	v_ashrrev_i32_e32 v128, s3, v128
	v_lshlrev_b32_e32 v128, 2, v128
	v_and_b32_e32 v136, 0x3030303, v126
	v_bfe_u32 v126, v126, 24, 2
	v_and_b32_e32 v128, 0x4040404, v128
	v_sub_u16_e32 v137, v136, v128
	v_sub_u16_sdwa v138, v136, v128 dst_sel:BYTE_1 dst_unused:UNUSED_PAD src0_sel:BYTE_1 src1_sel:BYTE_1
	v_sub_u16_sdwa v126, v126, v128 dst_sel:BYTE_1 dst_unused:UNUSED_PAD src0_sel:DWORD src1_sel:BYTE_3
	v_sub_u16_sdwa v128, v136, v128 dst_sel:DWORD dst_unused:UNUSED_PAD src0_sel:WORD_1 src1_sel:WORD_1
	v_or_b32_sdwa v137, v137, v138 dst_sel:DWORD dst_unused:UNUSED_PAD src0_sel:BYTE_0 src1_sel:DWORD
	v_or_b32_sdwa v126, v128, v126 dst_sel:WORD_1 dst_unused:UNUSED_PAD src0_sel:BYTE_0 src1_sel:DWORD
	v_ashrrev_i32_e32 v128, s3, v129
	v_or_b32_sdwa v136, v137, v126 dst_sel:DWORD dst_unused:UNUSED_PAD src0_sel:WORD_0 src1_sel:DWORD
	v_ashrrev_i32_e32 v126, s25, v127
	v_lshlrev_b32_e32 v128, 2, v128
	v_and_b32_e32 v127, 0x3030303, v126
	v_bfe_u32 v126, v126, 24, 2
	v_and_b32_e32 v128, 0x4040404, v128
	v_sub_u16_e32 v129, v127, v128
	v_sub_u16_sdwa v137, v127, v128 dst_sel:BYTE_1 dst_unused:UNUSED_PAD src0_sel:BYTE_1 src1_sel:BYTE_1
	v_sub_u16_sdwa v126, v126, v128 dst_sel:BYTE_1 dst_unused:UNUSED_PAD src0_sel:DWORD src1_sel:BYTE_3
	v_sub_u16_sdwa v127, v127, v128 dst_sel:DWORD dst_unused:UNUSED_PAD src0_sel:WORD_1 src1_sel:WORD_1
	v_or_b32_sdwa v129, v129, v137 dst_sel:DWORD dst_unused:UNUSED_PAD src0_sel:BYTE_0 src1_sel:DWORD
	v_or_b32_sdwa v126, v127, v126 dst_sel:WORD_1 dst_unused:UNUSED_PAD src0_sel:BYTE_0 src1_sel:DWORD
	v_add_u32_e32 v128, 0x4218, v132
	v_or_b32_sdwa v137, v129, v126 dst_sel:DWORD dst_unused:UNUSED_PAD src0_sel:WORD_0 src1_sel:DWORD
	ds_read2_b32 v[126:127], v130 offset0:6 offset1:7
	ds_read2_b32 v[128:129], v128 offset1:1
	s_waitcnt lgkmcnt(1)
	v_ashrrev_i32_e32 v126, s25, v126
	s_waitcnt lgkmcnt(0)
	v_ashrrev_i32_e32 v128, s3, v128
	v_lshlrev_b32_e32 v128, 2, v128
	v_and_b32_e32 v130, 0x3030303, v126
	v_bfe_u32 v126, v126, 24, 2
	v_and_b32_e32 v128, 0x4040404, v128
	v_sub_u16_e32 v132, v130, v128
	v_sub_u16_sdwa v138, v130, v128 dst_sel:BYTE_1 dst_unused:UNUSED_PAD src0_sel:BYTE_1 src1_sel:BYTE_1
	v_sub_u16_sdwa v126, v126, v128 dst_sel:BYTE_1 dst_unused:UNUSED_PAD src0_sel:DWORD src1_sel:BYTE_3
	v_sub_u16_sdwa v128, v130, v128 dst_sel:DWORD dst_unused:UNUSED_PAD src0_sel:WORD_1 src1_sel:WORD_1
	v_or_b32_sdwa v132, v132, v138 dst_sel:DWORD dst_unused:UNUSED_PAD src0_sel:BYTE_0 src1_sel:DWORD
	v_or_b32_sdwa v126, v128, v126 dst_sel:WORD_1 dst_unused:UNUSED_PAD src0_sel:BYTE_0 src1_sel:DWORD
	v_ashrrev_i32_e32 v129, s3, v129
	v_or_b32_sdwa v128, v132, v126 dst_sel:DWORD dst_unused:UNUSED_PAD src0_sel:WORD_0 src1_sel:DWORD
	v_ashrrev_i32_e32 v126, s25, v127
	v_lshlrev_b32_e32 v129, 2, v129
	v_and_b32_e32 v127, 0x3030303, v126
	v_bfe_u32 v126, v126, 24, 2
	v_and_b32_e32 v129, 0x4040404, v129
	v_sub_u16_e32 v130, v127, v129
	v_sub_u16_sdwa v132, v127, v129 dst_sel:BYTE_1 dst_unused:UNUSED_PAD src0_sel:BYTE_1 src1_sel:BYTE_1
	v_sub_u16_sdwa v126, v126, v129 dst_sel:BYTE_1 dst_unused:UNUSED_PAD src0_sel:DWORD src1_sel:BYTE_3
	v_sub_u16_sdwa v127, v127, v129 dst_sel:DWORD dst_unused:UNUSED_PAD src0_sel:WORD_1 src1_sel:WORD_1
	v_or_b32_sdwa v130, v130, v132 dst_sel:DWORD dst_unused:UNUSED_PAD src0_sel:BYTE_0 src1_sel:DWORD
	v_or_b32_sdwa v126, v127, v126 dst_sel:WORD_1 dst_unused:UNUSED_PAD src0_sel:BYTE_0 src1_sel:DWORD
	v_add_u32_e32 v129, s36, v33
	v_or_b32_sdwa v127, v130, v126 dst_sel:DWORD dst_unused:UNUSED_PAD src0_sel:WORD_0 src1_sel:DWORD
	v_add_u32_e32 v126, s34, v93
	ds_read_b32 v129, v129
	ds_read_u16 v126, v126 offset:25330
	v_mov_b32_e32 v130, 0
	v_dot4c_i32_i8_e32 v130, v131, v6
	v_dot4c_i32_i8_e32 v130, v133, v7
	;; [unrolled: 1-line block ×4, first 2 shown]
	s_waitcnt lgkmcnt(0)
	v_lshrrev_b16_e32 v131, 8, v126
	v_bfe_i32 v126, v126, 0, 8
	v_add_lshl_u32 v132, v35, s33, 2
	v_mul_lo_u32 v126, v130, v126
	v_mov_b32_e32 v130, 0
	v_dot4c_i32_i8_e32 v130, v136, v2
	v_dot4c_i32_i8_e32 v130, v137, v3
	v_dot4c_i32_i8_e32 v130, v128, v4
	v_dot4c_i32_i8_e32 v130, v127, v5
	v_bfe_i32 v127, v131, 0, 8
	v_add_u32_e32 v128, 0x4200, v132
	s_nop 0
	v_mad_u64_u32 v[126:127], s[38:39], v130, v127, v[126:127]
	v_cvt_f32_i32_e32 v126, v126
	v_mul_f32_e32 v127, v125, v129
	v_add_u32_e32 v130, s35, v37
	ds_read2_b32 v[128:129], v128 offset1:1
	v_fmac_f32_e32 v63, v127, v126
	ds_read2_b32 v[126:127], v130 offset1:1
	s_waitcnt lgkmcnt(1)
	v_ashrrev_i32_e32 v128, s3, v128
	v_lshlrev_b32_e32 v128, 2, v128
	s_waitcnt lgkmcnt(0)
	v_ashrrev_i32_e32 v126, s25, v126
	v_and_b32_e32 v131, 0x3030303, v126
	v_bfe_u32 v126, v126, 24, 2
	v_and_b32_e32 v128, 0x4040404, v128
	v_sub_u16_e32 v133, v131, v128
	v_sub_u16_sdwa v134, v131, v128 dst_sel:BYTE_1 dst_unused:UNUSED_PAD src0_sel:BYTE_1 src1_sel:BYTE_1
	v_sub_u16_sdwa v126, v126, v128 dst_sel:BYTE_1 dst_unused:UNUSED_PAD src0_sel:DWORD src1_sel:BYTE_3
	v_sub_u16_sdwa v128, v131, v128 dst_sel:DWORD dst_unused:UNUSED_PAD src0_sel:WORD_1 src1_sel:WORD_1
	v_or_b32_sdwa v133, v133, v134 dst_sel:DWORD dst_unused:UNUSED_PAD src0_sel:BYTE_0 src1_sel:DWORD
	v_or_b32_sdwa v126, v128, v126 dst_sel:WORD_1 dst_unused:UNUSED_PAD src0_sel:BYTE_0 src1_sel:DWORD
	v_ashrrev_i32_e32 v128, s3, v129
	v_or_b32_sdwa v131, v133, v126 dst_sel:DWORD dst_unused:UNUSED_PAD src0_sel:WORD_0 src1_sel:DWORD
	v_ashrrev_i32_e32 v126, s25, v127
	v_lshlrev_b32_e32 v128, 2, v128
	v_and_b32_e32 v127, 0x3030303, v126
	v_bfe_u32 v126, v126, 24, 2
	v_and_b32_e32 v128, 0x4040404, v128
	v_sub_u16_e32 v129, v127, v128
	v_sub_u16_sdwa v133, v127, v128 dst_sel:BYTE_1 dst_unused:UNUSED_PAD src0_sel:BYTE_1 src1_sel:BYTE_1
	v_sub_u16_sdwa v126, v126, v128 dst_sel:BYTE_1 dst_unused:UNUSED_PAD src0_sel:DWORD src1_sel:BYTE_3
	v_sub_u16_sdwa v127, v127, v128 dst_sel:DWORD dst_unused:UNUSED_PAD src0_sel:WORD_1 src1_sel:WORD_1
	v_or_b32_sdwa v129, v129, v133 dst_sel:DWORD dst_unused:UNUSED_PAD src0_sel:BYTE_0 src1_sel:DWORD
	v_or_b32_sdwa v126, v127, v126 dst_sel:WORD_1 dst_unused:UNUSED_PAD src0_sel:BYTE_0 src1_sel:DWORD
	v_add_u32_e32 v128, 0x4208, v132
	v_or_b32_sdwa v133, v129, v126 dst_sel:DWORD dst_unused:UNUSED_PAD src0_sel:WORD_0 src1_sel:DWORD
	ds_read2_b32 v[126:127], v130 offset0:2 offset1:3
	ds_read2_b32 v[128:129], v128 offset1:1
	s_waitcnt lgkmcnt(1)
	v_ashrrev_i32_e32 v126, s25, v126
	s_waitcnt lgkmcnt(0)
	v_ashrrev_i32_e32 v128, s3, v128
	v_lshlrev_b32_e32 v128, 2, v128
	v_and_b32_e32 v134, 0x3030303, v126
	v_bfe_u32 v126, v126, 24, 2
	v_and_b32_e32 v128, 0x4040404, v128
	v_sub_u16_e32 v135, v134, v128
	v_sub_u16_sdwa v136, v134, v128 dst_sel:BYTE_1 dst_unused:UNUSED_PAD src0_sel:BYTE_1 src1_sel:BYTE_1
	v_sub_u16_sdwa v126, v126, v128 dst_sel:BYTE_1 dst_unused:UNUSED_PAD src0_sel:DWORD src1_sel:BYTE_3
	v_sub_u16_sdwa v128, v134, v128 dst_sel:DWORD dst_unused:UNUSED_PAD src0_sel:WORD_1 src1_sel:WORD_1
	v_or_b32_sdwa v135, v135, v136 dst_sel:DWORD dst_unused:UNUSED_PAD src0_sel:BYTE_0 src1_sel:DWORD
	v_or_b32_sdwa v126, v128, v126 dst_sel:WORD_1 dst_unused:UNUSED_PAD src0_sel:BYTE_0 src1_sel:DWORD
	v_ashrrev_i32_e32 v128, s3, v129
	v_or_b32_sdwa v134, v135, v126 dst_sel:DWORD dst_unused:UNUSED_PAD src0_sel:WORD_0 src1_sel:DWORD
	v_ashrrev_i32_e32 v126, s25, v127
	v_lshlrev_b32_e32 v128, 2, v128
	v_and_b32_e32 v127, 0x3030303, v126
	v_bfe_u32 v126, v126, 24, 2
	v_and_b32_e32 v128, 0x4040404, v128
	v_sub_u16_e32 v129, v127, v128
	v_sub_u16_sdwa v135, v127, v128 dst_sel:BYTE_1 dst_unused:UNUSED_PAD src0_sel:BYTE_1 src1_sel:BYTE_1
	v_sub_u16_sdwa v126, v126, v128 dst_sel:BYTE_1 dst_unused:UNUSED_PAD src0_sel:DWORD src1_sel:BYTE_3
	v_sub_u16_sdwa v127, v127, v128 dst_sel:DWORD dst_unused:UNUSED_PAD src0_sel:WORD_1 src1_sel:WORD_1
	v_or_b32_sdwa v129, v129, v135 dst_sel:DWORD dst_unused:UNUSED_PAD src0_sel:BYTE_0 src1_sel:DWORD
	v_or_b32_sdwa v126, v127, v126 dst_sel:WORD_1 dst_unused:UNUSED_PAD src0_sel:BYTE_0 src1_sel:DWORD
	v_add_u32_e32 v128, 0x4210, v132
	v_or_b32_sdwa v135, v129, v126 dst_sel:DWORD dst_unused:UNUSED_PAD src0_sel:WORD_0 src1_sel:DWORD
	ds_read2_b32 v[126:127], v130 offset0:4 offset1:5
	ds_read2_b32 v[128:129], v128 offset1:1
	s_waitcnt lgkmcnt(1)
	v_ashrrev_i32_e32 v126, s25, v126
	s_waitcnt lgkmcnt(0)
	v_ashrrev_i32_e32 v128, s3, v128
	v_lshlrev_b32_e32 v128, 2, v128
	;; [unrolled: 31-line block ×3, first 2 shown]
	v_and_b32_e32 v130, 0x3030303, v126
	v_bfe_u32 v126, v126, 24, 2
	v_and_b32_e32 v128, 0x4040404, v128
	v_sub_u16_e32 v132, v130, v128
	v_sub_u16_sdwa v138, v130, v128 dst_sel:BYTE_1 dst_unused:UNUSED_PAD src0_sel:BYTE_1 src1_sel:BYTE_1
	v_sub_u16_sdwa v126, v126, v128 dst_sel:BYTE_1 dst_unused:UNUSED_PAD src0_sel:DWORD src1_sel:BYTE_3
	v_sub_u16_sdwa v128, v130, v128 dst_sel:DWORD dst_unused:UNUSED_PAD src0_sel:WORD_1 src1_sel:WORD_1
	v_or_b32_sdwa v132, v132, v138 dst_sel:DWORD dst_unused:UNUSED_PAD src0_sel:BYTE_0 src1_sel:DWORD
	v_or_b32_sdwa v126, v128, v126 dst_sel:WORD_1 dst_unused:UNUSED_PAD src0_sel:BYTE_0 src1_sel:DWORD
	v_ashrrev_i32_e32 v129, s3, v129
	v_or_b32_sdwa v128, v132, v126 dst_sel:DWORD dst_unused:UNUSED_PAD src0_sel:WORD_0 src1_sel:DWORD
	v_ashrrev_i32_e32 v126, s25, v127
	v_lshlrev_b32_e32 v129, 2, v129
	v_and_b32_e32 v127, 0x3030303, v126
	v_bfe_u32 v126, v126, 24, 2
	v_and_b32_e32 v129, 0x4040404, v129
	v_sub_u16_e32 v130, v127, v129
	v_sub_u16_sdwa v132, v127, v129 dst_sel:BYTE_1 dst_unused:UNUSED_PAD src0_sel:BYTE_1 src1_sel:BYTE_1
	v_sub_u16_sdwa v126, v126, v129 dst_sel:BYTE_1 dst_unused:UNUSED_PAD src0_sel:DWORD src1_sel:BYTE_3
	v_sub_u16_sdwa v127, v127, v129 dst_sel:DWORD dst_unused:UNUSED_PAD src0_sel:WORD_1 src1_sel:WORD_1
	v_or_b32_sdwa v130, v130, v132 dst_sel:DWORD dst_unused:UNUSED_PAD src0_sel:BYTE_0 src1_sel:DWORD
	v_or_b32_sdwa v126, v127, v126 dst_sel:WORD_1 dst_unused:UNUSED_PAD src0_sel:BYTE_0 src1_sel:DWORD
	v_add_u32_e32 v129, s36, v39
	v_or_b32_sdwa v127, v130, v126 dst_sel:DWORD dst_unused:UNUSED_PAD src0_sel:WORD_0 src1_sel:DWORD
	v_add_u32_e32 v126, s34, v91
	ds_read_b32 v129, v129
	ds_read_u16 v126, v126 offset:26354
	v_mov_b32_e32 v130, 0
	v_dot4c_i32_i8_e32 v130, v131, v6
	v_dot4c_i32_i8_e32 v130, v133, v7
	v_dot4c_i32_i8_e32 v130, v134, v8
	v_dot4c_i32_i8_e32 v130, v135, v9
	s_waitcnt lgkmcnt(0)
	v_lshrrev_b16_e32 v131, 8, v126
	v_bfe_i32 v126, v126, 0, 8
	v_add_lshl_u32 v132, v41, s33, 2
	v_mul_lo_u32 v126, v130, v126
	v_mov_b32_e32 v130, 0
	v_dot4c_i32_i8_e32 v130, v136, v2
	v_dot4c_i32_i8_e32 v130, v137, v3
	;; [unrolled: 1-line block ×4, first 2 shown]
	v_bfe_i32 v127, v131, 0, 8
	v_add_u32_e32 v128, 0x4200, v132
	s_nop 0
	v_mad_u64_u32 v[126:127], s[38:39], v130, v127, v[126:127]
	v_cvt_f32_i32_e32 v126, v126
	v_mul_f32_e32 v127, v125, v129
	v_add_u32_e32 v130, s35, v43
	ds_read2_b32 v[128:129], v128 offset1:1
	v_fmac_f32_e32 v61, v127, v126
	ds_read2_b32 v[126:127], v130 offset1:1
	s_waitcnt lgkmcnt(1)
	v_ashrrev_i32_e32 v128, s3, v128
	v_lshlrev_b32_e32 v128, 2, v128
	s_waitcnt lgkmcnt(0)
	v_ashrrev_i32_e32 v126, s25, v126
	v_and_b32_e32 v131, 0x3030303, v126
	v_bfe_u32 v126, v126, 24, 2
	v_and_b32_e32 v128, 0x4040404, v128
	v_sub_u16_e32 v133, v131, v128
	v_sub_u16_sdwa v134, v131, v128 dst_sel:BYTE_1 dst_unused:UNUSED_PAD src0_sel:BYTE_1 src1_sel:BYTE_1
	v_sub_u16_sdwa v126, v126, v128 dst_sel:BYTE_1 dst_unused:UNUSED_PAD src0_sel:DWORD src1_sel:BYTE_3
	v_sub_u16_sdwa v128, v131, v128 dst_sel:DWORD dst_unused:UNUSED_PAD src0_sel:WORD_1 src1_sel:WORD_1
	v_or_b32_sdwa v133, v133, v134 dst_sel:DWORD dst_unused:UNUSED_PAD src0_sel:BYTE_0 src1_sel:DWORD
	v_or_b32_sdwa v126, v128, v126 dst_sel:WORD_1 dst_unused:UNUSED_PAD src0_sel:BYTE_0 src1_sel:DWORD
	v_ashrrev_i32_e32 v128, s3, v129
	v_or_b32_sdwa v131, v133, v126 dst_sel:DWORD dst_unused:UNUSED_PAD src0_sel:WORD_0 src1_sel:DWORD
	v_ashrrev_i32_e32 v126, s25, v127
	v_lshlrev_b32_e32 v128, 2, v128
	v_and_b32_e32 v127, 0x3030303, v126
	v_bfe_u32 v126, v126, 24, 2
	v_and_b32_e32 v128, 0x4040404, v128
	v_sub_u16_e32 v129, v127, v128
	v_sub_u16_sdwa v133, v127, v128 dst_sel:BYTE_1 dst_unused:UNUSED_PAD src0_sel:BYTE_1 src1_sel:BYTE_1
	v_sub_u16_sdwa v126, v126, v128 dst_sel:BYTE_1 dst_unused:UNUSED_PAD src0_sel:DWORD src1_sel:BYTE_3
	v_sub_u16_sdwa v127, v127, v128 dst_sel:DWORD dst_unused:UNUSED_PAD src0_sel:WORD_1 src1_sel:WORD_1
	v_or_b32_sdwa v129, v129, v133 dst_sel:DWORD dst_unused:UNUSED_PAD src0_sel:BYTE_0 src1_sel:DWORD
	v_or_b32_sdwa v126, v127, v126 dst_sel:WORD_1 dst_unused:UNUSED_PAD src0_sel:BYTE_0 src1_sel:DWORD
	v_add_u32_e32 v128, 0x4208, v132
	v_or_b32_sdwa v133, v129, v126 dst_sel:DWORD dst_unused:UNUSED_PAD src0_sel:WORD_0 src1_sel:DWORD
	ds_read2_b32 v[126:127], v130 offset0:2 offset1:3
	ds_read2_b32 v[128:129], v128 offset1:1
	s_waitcnt lgkmcnt(1)
	v_ashrrev_i32_e32 v126, s25, v126
	s_waitcnt lgkmcnt(0)
	v_ashrrev_i32_e32 v128, s3, v128
	v_lshlrev_b32_e32 v128, 2, v128
	v_and_b32_e32 v134, 0x3030303, v126
	v_bfe_u32 v126, v126, 24, 2
	v_and_b32_e32 v128, 0x4040404, v128
	v_sub_u16_e32 v135, v134, v128
	v_sub_u16_sdwa v136, v134, v128 dst_sel:BYTE_1 dst_unused:UNUSED_PAD src0_sel:BYTE_1 src1_sel:BYTE_1
	v_sub_u16_sdwa v126, v126, v128 dst_sel:BYTE_1 dst_unused:UNUSED_PAD src0_sel:DWORD src1_sel:BYTE_3
	v_sub_u16_sdwa v128, v134, v128 dst_sel:DWORD dst_unused:UNUSED_PAD src0_sel:WORD_1 src1_sel:WORD_1
	v_or_b32_sdwa v135, v135, v136 dst_sel:DWORD dst_unused:UNUSED_PAD src0_sel:BYTE_0 src1_sel:DWORD
	v_or_b32_sdwa v126, v128, v126 dst_sel:WORD_1 dst_unused:UNUSED_PAD src0_sel:BYTE_0 src1_sel:DWORD
	v_ashrrev_i32_e32 v128, s3, v129
	v_or_b32_sdwa v134, v135, v126 dst_sel:DWORD dst_unused:UNUSED_PAD src0_sel:WORD_0 src1_sel:DWORD
	v_ashrrev_i32_e32 v126, s25, v127
	v_lshlrev_b32_e32 v128, 2, v128
	v_and_b32_e32 v127, 0x3030303, v126
	v_bfe_u32 v126, v126, 24, 2
	v_and_b32_e32 v128, 0x4040404, v128
	v_sub_u16_e32 v129, v127, v128
	v_sub_u16_sdwa v135, v127, v128 dst_sel:BYTE_1 dst_unused:UNUSED_PAD src0_sel:BYTE_1 src1_sel:BYTE_1
	v_sub_u16_sdwa v126, v126, v128 dst_sel:BYTE_1 dst_unused:UNUSED_PAD src0_sel:DWORD src1_sel:BYTE_3
	v_sub_u16_sdwa v127, v127, v128 dst_sel:DWORD dst_unused:UNUSED_PAD src0_sel:WORD_1 src1_sel:WORD_1
	v_or_b32_sdwa v129, v129, v135 dst_sel:DWORD dst_unused:UNUSED_PAD src0_sel:BYTE_0 src1_sel:DWORD
	v_or_b32_sdwa v126, v127, v126 dst_sel:WORD_1 dst_unused:UNUSED_PAD src0_sel:BYTE_0 src1_sel:DWORD
	v_add_u32_e32 v128, 0x4210, v132
	v_or_b32_sdwa v135, v129, v126 dst_sel:DWORD dst_unused:UNUSED_PAD src0_sel:WORD_0 src1_sel:DWORD
	ds_read2_b32 v[126:127], v130 offset0:4 offset1:5
	ds_read2_b32 v[128:129], v128 offset1:1
	s_waitcnt lgkmcnt(1)
	v_ashrrev_i32_e32 v126, s25, v126
	s_waitcnt lgkmcnt(0)
	v_ashrrev_i32_e32 v128, s3, v128
	v_lshlrev_b32_e32 v128, 2, v128
	;; [unrolled: 31-line block ×3, first 2 shown]
	v_and_b32_e32 v130, 0x3030303, v126
	v_bfe_u32 v126, v126, 24, 2
	v_and_b32_e32 v128, 0x4040404, v128
	v_sub_u16_e32 v132, v130, v128
	v_sub_u16_sdwa v138, v130, v128 dst_sel:BYTE_1 dst_unused:UNUSED_PAD src0_sel:BYTE_1 src1_sel:BYTE_1
	v_sub_u16_sdwa v126, v126, v128 dst_sel:BYTE_1 dst_unused:UNUSED_PAD src0_sel:DWORD src1_sel:BYTE_3
	v_sub_u16_sdwa v128, v130, v128 dst_sel:DWORD dst_unused:UNUSED_PAD src0_sel:WORD_1 src1_sel:WORD_1
	v_or_b32_sdwa v132, v132, v138 dst_sel:DWORD dst_unused:UNUSED_PAD src0_sel:BYTE_0 src1_sel:DWORD
	v_or_b32_sdwa v126, v128, v126 dst_sel:WORD_1 dst_unused:UNUSED_PAD src0_sel:BYTE_0 src1_sel:DWORD
	v_ashrrev_i32_e32 v129, s3, v129
	v_or_b32_sdwa v128, v132, v126 dst_sel:DWORD dst_unused:UNUSED_PAD src0_sel:WORD_0 src1_sel:DWORD
	v_ashrrev_i32_e32 v126, s25, v127
	v_lshlrev_b32_e32 v129, 2, v129
	v_and_b32_e32 v127, 0x3030303, v126
	v_bfe_u32 v126, v126, 24, 2
	v_and_b32_e32 v129, 0x4040404, v129
	v_sub_u16_e32 v130, v127, v129
	v_sub_u16_sdwa v132, v127, v129 dst_sel:BYTE_1 dst_unused:UNUSED_PAD src0_sel:BYTE_1 src1_sel:BYTE_1
	v_sub_u16_sdwa v126, v126, v129 dst_sel:BYTE_1 dst_unused:UNUSED_PAD src0_sel:DWORD src1_sel:BYTE_3
	v_sub_u16_sdwa v127, v127, v129 dst_sel:DWORD dst_unused:UNUSED_PAD src0_sel:WORD_1 src1_sel:WORD_1
	v_or_b32_sdwa v130, v130, v132 dst_sel:DWORD dst_unused:UNUSED_PAD src0_sel:BYTE_0 src1_sel:DWORD
	v_or_b32_sdwa v126, v127, v126 dst_sel:WORD_1 dst_unused:UNUSED_PAD src0_sel:BYTE_0 src1_sel:DWORD
	v_add_u32_e32 v129, s36, v45
	v_or_b32_sdwa v127, v130, v126 dst_sel:DWORD dst_unused:UNUSED_PAD src0_sel:WORD_0 src1_sel:DWORD
	v_add_u32_e32 v126, s34, v89
	ds_read_b32 v129, v129
	ds_read_u16 v126, v126 offset:27378
	v_mov_b32_e32 v130, 0
	v_dot4c_i32_i8_e32 v130, v131, v6
	v_dot4c_i32_i8_e32 v130, v133, v7
	;; [unrolled: 1-line block ×4, first 2 shown]
	s_waitcnt lgkmcnt(0)
	v_lshrrev_b16_e32 v131, 8, v126
	v_bfe_i32 v126, v126, 0, 8
	v_add_lshl_u32 v132, v47, s33, 2
	v_mul_lo_u32 v126, v130, v126
	v_mov_b32_e32 v130, 0
	v_dot4c_i32_i8_e32 v130, v136, v2
	v_dot4c_i32_i8_e32 v130, v137, v3
	;; [unrolled: 1-line block ×4, first 2 shown]
	v_bfe_i32 v127, v131, 0, 8
	v_add_u32_e32 v128, 0x4200, v132
	s_nop 0
	v_mad_u64_u32 v[126:127], s[38:39], v130, v127, v[126:127]
	v_cvt_f32_i32_e32 v126, v126
	v_mul_f32_e32 v127, v125, v129
	v_add_u32_e32 v130, s35, v49
	ds_read2_b32 v[128:129], v128 offset1:1
	v_fmac_f32_e32 v51, v127, v126
	ds_read2_b32 v[126:127], v130 offset1:1
	s_waitcnt lgkmcnt(1)
	v_ashrrev_i32_e32 v128, s3, v128
	v_lshlrev_b32_e32 v128, 2, v128
	s_waitcnt lgkmcnt(0)
	v_ashrrev_i32_e32 v126, s25, v126
	v_and_b32_e32 v131, 0x3030303, v126
	v_bfe_u32 v126, v126, 24, 2
	v_and_b32_e32 v128, 0x4040404, v128
	v_sub_u16_e32 v133, v131, v128
	v_sub_u16_sdwa v134, v131, v128 dst_sel:BYTE_1 dst_unused:UNUSED_PAD src0_sel:BYTE_1 src1_sel:BYTE_1
	v_sub_u16_sdwa v126, v126, v128 dst_sel:BYTE_1 dst_unused:UNUSED_PAD src0_sel:DWORD src1_sel:BYTE_3
	v_sub_u16_sdwa v128, v131, v128 dst_sel:DWORD dst_unused:UNUSED_PAD src0_sel:WORD_1 src1_sel:WORD_1
	v_or_b32_sdwa v133, v133, v134 dst_sel:DWORD dst_unused:UNUSED_PAD src0_sel:BYTE_0 src1_sel:DWORD
	v_or_b32_sdwa v126, v128, v126 dst_sel:WORD_1 dst_unused:UNUSED_PAD src0_sel:BYTE_0 src1_sel:DWORD
	v_ashrrev_i32_e32 v128, s3, v129
	v_or_b32_sdwa v131, v133, v126 dst_sel:DWORD dst_unused:UNUSED_PAD src0_sel:WORD_0 src1_sel:DWORD
	v_ashrrev_i32_e32 v126, s25, v127
	v_lshlrev_b32_e32 v128, 2, v128
	v_and_b32_e32 v127, 0x3030303, v126
	v_bfe_u32 v126, v126, 24, 2
	v_and_b32_e32 v128, 0x4040404, v128
	v_sub_u16_e32 v129, v127, v128
	v_sub_u16_sdwa v133, v127, v128 dst_sel:BYTE_1 dst_unused:UNUSED_PAD src0_sel:BYTE_1 src1_sel:BYTE_1
	v_sub_u16_sdwa v126, v126, v128 dst_sel:BYTE_1 dst_unused:UNUSED_PAD src0_sel:DWORD src1_sel:BYTE_3
	v_sub_u16_sdwa v127, v127, v128 dst_sel:DWORD dst_unused:UNUSED_PAD src0_sel:WORD_1 src1_sel:WORD_1
	v_or_b32_sdwa v129, v129, v133 dst_sel:DWORD dst_unused:UNUSED_PAD src0_sel:BYTE_0 src1_sel:DWORD
	v_or_b32_sdwa v126, v127, v126 dst_sel:WORD_1 dst_unused:UNUSED_PAD src0_sel:BYTE_0 src1_sel:DWORD
	v_add_u32_e32 v128, 0x4208, v132
	v_or_b32_sdwa v133, v129, v126 dst_sel:DWORD dst_unused:UNUSED_PAD src0_sel:WORD_0 src1_sel:DWORD
	ds_read2_b32 v[126:127], v130 offset0:2 offset1:3
	ds_read2_b32 v[128:129], v128 offset1:1
	s_waitcnt lgkmcnt(1)
	v_ashrrev_i32_e32 v126, s25, v126
	s_waitcnt lgkmcnt(0)
	v_ashrrev_i32_e32 v128, s3, v128
	v_lshlrev_b32_e32 v128, 2, v128
	v_and_b32_e32 v134, 0x3030303, v126
	v_bfe_u32 v126, v126, 24, 2
	v_and_b32_e32 v128, 0x4040404, v128
	v_sub_u16_e32 v135, v134, v128
	v_sub_u16_sdwa v136, v134, v128 dst_sel:BYTE_1 dst_unused:UNUSED_PAD src0_sel:BYTE_1 src1_sel:BYTE_1
	v_sub_u16_sdwa v126, v126, v128 dst_sel:BYTE_1 dst_unused:UNUSED_PAD src0_sel:DWORD src1_sel:BYTE_3
	v_sub_u16_sdwa v128, v134, v128 dst_sel:DWORD dst_unused:UNUSED_PAD src0_sel:WORD_1 src1_sel:WORD_1
	v_or_b32_sdwa v135, v135, v136 dst_sel:DWORD dst_unused:UNUSED_PAD src0_sel:BYTE_0 src1_sel:DWORD
	v_or_b32_sdwa v126, v128, v126 dst_sel:WORD_1 dst_unused:UNUSED_PAD src0_sel:BYTE_0 src1_sel:DWORD
	v_ashrrev_i32_e32 v128, s3, v129
	v_or_b32_sdwa v134, v135, v126 dst_sel:DWORD dst_unused:UNUSED_PAD src0_sel:WORD_0 src1_sel:DWORD
	v_ashrrev_i32_e32 v126, s25, v127
	v_lshlrev_b32_e32 v128, 2, v128
	v_and_b32_e32 v127, 0x3030303, v126
	v_bfe_u32 v126, v126, 24, 2
	v_and_b32_e32 v128, 0x4040404, v128
	v_sub_u16_e32 v129, v127, v128
	v_sub_u16_sdwa v135, v127, v128 dst_sel:BYTE_1 dst_unused:UNUSED_PAD src0_sel:BYTE_1 src1_sel:BYTE_1
	v_sub_u16_sdwa v126, v126, v128 dst_sel:BYTE_1 dst_unused:UNUSED_PAD src0_sel:DWORD src1_sel:BYTE_3
	v_sub_u16_sdwa v127, v127, v128 dst_sel:DWORD dst_unused:UNUSED_PAD src0_sel:WORD_1 src1_sel:WORD_1
	v_or_b32_sdwa v129, v129, v135 dst_sel:DWORD dst_unused:UNUSED_PAD src0_sel:BYTE_0 src1_sel:DWORD
	v_or_b32_sdwa v126, v127, v126 dst_sel:WORD_1 dst_unused:UNUSED_PAD src0_sel:BYTE_0 src1_sel:DWORD
	v_add_u32_e32 v128, 0x4210, v132
	v_or_b32_sdwa v135, v129, v126 dst_sel:DWORD dst_unused:UNUSED_PAD src0_sel:WORD_0 src1_sel:DWORD
	ds_read2_b32 v[126:127], v130 offset0:4 offset1:5
	ds_read2_b32 v[128:129], v128 offset1:1
	s_waitcnt lgkmcnt(1)
	v_ashrrev_i32_e32 v126, s25, v126
	s_waitcnt lgkmcnt(0)
	v_ashrrev_i32_e32 v128, s3, v128
	v_lshlrev_b32_e32 v128, 2, v128
	;; [unrolled: 31-line block ×3, first 2 shown]
	v_and_b32_e32 v130, 0x3030303, v126
	v_bfe_u32 v126, v126, 24, 2
	v_and_b32_e32 v128, 0x4040404, v128
	v_ashrrev_i32_e32 v129, s3, v129
	v_sub_u16_e32 v132, v130, v128
	v_sub_u16_sdwa v138, v130, v128 dst_sel:BYTE_1 dst_unused:UNUSED_PAD src0_sel:BYTE_1 src1_sel:BYTE_1
	v_sub_u16_sdwa v126, v126, v128 dst_sel:BYTE_1 dst_unused:UNUSED_PAD src0_sel:DWORD src1_sel:BYTE_3
	v_sub_u16_sdwa v128, v130, v128 dst_sel:DWORD dst_unused:UNUSED_PAD src0_sel:WORD_1 src1_sel:WORD_1
	v_ashrrev_i32_e32 v127, s25, v127
	v_lshlrev_b32_e32 v129, 2, v129
	v_or_b32_sdwa v132, v132, v138 dst_sel:DWORD dst_unused:UNUSED_PAD src0_sel:BYTE_0 src1_sel:DWORD
	v_or_b32_sdwa v126, v128, v126 dst_sel:WORD_1 dst_unused:UNUSED_PAD src0_sel:BYTE_0 src1_sel:DWORD
	v_and_b32_e32 v128, 0x3030303, v127
	v_bfe_u32 v127, v127, 24, 2
	v_and_b32_e32 v129, 0x4040404, v129
	v_or_b32_sdwa v126, v132, v126 dst_sel:DWORD dst_unused:UNUSED_PAD src0_sel:WORD_0 src1_sel:DWORD
	v_sub_u16_e32 v130, v128, v129
	v_sub_u16_sdwa v132, v128, v129 dst_sel:BYTE_1 dst_unused:UNUSED_PAD src0_sel:BYTE_1 src1_sel:BYTE_1
	v_sub_u16_sdwa v127, v127, v129 dst_sel:BYTE_1 dst_unused:UNUSED_PAD src0_sel:DWORD src1_sel:BYTE_3
	v_sub_u16_sdwa v128, v128, v129 dst_sel:DWORD dst_unused:UNUSED_PAD src0_sel:WORD_1 src1_sel:WORD_1
	v_or_b32_sdwa v130, v130, v132 dst_sel:DWORD dst_unused:UNUSED_PAD src0_sel:BYTE_0 src1_sel:DWORD
	v_or_b32_sdwa v127, v128, v127 dst_sel:WORD_1 dst_unused:UNUSED_PAD src0_sel:BYTE_0 src1_sel:DWORD
	v_add_u32_e32 v128, s34, v87
	v_or_b32_sdwa v127, v130, v127 dst_sel:DWORD dst_unused:UNUSED_PAD src0_sel:WORD_0 src1_sel:DWORD
	v_add_u32_e32 v129, s36, v53
	v_mov_b32_e32 v130, 0
	ds_read_b32 v129, v129
	v_dot4c_i32_i8_e32 v130, v131, v6
	ds_read_u16 v6, v128 offset:28402
	v_dot4c_i32_i8_e32 v130, v133, v7
	v_dot4c_i32_i8_e32 v130, v134, v8
	v_mov_b32_e32 v8, 0
	v_dot4c_i32_i8_e32 v8, v136, v2
	v_dot4c_i32_i8_e32 v8, v137, v3
	;; [unrolled: 1-line block ×3, first 2 shown]
	s_waitcnt lgkmcnt(0)
	v_lshrrev_b16_e32 v7, 8, v6
	v_bfe_i32 v6, v6, 0, 8
	v_dot4c_i32_i8_e32 v8, v126, v4
	v_mul_lo_u32 v6, v130, v6
	v_dot4c_i32_i8_e32 v8, v127, v5
	v_bfe_i32 v2, v7, 0, 8
	s_add_i32 s3, s3, 1
	s_cmp_lt_u32 s24, 30
	v_mad_u64_u32 v[2:3], s[34:35], v8, v2, v[6:7]
	v_cvt_f32_i32_e32 v2, v2
	v_mul_f32_e32 v3, v125, v129
	s_mov_b32 s34, s24
	v_fmac_f32_e32 v11, v3, v2
	s_cbranch_scc1 .LBB230_36
; %bb.37:                               ;   in Loop: Header=BB230_5 Depth=1
	s_barrier
	s_branch .LBB230_4
.LBB230_38:
	v_mov_b32_e32 v51, 0
	v_mov_b32_e32 v61, 0
	;; [unrolled: 1-line block ×3, first 2 shown]
.LBB230_39:
	s_mul_i32 s0, s10, s7
	s_waitcnt vmcnt(0)
	v_cmp_gt_i32_e32 vcc, s0, v1
	s_and_saveexec_b64 s[0:1], vcc
	s_cbranch_execz .LBB230_48
; %bb.40:
	v_and_b32_e32 v0, 0x3ff, v0
	v_add_u32_e32 v2, s11, v0
	v_mul_lo_u32 v0, v1, s9
	v_cmp_gt_u32_e32 vcc, s9, v2
	s_and_saveexec_b64 s[0:1], vcc
	s_cbranch_execz .LBB230_42
; %bb.41:
	v_bfe_u32 v1, v63, 16, 1
	s_movk_i32 s2, 0x7fff
	v_add3_u32 v1, v63, v1, s2
	v_lshrrev_b32_e32 v1, 16, v1
	v_mov_b32_e32 v3, 0x7fc0
	v_cmp_o_f32_e32 vcc, v63, v63
	v_add_u32_e32 v4, v0, v2
	v_mov_b32_e32 v5, 0
	v_cndmask_b32_e32 v1, v3, v1, vcc
	v_lshl_add_u64 v[4:5], v[4:5], 1, s[16:17]
	global_store_short v[4:5], v1, off
.LBB230_42:
	s_or_b64 exec, exec, s[0:1]
	v_add_u32_e32 v1, 32, v2
	v_cmp_gt_u32_e32 vcc, s9, v1
	s_and_saveexec_b64 s[0:1], vcc
	s_cbranch_execz .LBB230_44
; %bb.43:
	v_bfe_u32 v3, v61, 16, 1
	s_movk_i32 s2, 0x7fff
	v_add3_u32 v3, v61, v3, s2
	v_lshrrev_b32_e32 v3, 16, v3
	v_mov_b32_e32 v4, 0x7fc0
	v_cmp_o_f32_e32 vcc, v61, v61
	v_mov_b32_e32 v5, 0
	s_nop 0
	v_cndmask_b32_e32 v3, v4, v3, vcc
	v_add_u32_e32 v4, v0, v1
	v_lshl_add_u64 v[4:5], v[4:5], 1, s[16:17]
	global_store_short v[4:5], v3, off
.LBB230_44:
	s_or_b64 exec, exec, s[0:1]
	v_add_u32_e32 v1, 64, v2
	v_cmp_gt_u32_e32 vcc, s9, v1
	s_and_saveexec_b64 s[0:1], vcc
	s_cbranch_execz .LBB230_46
; %bb.45:
	v_bfe_u32 v3, v51, 16, 1
	s_movk_i32 s2, 0x7fff
	v_add3_u32 v3, v51, v3, s2
	v_lshrrev_b32_e32 v3, 16, v3
	v_mov_b32_e32 v4, 0x7fc0
	v_cmp_o_f32_e32 vcc, v51, v51
	v_mov_b32_e32 v5, 0
	s_nop 0
	v_cndmask_b32_e32 v3, v4, v3, vcc
	v_add_u32_e32 v4, v0, v1
	v_lshl_add_u64 v[4:5], v[4:5], 1, s[16:17]
	global_store_short v[4:5], v3, off
.LBB230_46:
	s_or_b64 exec, exec, s[0:1]
	v_add_u32_e32 v1, 0x60, v2
	v_cmp_gt_u32_e32 vcc, s9, v1
	s_and_b64 exec, exec, vcc
	s_cbranch_execz .LBB230_48
; %bb.47:
	v_bfe_u32 v2, v11, 16, 1
	s_movk_i32 s0, 0x7fff
	v_add3_u32 v2, v11, v2, s0
	v_lshrrev_b32_e32 v2, 16, v2
	v_mov_b32_e32 v3, 0x7fc0
	v_cmp_o_f32_e32 vcc, v11, v11
	v_add_u32_e32 v0, v0, v1
	v_mov_b32_e32 v1, 0
	v_cndmask_b32_e32 v2, v3, v2, vcc
	v_lshl_add_u64 v[0:1], v[0:1], 1, s[16:17]
	global_store_short v[0:1], v2, off
.LBB230_48:
	s_endpgm
	.section	.rodata,"a",@progbits
	.p2align	6, 0x0
	.amdhsa_kernel _ZL8moe_q3_KIN3c108BFloat16ELb1EEvPKvS3_PT_PKiS7_S7_iiiiiii
		.amdhsa_group_segment_fixed_size 31776
		.amdhsa_private_segment_fixed_size 0
		.amdhsa_kernarg_size 76
		.amdhsa_user_sgpr_count 2
		.amdhsa_user_sgpr_dispatch_ptr 0
		.amdhsa_user_sgpr_queue_ptr 0
		.amdhsa_user_sgpr_kernarg_segment_ptr 1
		.amdhsa_user_sgpr_dispatch_id 0
		.amdhsa_user_sgpr_kernarg_preload_length 0
		.amdhsa_user_sgpr_kernarg_preload_offset 0
		.amdhsa_user_sgpr_private_segment_size 0
		.amdhsa_uses_dynamic_stack 0
		.amdhsa_enable_private_segment 0
		.amdhsa_system_sgpr_workgroup_id_x 1
		.amdhsa_system_sgpr_workgroup_id_y 1
		.amdhsa_system_sgpr_workgroup_id_z 0
		.amdhsa_system_sgpr_workgroup_info 0
		.amdhsa_system_vgpr_workitem_id 1
		.amdhsa_next_free_vgpr 153
		.amdhsa_next_free_sgpr 42
		.amdhsa_accum_offset 156
		.amdhsa_reserve_vcc 1
		.amdhsa_float_round_mode_32 0
		.amdhsa_float_round_mode_16_64 0
		.amdhsa_float_denorm_mode_32 3
		.amdhsa_float_denorm_mode_16_64 3
		.amdhsa_dx10_clamp 1
		.amdhsa_ieee_mode 1
		.amdhsa_fp16_overflow 0
		.amdhsa_tg_split 0
		.amdhsa_exception_fp_ieee_invalid_op 0
		.amdhsa_exception_fp_denorm_src 0
		.amdhsa_exception_fp_ieee_div_zero 0
		.amdhsa_exception_fp_ieee_overflow 0
		.amdhsa_exception_fp_ieee_underflow 0
		.amdhsa_exception_fp_ieee_inexact 0
		.amdhsa_exception_int_div_zero 0
	.end_amdhsa_kernel
	.section	.text._ZL8moe_q3_KIN3c108BFloat16ELb1EEvPKvS3_PT_PKiS7_S7_iiiiiii,"axG",@progbits,_ZL8moe_q3_KIN3c108BFloat16ELb1EEvPKvS3_PT_PKiS7_S7_iiiiiii,comdat
.Lfunc_end230:
	.size	_ZL8moe_q3_KIN3c108BFloat16ELb1EEvPKvS3_PT_PKiS7_S7_iiiiiii, .Lfunc_end230-_ZL8moe_q3_KIN3c108BFloat16ELb1EEvPKvS3_PT_PKiS7_S7_iiiiiii
                                        ; -- End function
	.section	.AMDGPU.csdata,"",@progbits
; Kernel info:
; codeLenInByte = 20544
; NumSgprs: 48
; NumVgprs: 153
; NumAgprs: 0
; TotalNumVgprs: 153
; ScratchSize: 0
; MemoryBound: 0
; FloatMode: 240
; IeeeMode: 1
; LDSByteSize: 31776 bytes/workgroup (compile time only)
; SGPRBlocks: 5
; VGPRBlocks: 19
; NumSGPRsForWavesPerEU: 48
; NumVGPRsForWavesPerEU: 153
; AccumOffset: 156
; Occupancy: 2
; WaveLimiterHint : 1
; COMPUTE_PGM_RSRC2:SCRATCH_EN: 0
; COMPUTE_PGM_RSRC2:USER_SGPR: 2
; COMPUTE_PGM_RSRC2:TRAP_HANDLER: 0
; COMPUTE_PGM_RSRC2:TGID_X_EN: 1
; COMPUTE_PGM_RSRC2:TGID_Y_EN: 1
; COMPUTE_PGM_RSRC2:TGID_Z_EN: 0
; COMPUTE_PGM_RSRC2:TIDIG_COMP_CNT: 1
; COMPUTE_PGM_RSRC3_GFX90A:ACCUM_OFFSET: 38
; COMPUTE_PGM_RSRC3_GFX90A:TG_SPLIT: 0
	.section	.text._ZL8moe_q4_KIN3c108BFloat16ELb0EEvPKvS3_PT_PKiS7_S7_iiiiiii,"axG",@progbits,_ZL8moe_q4_KIN3c108BFloat16ELb0EEvPKvS3_PT_PKiS7_S7_iiiiiii,comdat
	.globl	_ZL8moe_q4_KIN3c108BFloat16ELb0EEvPKvS3_PT_PKiS7_S7_iiiiiii ; -- Begin function _ZL8moe_q4_KIN3c108BFloat16ELb0EEvPKvS3_PT_PKiS7_S7_iiiiiii
	.p2align	8
	.type	_ZL8moe_q4_KIN3c108BFloat16ELb0EEvPKvS3_PT_PKiS7_S7_iiiiiii,@function
_ZL8moe_q4_KIN3c108BFloat16ELb0EEvPKvS3_PT_PKiS7_S7_iiiiiii: ; @_ZL8moe_q4_KIN3c108BFloat16ELb0EEvPKvS3_PT_PKiS7_S7_iiiiiii
; %bb.0:
	s_load_dwordx4 s[4:7], s[0:1], 0x18
	s_mov_b32 s8, s3
	s_mov_b32 s9, 0
	s_lshl_b64 s[10:11], s[8:9], 2
	s_waitcnt lgkmcnt(0)
	s_add_u32 s6, s6, s10
	s_addc_u32 s7, s7, s11
	s_load_dword s3, s[6:7], 0x0
	s_waitcnt lgkmcnt(0)
	s_cmpk_gt_u32 s3, 0xff
	s_cbranch_scc1 .LBB231_28
; %bb.1:
	s_load_dwordx2 s[6:7], s[0:1], 0x28
	s_waitcnt lgkmcnt(0)
	s_load_dword s7, s[6:7], 0x0
	s_lshl_b32 s6, s8, 3
	s_waitcnt lgkmcnt(0)
	s_cmp_gt_u32 s6, s7
	s_cbranch_scc1 .LBB231_28
; %bb.2:
	v_bfe_u32 v2, v0, 10, 10
	v_mov_b32_e32 v4, s4
	v_mov_b32_e32 v5, s5
	v_add_u32_e32 v40, s6, v2
	v_mov_b32_e32 v41, 0
	v_lshl_add_u64 v[4:5], v[40:41], 2, v[4:5]
	global_load_dword v1, v[4:5], off
	s_load_dwordx2 s[14:15], s[0:1], 0x30
	s_load_dwordx2 s[12:13], s[0:1], 0x10
	s_load_dwordx4 s[4:7], s[0:1], 0x3c
	s_lshl_b32 s24, s2, 7
	s_mov_b32 s22, 0
	s_waitcnt lgkmcnt(0)
	s_cmpk_lt_i32 s15, 0x100
	s_cbranch_scc1 .LBB231_18
; %bb.3:
	s_load_dwordx4 s[8:11], s[0:1], 0x0
	s_ashr_i32 s0, s15, 31
	s_lshr_b32 s0, s0, 24
	s_add_i32 s0, s15, s0
	s_ashr_i32 s25, s0, 8
	s_ashr_i32 s0, s5, 31
	s_lshr_b32 s0, s0, 27
	s_add_i32 s0, s5, s0
	v_and_b32_e32 v24, 0x3ff, v0
	s_ashr_i32 s5, s0, 5
	v_lshlrev_b32_e32 v6, 2, v24
	s_movk_i32 s0, 0x84
	v_mad_u32_u24 v92, v2, s0, v6
	s_lshl_b32 s0, s25, 3
	v_mov_b32_e32 v4, s0
	v_mad_i32_i24 v8, s25, v2, v4
	v_add_u32_e32 v9, s0, v8
	v_add_u32_e32 v10, s0, v9
	;; [unrolled: 1-line block ×10, first 2 shown]
	v_lshlrev_b32_e32 v4, 5, v2
	v_add_u32_e32 v19, s0, v18
	v_add_u32_e32 v25, v4, v24
	;; [unrolled: 1-line block ×3, first 2 shown]
	v_and_b32_e32 v5, 0x7f, v25
	v_lshrrev_b32_e32 v26, 3, v25
	v_add_u32_e32 v21, s0, v20
	v_mul_i32_i24_e32 v40, s25, v5
	v_and_b32_e32 v26, 12, v26
	v_lshlrev_b32_e32 v5, 2, v5
	s_movk_i32 s0, 0x4e40
	v_and_b32_e32 v28, 3, v24
	v_add3_u32 v108, v5, v26, s0
	v_lshlrev_b32_e32 v5, 3, v2
	v_lshrrev_b32_e32 v26, 2, v24
	v_add_u32_e32 v29, 0xfe, v28
	v_cmp_gt_u32_e32 vcc, 2, v28
	v_add_u32_e32 v27, v26, v5
	v_add_u16_e32 v5, v26, v5
	v_cndmask_b32_e32 v29, v29, v28, vcc
	s_mul_i32 s16, s3, s14
	v_and_b32_e32 v29, 0xff, v29
	v_cmp_ne_u32_e32 vcc, 0, v28
	v_cmp_lt_u32_e64 s[2:3], 1, v28
	v_and_b32_e32 v27, 0x7f, v27
	v_lshlrev_b32_e32 v28, 2, v28
	v_lshrrev_b16_e32 v5, 1, v5
	v_addc_co_u32_e32 v41, vcc, 0, v29, vcc
	v_lshlrev_b32_e32 v110, 1, v29
	v_lshl_or_b32 v29, v27, 4, v28
	v_and_b32_e32 v5, 60, v5
	s_movk_i32 s1, 0x4200
	v_add3_u32 v111, v29, v5, s1
	v_xor_b32_e32 v5, 64, v27
	v_mul_i32_i24_e32 v61, s25, v5
	v_lshl_or_b32 v26, v5, 4, v28
	v_lshrrev_b32_e32 v5, 1, v5
	v_mov_b32_e32 v23, 0
	v_and_b32_e32 v5, 60, v5
	v_add3_u32 v112, v26, v5, s1
	v_and_or_b32 v28, v24, 31, v4
	v_and_b32_e32 v4, 28, v6
	v_mov_b32_e32 v5, v23
	s_movk_i32 s1, 0xffe4
	v_mul_i32_i24_e32 v60, s25, v27
	s_waitcnt lgkmcnt(0)
	v_lshl_add_u64 v[26:27], s[10:11], 0, v[4:5]
	v_mov_b32_e32 v4, 0x4a40
	v_mad_i32_i24 v5, v2, s1, v25
	v_mov_b32_e32 v25, 0x5050
	v_lshrrev_b32_e32 v115, 3, v24
	v_lshrrev_b32_e32 v3, 5, v24
	v_lshl_add_u32 v113, v28, 2, v4
	v_lshl_add_u32 v114, v5, 2, v25
	;; [unrolled: 1-line block ×3, first 2 shown]
	v_add_u32_e32 v4, v115, v6
	v_mov_b32_e32 v5, 0x4200
	v_lshl_add_u32 v118, v4, 2, v5
	v_lshlrev_b32_e32 v4, 2, v3
	v_add3_u32 v120, v4, v6, s0
	v_add_u32_e32 v4, 32, v24
	v_lshrrev_b32_e32 v121, 3, v4
	v_lshl_add_u32 v4, v4, 2, v121
	v_lshl_add_u32 v122, v4, 2, v5
	v_and_b32_e32 v4, 60, v121
	v_add3_u32 v123, v6, v4, s0
	v_add_u32_e32 v4, 64, v24
	v_lshrrev_b32_e32 v25, 3, v4
	v_lshl_add_u32 v4, v4, 2, v25
	s_abs_i32 s18, s7
	v_lshl_add_u32 v124, v4, 2, v5
	v_and_b32_e32 v4, 60, v25
	v_cvt_f32_u32_e32 v28, s18
	v_add3_u32 v125, v6, v4, s0
	v_add_u32_e32 v4, 0x60, v24
	v_lshrrev_b32_e32 v25, 3, v4
	v_lshl_add_u32 v4, v4, 2, v25
	v_lshl_add_u32 v126, v4, 2, v5
	v_rcp_iflag_f32_e32 v5, v28
	v_and_b32_e32 v4, 60, v25
	v_add3_u32 v127, v6, v4, s0
	s_sub_i32 s0, 0, s18
	v_mul_f32_e32 v5, 0x4f7ffffe, v5
	v_cvt_u32_f32_e32 v5, v5
	v_and_b32_e32 v22, 0x7c, v6
	v_and_b32_e32 v30, 4, v6
	s_waitcnt vmcnt(0)
	v_sub_u32_e32 v6, 0, v1
	v_mul_lo_u32 v25, s0, v5
	v_mul_hi_u32 v25, v5, v25
	v_max_i32_e32 v6, v1, v6
	v_add_u32_e32 v5, v5, v25
	v_mul_hi_u32 v5, v6, v5
	v_mul_lo_u32 v25, v5, s18
	v_sub_u32_e32 v6, v6, v25
	v_add_u32_e32 v25, 1, v5
	v_cmp_le_u32_e64 s[0:1], s18, v6
	v_xor_b32_e32 v4, s7, v1
	v_ashrrev_i32_e32 v4, 31, v4
	v_cndmask_b32_e64 v5, v5, v25, s[0:1]
	v_subrev_u32_e32 v25, s18, v6
	v_cndmask_b32_e64 v6, v6, v25, s[0:1]
	v_add_u32_e32 v25, 1, v5
	v_cmp_le_u32_e64 s[0:1], s18, v6
	s_mul_i32 s14, s25, s24
	s_mul_hi_i32 s27, s14, 0x90
	v_cndmask_b32_e64 v5, v5, v25, s[0:1]
	v_xor_b32_e32 v5, v5, v4
	v_sub_u32_e32 v4, v5, v4
	s_mul_i32 s26, s14, 0x90
	v_cmp_gt_i32_e64 s[0:1], s4, v4
	v_mul_lo_u32 v28, v4, s5
	s_movk_i32 s23, 0x90
	v_mov_b64_e32 v[4:5], s[26:27]
	v_mul_i32_i24_e32 v7, s25, v2
	v_mad_u64_u32 v[4:5], s[28:29], v3, s23, v[4:5]
	v_mad_u64_u32 v[6:7], s[28:29], v7, s23, v[4:5]
	v_lshl_add_u64 v[6:7], v[6:7], 0, v[22:23]
	v_lshl_add_u64 v[6:7], v[6:7], 0, s[8:9]
	v_cndmask_b32_e64 v109, 0, v30, s[2:3]
	v_lshl_add_u64 v[30:31], v[6:7], 0, 16
	v_mad_u64_u32 v[6:7], s[28:29], v8, s23, v[4:5]
	v_lshl_add_u64 v[6:7], v[6:7], 0, v[22:23]
	v_lshl_add_u64 v[6:7], v[6:7], 0, s[8:9]
	v_lshl_add_u64 v[32:33], v[6:7], 0, 16
	v_mad_u64_u32 v[6:7], s[28:29], v9, s23, v[4:5]
	v_lshl_add_u64 v[6:7], v[6:7], 0, v[22:23]
	v_lshl_add_u64 v[6:7], v[6:7], 0, s[8:9]
	;; [unrolled: 4-line block ×13, first 2 shown]
	v_lshl_add_u64 v[58:59], v[6:7], 0, 16
	v_mad_u64_u32 v[6:7], s[28:29], v21, s23, v[4:5]
	s_mul_i32 s28, s25, 0x78
	s_ashr_i32 s17, s16, 31
	v_mov_b32_e32 v3, s28
	v_lshlrev_b32_e32 v117, 4, v2
	s_add_u32 s20, s10, 0x90
	v_mad_i32_i24 v2, s25, v2, v3
	s_addc_u32 s21, s11, 0
	v_mad_u64_u32 v[2:3], s[28:29], v2, s23, v[4:5]
	v_lshl_add_u64 v[2:3], v[2:3], 0, v[22:23]
	s_add_u32 s26, s8, s26
	v_lshl_add_u64 v[6:7], v[6:7], 0, v[22:23]
	v_lshl_add_u64 v[2:3], v[2:3], 0, s[8:9]
	s_addc_u32 s27, s9, s27
	v_lshl_add_u64 v[6:7], v[6:7], 0, s[8:9]
	v_lshl_add_u64 v[64:65], v[2:3], 0, 16
	v_mov_b64_e32 v[2:3], s[26:27]
	v_lshl_add_u64 v[62:63], v[6:7], 0, 16
	v_mad_u64_u32 v[66:67], s[26:27], v40, s23, v[2:3]
	v_mad_u64_u32 v[2:3], s[26:27], v60, s23, 0
	v_mov_b32_e32 v6, 0x90
	v_mad_i64_i32 v[2:3], s[26:27], s14, v6, v[2:3]
	v_lshlrev_b32_e32 v22, 2, v41
	v_lshl_add_u64 v[4:5], v[2:3], 0, v[22:23]
	v_lshl_add_u64 v[4:5], v[4:5], 0, s[8:9]
	;; [unrolled: 1-line block ×3, first 2 shown]
	v_cndmask_b32_e64 v4, 0, 1, s[2:3]
	v_lshlrev_b32_e32 v7, 2, v4
	v_or_b32_e32 v2, v2, v7
	v_lshl_add_u64 v[2:3], v[2:3], 0, s[8:9]
	v_lshl_add_u64 v[70:71], v[2:3], 0, 4
	v_mad_u64_u32 v[2:3], s[2:3], v61, s23, 0
	v_mad_i64_i32 v[2:3], s[2:3], s14, v6, v[2:3]
	v_lshl_add_u64 v[4:5], v[2:3], 0, v[22:23]
	v_or_b32_e32 v2, v2, v7
	v_lshl_add_u64 v[4:5], v[4:5], 0, s[8:9]
	v_lshl_add_u64 v[2:3], v[2:3], 0, s[8:9]
	s_mov_b32 s23, s22
	v_add_u32_e32 v93, 0x420, v92
	v_add_u32_e32 v94, 0x840, v92
	;; [unrolled: 1-line block ×15, first 2 shown]
	v_cmp_gt_u32_e32 vcc, 4, v24
	v_mul_u32_u24_e32 v119, 0x84, v24
	v_ashrrev_i32_e32 v29, 31, v28
	s_mov_b64 s[18:19], 0x90
	v_lshl_add_u64 v[72:73], v[4:5], 0, 4
	v_lshl_add_u64 v[74:75], v[2:3], 0, 4
	s_movk_i32 s14, 0x80
	v_mov_b64_e32 v[60:61], s[22:23]
	s_mov_b32 s22, 0x30303030
	v_mov_b32_e32 v41, v23
	s_branch .LBB231_6
.LBB231_4:                              ;   in Loop: Header=BB231_6 Depth=1
	s_or_b64 exec, exec, s[8:9]
	s_waitcnt lgkmcnt(0)
	s_barrier
	ds_read_b128 v[2:5], v117 offset:20560
	ds_read2_b32 v[76:77], v119 offset0:16 offset1:17
	ds_read_b128 v[18:21], v116
	ds_read_b128 v[14:17], v116 offset:16
	ds_read_b128 v[10:13], v116 offset:32
	;; [unrolled: 1-line block ×3, first 2 shown]
	ds_read_b32 v25, v120
	ds_read2_b32 v[78:79], v119 offset0:18 offset1:19
	s_waitcnt lgkmcnt(6)
	v_and_b32_e32 v22, 0xf0f0f0f, v76
	v_mov_b32_e32 v128, 0
	s_waitcnt lgkmcnt(5)
	v_dot4c_i32_i8_e32 v128, v22, v18
	v_and_b32_e32 v22, 0xf0f0f0f, v77
	ds_read2_b32 v[80:81], v119 offset0:20 offset1:21
	ds_read2_b32 v[86:87], v119 offset0:22 offset1:23
	ds_read2_b32 v[82:83], v119 offset0:24 offset1:25
	v_dot4c_i32_i8_e32 v128, v22, v19
	s_waitcnt lgkmcnt(3)
	v_and_b32_e32 v22, 0xf0f0f0f, v78
	v_dot4c_i32_i8_e32 v128, v22, v20
	v_and_b32_e32 v22, 0xf0f0f0f, v79
	v_dot4c_i32_i8_e32 v128, v22, v21
	s_waitcnt lgkmcnt(2)
	v_and_b32_e32 v22, 0xf0f0f0f, v80
	v_dot4c_i32_i8_e32 v128, v22, v14
	v_and_b32_e32 v22, 0xf0f0f0f, v81
	;; [unrolled: 5-line block ×3, first 2 shown]
	v_dot4c_i32_i8_e32 v128, v22, v17
	v_lshrrev_b32_e32 v22, 4, v76
	v_and_b32_e32 v22, 0xf0f0f0f, v22
	v_mov_b32_e32 v141, 0
	v_dot4c_i32_i8_e32 v141, v22, v10
	v_lshrrev_b32_e32 v22, 4, v77
	v_and_b32_e32 v22, 0xf0f0f0f, v22
	v_dot4c_i32_i8_e32 v141, v22, v11
	v_lshrrev_b32_e32 v22, 4, v78
	v_and_b32_e32 v22, 0xf0f0f0f, v22
	;; [unrolled: 3-line block ×6, first 2 shown]
	v_add_u32_e32 v40, 0x10c0, v119
	ds_read2_b32 v[84:85], v118 offset0:1 offset1:3
	v_dot4c_i32_i8_e32 v141, v22, v8
	v_lshrrev_b32_e32 v22, 4, v87
	ds_read2_b32 v[86:87], v119 offset0:26 offset1:27
	ds_read2_b32 v[88:89], v119 offset0:28 offset1:29
	ds_read2_b32 v[90:91], v119 offset0:30 offset1:31
	ds_read2_b32 v[76:77], v40 offset1:1
	v_mov_b32_e32 v130, 0
	v_and_b32_e32 v22, 0xf0f0f0f, v22
	v_dot4c_i32_i8_e32 v141, v22, v9
	v_cvt_f32_f16_e32 v22, v25
	s_waitcnt lgkmcnt(0)
	v_and_b32_e32 v78, 0xf0f0f0f, v76
	v_dot4c_i32_i8_e32 v130, v78, v18
	v_and_b32_e32 v78, 0xf0f0f0f, v77
	v_dot4c_i32_i8_e32 v130, v78, v19
	v_add_u32_e32 v78, 0x10c8, v119
	v_cvt_f32_f16_sdwa v40, v25 dst_sel:DWORD dst_unused:UNUSED_PAD src0_sel:WORD_1
	ds_read_b32 v131, v123 offset:128
	ds_read_b32 v129, v125 offset:256
	;; [unrolled: 1-line block ×3, first 2 shown]
	ds_read2_b32 v[78:79], v78 offset1:1
	v_add_u32_e32 v80, 0x10d0, v119
	v_add_u32_e32 v136, 0x2140, v119
	v_add_u32_e32 v81, 0x10d8, v119
	ds_read2_b32 v[132:133], v80 offset1:1
	ds_read2_b32 v[134:135], v81 offset1:1
	;; [unrolled: 1-line block ×3, first 2 shown]
	s_waitcnt lgkmcnt(3)
	v_and_b32_e32 v80, 0xf0f0f0f, v78
	v_dot4c_i32_i8_e32 v130, v80, v20
	v_and_b32_e32 v80, 0xf0f0f0f, v79
	v_dot4c_i32_i8_e32 v130, v80, v21
	s_waitcnt lgkmcnt(2)
	v_and_b32_e32 v80, 0xf0f0f0f, v132
	v_dot4c_i32_i8_e32 v130, v80, v14
	v_and_b32_e32 v80, 0xf0f0f0f, v133
	v_dot4c_i32_i8_e32 v130, v80, v15
	ds_read2_b32 v[80:81], v122 offset0:1 offset1:3
	s_waitcnt lgkmcnt(2)
	v_and_b32_e32 v138, 0xf0f0f0f, v134
	v_dot4c_i32_i8_e32 v130, v138, v16
	v_and_b32_e32 v138, 0xf0f0f0f, v135
	v_dot4c_i32_i8_e32 v130, v138, v17
	s_waitcnt lgkmcnt(0)
	v_and_b32_e32 v138, 0xff, v80
	v_lshrrev_b32_e32 v76, 4, v76
	v_and_b32_e32 v76, 0xf0f0f0f, v76
	v_mul_lo_u32 v130, v130, v138
	v_cvt_f32_i32_e32 v143, v130
	v_mov_b32_e32 v130, 0
	v_dot4c_i32_i8_e32 v130, v76, v10
	v_lshrrev_b32_e32 v76, 4, v77
	v_and_b32_e32 v76, 0xf0f0f0f, v76
	v_dot4c_i32_i8_e32 v130, v76, v11
	v_lshrrev_b32_e32 v76, 4, v78
	v_and_b32_e32 v76, 0xf0f0f0f, v76
	;; [unrolled: 3-line block ×7, first 2 shown]
	v_dot4c_i32_i8_e32 v130, v76, v9
	v_bfe_u32 v76, v80, 8, 8
	v_mov_b32_e32 v147, 0
	v_mov_b32_e32 v149, 0
	v_mul_lo_u32 v76, v130, v76
	v_cvt_f32_i32_e32 v145, v76
	v_and_b32_e32 v76, 0xf0f0f0f, v136
	v_dot4c_i32_i8_e32 v147, v76, v18
	v_and_b32_e32 v76, 0xf0f0f0f, v137
	v_dot4c_i32_i8_e32 v147, v76, v19
	v_add_u32_e32 v76, 0x2148, v119
	ds_read2_b32 v[78:79], v76 offset1:1
	v_lshrrev_b32_e32 v136, 4, v136
	v_and_b32_e32 v136, 0xf0f0f0f, v136
	v_add_u32_e32 v77, 0x2150, v119
	v_add_u32_e32 v76, 0x31c0, v119
	v_dot4c_i32_i8_e32 v149, v136, v10
	v_lshrrev_b32_e32 v136, 4, v137
	v_add_u32_e32 v130, 0x2158, v119
	ds_read2_b32 v[132:133], v77 offset1:1
	ds_read2_b32 v[134:135], v130 offset1:1
	;; [unrolled: 1-line block ×3, first 2 shown]
	s_waitcnt lgkmcnt(3)
	v_and_b32_e32 v76, 0xf0f0f0f, v78
	v_and_b32_e32 v136, 0xf0f0f0f, v136
	v_lshrrev_b32_e32 v78, 4, v78
	v_dot4c_i32_i8_e32 v149, v136, v11
	v_and_b32_e32 v78, 0xf0f0f0f, v78
	v_dot4c_i32_i8_e32 v149, v78, v12
	v_lshrrev_b32_e32 v78, 4, v79
	v_and_b32_e32 v78, 0xf0f0f0f, v78
	v_dot4c_i32_i8_e32 v147, v76, v20
	v_and_b32_e32 v76, 0xf0f0f0f, v79
	v_dot4c_i32_i8_e32 v149, v78, v13
	s_waitcnt lgkmcnt(2)
	v_lshrrev_b32_e32 v78, 4, v132
	v_dot4c_i32_i8_e32 v147, v76, v21
	v_and_b32_e32 v76, 0xf0f0f0f, v132
	v_and_b32_e32 v78, 0xf0f0f0f, v78
	v_dot4c_i32_i8_e32 v147, v76, v14
	v_and_b32_e32 v76, 0xf0f0f0f, v133
	v_dot4c_i32_i8_e32 v149, v78, v6
	v_lshrrev_b32_e32 v78, 4, v133
	v_dot4c_i32_i8_e32 v147, v76, v15
	ds_read2_b32 v[76:77], v124 offset0:1 offset1:3
	v_and_b32_e32 v78, 0xf0f0f0f, v78
	v_dot4c_i32_i8_e32 v149, v78, v7
	s_waitcnt lgkmcnt(2)
	v_lshrrev_b32_e32 v78, 4, v134
	v_and_b32_e32 v78, 0xf0f0f0f, v78
	v_dot4c_i32_i8_e32 v149, v78, v8
	v_lshrrev_b32_e32 v78, 4, v135
	v_and_b32_e32 v78, 0xf0f0f0f, v78
	v_dot4c_i32_i8_e32 v149, v78, v9
	s_waitcnt lgkmcnt(0)
	v_bfe_u32 v78, v76, 8, 8
	v_mov_b32_e32 v151, 0
	v_and_b32_e32 v130, 0xf0f0f0f, v134
	v_mul_lo_u32 v78, v149, v78
	v_cvt_f32_i32_e32 v149, v78
	v_and_b32_e32 v78, 0xf0f0f0f, v138
	v_dot4c_i32_i8_e32 v151, v78, v18
	v_and_b32_e32 v18, 0xf0f0f0f, v139
	v_dot4c_i32_i8_e32 v151, v18, v19
	v_add_u32_e32 v18, 0x31c8, v119
	ds_read2_b32 v[18:19], v18 offset1:1
	v_add_u32_e32 v78, 0x31d0, v119
	v_add_u32_e32 v136, 0x10e0, v119
	v_dot4c_i32_i8_e32 v147, v130, v16
	v_and_b32_e32 v130, 0xf0f0f0f, v135
	v_add_u32_e32 v79, 0x31d8, v119
	ds_read2_b32 v[132:133], v78 offset1:1
	ds_read2_b32 v[134:135], v79 offset1:1
	;; [unrolled: 1-line block ×3, first 2 shown]
	s_waitcnt lgkmcnt(3)
	v_and_b32_e32 v78, 0xf0f0f0f, v18
	v_dot4c_i32_i8_e32 v151, v78, v20
	v_and_b32_e32 v20, 0xf0f0f0f, v19
	ds_read2_b32 v[78:79], v126 offset0:1 offset1:3
	v_dot4c_i32_i8_e32 v151, v20, v21
	s_waitcnt lgkmcnt(3)
	v_and_b32_e32 v20, 0xf0f0f0f, v132
	v_dot4c_i32_i8_e32 v151, v20, v14
	v_and_b32_e32 v14, 0xf0f0f0f, v133
	v_dot4c_i32_i8_e32 v151, v14, v15
	s_waitcnt lgkmcnt(2)
	v_and_b32_e32 v14, 0xf0f0f0f, v134
	v_dot4c_i32_i8_e32 v151, v14, v16
	v_and_b32_e32 v14, 0xf0f0f0f, v135
	v_dot4c_i32_i8_e32 v151, v14, v17
	s_waitcnt lgkmcnt(0)
	v_and_b32_e32 v14, 0xff, v78
	v_mov_b32_e32 v15, 0
	v_dot4c_i32_i8_e32 v147, v130, v17
	v_mul_lo_u32 v14, v151, v14
	v_cvt_f32_i32_e32 v151, v14
	v_lshrrev_b32_e32 v14, 4, v138
	v_and_b32_e32 v14, 0xf0f0f0f, v14
	v_dot4c_i32_i8_e32 v15, v14, v10
	v_lshrrev_b32_e32 v10, 4, v139
	v_and_b32_e32 v10, 0xf0f0f0f, v10
	v_dot4c_i32_i8_e32 v15, v10, v11
	;; [unrolled: 3-line block ×8, first 2 shown]
	v_bfe_u32 v6, v78, 8, 8
	v_and_b32_e32 v132, 0xf0f0f0f, v82
	v_mov_b32_e32 v133, 0
	v_mul_lo_u32 v6, v15, v6
	v_cvt_f32_i32_e32 v138, v6
	ds_read_b128 v[18:21], v116 offset:64
	ds_read_b128 v[14:17], v116 offset:80
	;; [unrolled: 1-line block ×4, first 2 shown]
	v_lshrrev_b32_e32 v82, 4, v82
	s_waitcnt lgkmcnt(3)
	v_dot4c_i32_i8_e32 v133, v132, v18
	v_and_b32_e32 v132, 0xf0f0f0f, v83
	v_dot4c_i32_i8_e32 v133, v132, v19
	v_and_b32_e32 v132, 0xf0f0f0f, v86
	;; [unrolled: 2-line block ×4, first 2 shown]
	s_waitcnt lgkmcnt(2)
	v_dot4c_i32_i8_e32 v133, v132, v14
	v_and_b32_e32 v132, 0xf0f0f0f, v89
	v_dot4c_i32_i8_e32 v133, v132, v15
	v_and_b32_e32 v132, 0xf0f0f0f, v90
	;; [unrolled: 2-line block ×4, first 2 shown]
	v_mov_b32_e32 v132, 0
	s_waitcnt lgkmcnt(1)
	v_dot4c_i32_i8_e32 v132, v82, v10
	v_lshrrev_b32_e32 v82, 4, v83
	v_and_b32_e32 v82, 0xf0f0f0f, v82
	v_dot4c_i32_i8_e32 v132, v82, v11
	v_lshrrev_b32_e32 v82, 4, v86
	v_and_b32_e32 v82, 0xf0f0f0f, v82
	;; [unrolled: 3-line block ×4, first 2 shown]
	s_waitcnt lgkmcnt(0)
	v_dot4c_i32_i8_e32 v132, v82, v6
	v_lshrrev_b32_e32 v82, 4, v89
	v_and_b32_e32 v82, 0xf0f0f0f, v82
	v_dot4c_i32_i8_e32 v132, v82, v7
	v_lshrrev_b32_e32 v82, 4, v90
	v_cvt_f32_f16_e32 v87, v4
	v_cvt_f32_f16_sdwa v83, v4 dst_sel:DWORD dst_unused:UNUSED_PAD src0_sel:WORD_1
	v_and_b32_e32 v4, 0xff, v84
	v_bfe_u32 v88, v84, 16, 8
	v_and_b32_e32 v82, 0xf0f0f0f, v82
	v_mul_lo_u32 v4, v128, v4
	v_mul_lo_u32 v88, v133, v88
	v_dot4c_i32_i8_e32 v132, v82, v8
	v_lshrrev_b32_e32 v82, 4, v91
	v_cvt_f32_f16_e32 v86, v2
	v_cvt_f32_i32_e32 v91, v88
	v_cvt_f32_i32_e32 v90, v4
	v_and_b32_e32 v82, 0xf0f0f0f, v82
	v_lshrrev_b32_e32 v140, 24, v84
	v_dot4c_i32_i8_e32 v132, v82, v9
	v_bfe_u32 v84, v84, 8, 8
	v_pk_fma_f32 v[90:91], v[86:87], v[90:91], 0 op_sel_hi:[1,1,0]
	v_mul_lo_u32 v84, v141, v84
	v_mul_lo_u32 v86, v132, v140
	v_cvt_f32_f16_sdwa v82, v2 dst_sel:DWORD dst_unused:UNUSED_PAD src0_sel:WORD_1
	v_cvt_f32_f16_e32 v89, v5
	v_cvt_f32_f16_e32 v88, v3
	v_cvt_f32_i32_e32 v133, v86
	v_cvt_f32_i32_e32 v132, v84
	v_and_b32_e32 v148, 0xff, v76
	v_cvt_f32_f16_sdwa v5, v5 dst_sel:DWORD dst_unused:UNUSED_PAD src0_sel:WORD_1
	v_cvt_f32_f16_sdwa v4, v3 dst_sel:DWORD dst_unused:UNUSED_PAD src0_sel:WORD_1
	v_mul_lo_u32 v147, v147, v148
	v_cvt_f32_i32_e32 v147, v147
	v_cvt_f32_ubyte2_e32 v135, v85
	v_cvt_f32_ubyte0_e32 v134, v85
	v_pk_fma_f32 v[134:135], v[82:83], v[134:135], 0 op_sel_hi:[1,1,0]
	v_pk_fma_f32 v[90:91], v[88:89], v[132:133], v[90:91]
	v_cvt_f32_ubyte3_e32 v133, v85
	v_cvt_f32_ubyte1_e32 v132, v85
	v_cvt_f32_ubyte0_e32 v148, v77
	v_pk_fma_f32 v[84:85], v[4:5], v[132:133], v[134:135]
	v_cvt_f32_ubyte0_e32 v144, v81
	v_cvt_f32_ubyte1_e32 v150, v77
	v_cvt_f32_ubyte0_e32 v153, v79
	v_pk_mul_f32 v[84:85], v[84:85], v[40:41] op_sel_hi:[1,0]
	v_fma_mix_f32 v82, v2, v148, 0 op_sel:[1,0,0] op_sel_hi:[1,0,0]
	v_cvt_f32_ubyte1_e32 v139, v79
	v_pk_fma_f32 v[84:85], v[90:91], v[22:23], v[84:85] op_sel_hi:[1,0,1] neg_lo:[0,0,1] neg_hi:[0,0,1]
	v_fma_mix_f32 v4, v2, v143, 0 op_sel_hi:[1,0,0]
	v_fma_mix_f32 v22, v2, v144, 0 op_sel:[1,0,0] op_sel_hi:[1,0,0]
	v_fma_mix_f32 v40, v2, v147, 0 op_sel_hi:[1,0,0]
	v_fma_mix_f32 v128, v3, v150, v82 op_sel:[1,0,0] op_sel_hi:[1,0,0]
	;; [unrolled: 2-line block ×4, first 2 shown]
	v_and_b32_e32 v2, 0xf0f0f0f, v136
	v_mov_b32_e32 v82, 0
	v_dot4c_i32_i8_e32 v82, v2, v18
	v_and_b32_e32 v2, 0xf0f0f0f, v137
	v_cvt_f32_ubyte1_e32 v146, v81
	v_dot4c_i32_i8_e32 v82, v2, v19
	v_add_u32_e32 v2, 0x10e8, v119
	v_fma_mix_f32 v4, v3, v145, v4 op_sel_hi:[1,0,0]
	v_fma_mix_f32 v22, v3, v146, v22 op_sel:[1,0,0] op_sel_hi:[1,0,0]
	v_fma_mix_f32 v40, v3, v149, v40 op_sel_hi:[1,0,0]
	ds_read2_b32 v[2:3], v2 offset1:1
	v_add_u32_e32 v86, 0x10f0, v119
	v_add_u32_e32 v134, 0x2160, v119
	;; [unrolled: 1-line block ×3, first 2 shown]
	ds_read2_b32 v[90:91], v86 offset1:1
	ds_read2_b32 v[132:133], v88 offset1:1
	;; [unrolled: 1-line block ×3, first 2 shown]
	s_waitcnt lgkmcnt(3)
	v_and_b32_e32 v86, 0xf0f0f0f, v2
	v_dot4c_i32_i8_e32 v82, v86, v20
	v_and_b32_e32 v86, 0xf0f0f0f, v3
	v_dot4c_i32_i8_e32 v82, v86, v21
	s_waitcnt lgkmcnt(2)
	v_and_b32_e32 v86, 0xf0f0f0f, v90
	v_dot4c_i32_i8_e32 v82, v86, v14
	v_and_b32_e32 v86, 0xf0f0f0f, v91
	v_dot4c_i32_i8_e32 v82, v86, v15
	s_waitcnt lgkmcnt(1)
	v_and_b32_e32 v86, 0xf0f0f0f, v132
	v_dot4c_i32_i8_e32 v82, v86, v16
	v_and_b32_e32 v86, 0xf0f0f0f, v133
	v_lshrrev_b32_e32 v142, 24, v80
	v_dot4c_i32_i8_e32 v82, v86, v17
	v_bfe_u32 v80, v80, 16, 8
	v_lshrrev_b32_e32 v2, 4, v2
	v_and_b32_e32 v2, 0xf0f0f0f, v2
	v_mul_lo_u32 v80, v82, v80
	v_cvt_f32_i32_e32 v138, v80
	v_lshrrev_b32_e32 v80, 4, v136
	v_and_b32_e32 v80, 0xf0f0f0f, v80
	v_mov_b32_e32 v82, 0
	v_dot4c_i32_i8_e32 v82, v80, v10
	v_lshrrev_b32_e32 v80, 4, v137
	v_and_b32_e32 v80, 0xf0f0f0f, v80
	v_dot4c_i32_i8_e32 v82, v80, v11
	v_dot4c_i32_i8_e32 v82, v2, v12
	v_lshrrev_b32_e32 v2, 4, v3
	v_and_b32_e32 v2, 0xf0f0f0f, v2
	v_dot4c_i32_i8_e32 v82, v2, v13
	v_lshrrev_b32_e32 v2, 4, v90
	v_and_b32_e32 v2, 0xf0f0f0f, v2
	;; [unrolled: 3-line block ×5, first 2 shown]
	v_dot4c_i32_i8_e32 v82, v2, v9
	v_cvt_f32_f16_sdwa v3, v131 dst_sel:DWORD dst_unused:UNUSED_PAD src0_sel:WORD_1
	v_cvt_f32_ubyte2_e32 v139, v81
	v_cvt_f32_ubyte3_e32 v81, v81
	v_mul_lo_u32 v2, v82, v142
	v_cvt_f32_i32_e32 v80, v2
	v_cvt_f32_f16_e32 v2, v131
	v_mul_f32_e32 v22, v22, v3
	v_mov_b32_e32 v82, v87
	v_fma_mix_f32 v91, v4, v131, -v22 op_sel_hi:[0,1,0]
	v_pk_fma_f32 v[86:87], v[82:83], v[138:139], 0 op_sel_hi:[1,1,0]
	v_mov_b32_e32 v4, v89
	v_pk_fma_f32 v[80:81], v[4:5], v[80:81], v[86:87]
	v_mov_b32_e32 v90, v84
	v_pk_mul_f32 v[86:87], v[80:81], v[2:3]
	v_pk_add_f32 v[60:61], v[60:61], v[90:91]
	v_mov_b32_e32 v87, v86
	v_pk_fma_f32 v[2:3], v[80:81], v[2:3], v[86:87] neg_lo:[1,0,0] neg_hi:[1,0,0]
	v_mov_b32_e32 v22, 0
	v_mov_b32_e32 v2, v85
	v_pk_add_f32 v[60:61], v[60:61], v[2:3]
	s_waitcnt lgkmcnt(0)
	v_and_b32_e32 v2, 0xf0f0f0f, v134
	v_dot4c_i32_i8_e32 v22, v2, v18
	v_and_b32_e32 v2, 0xf0f0f0f, v135
	v_dot4c_i32_i8_e32 v22, v2, v19
	v_add_u32_e32 v2, 0x2168, v119
	ds_read2_b32 v[2:3], v2 offset1:1
	v_add_u32_e32 v80, 0x2170, v119
	v_add_u32_e32 v84, 0x2178, v119
	;; [unrolled: 1-line block ×3, first 2 shown]
	ds_read2_b32 v[80:81], v80 offset1:1
	ds_read2_b32 v[84:85], v84 offset1:1
	ds_read2_b32 v[86:87], v86 offset1:1
	s_waitcnt lgkmcnt(3)
	v_and_b32_e32 v88, 0xf0f0f0f, v2
	v_dot4c_i32_i8_e32 v22, v88, v20
	v_and_b32_e32 v88, 0xf0f0f0f, v3
	v_dot4c_i32_i8_e32 v22, v88, v21
	s_waitcnt lgkmcnt(2)
	v_and_b32_e32 v88, 0xf0f0f0f, v80
	v_dot4c_i32_i8_e32 v22, v88, v14
	v_and_b32_e32 v88, 0xf0f0f0f, v81
	v_dot4c_i32_i8_e32 v22, v88, v15
	s_waitcnt lgkmcnt(1)
	v_and_b32_e32 v88, 0xf0f0f0f, v84
	v_dot4c_i32_i8_e32 v22, v88, v16
	v_and_b32_e32 v88, 0xf0f0f0f, v85
	v_lshrrev_b32_e32 v130, 24, v76
	v_dot4c_i32_i8_e32 v22, v88, v17
	v_bfe_u32 v76, v76, 16, 8
	v_lshrrev_b32_e32 v2, 4, v2
	v_and_b32_e32 v2, 0xf0f0f0f, v2
	v_mul_lo_u32 v22, v22, v76
	v_cvt_f32_i32_e32 v88, v22
	v_lshrrev_b32_e32 v22, 4, v134
	v_and_b32_e32 v22, 0xf0f0f0f, v22
	v_mov_b32_e32 v76, 0
	v_dot4c_i32_i8_e32 v76, v22, v10
	v_lshrrev_b32_e32 v22, 4, v135
	v_and_b32_e32 v22, 0xf0f0f0f, v22
	v_dot4c_i32_i8_e32 v76, v22, v11
	v_dot4c_i32_i8_e32 v76, v2, v12
	v_lshrrev_b32_e32 v2, 4, v3
	v_and_b32_e32 v2, 0xf0f0f0f, v2
	v_dot4c_i32_i8_e32 v76, v2, v13
	v_lshrrev_b32_e32 v2, 4, v80
	v_and_b32_e32 v2, 0xf0f0f0f, v2
	;; [unrolled: 3-line block ×5, first 2 shown]
	v_cvt_f32_f16_sdwa v3, v129 dst_sel:DWORD dst_unused:UNUSED_PAD src0_sel:WORD_1
	v_dot4c_i32_i8_e32 v76, v2, v9
	v_cvt_f32_ubyte2_e32 v89, v77
	v_cvt_f32_ubyte3_e32 v77, v77
	v_mul_f32_e32 v22, v128, v3
	v_mul_lo_u32 v2, v76, v130
	v_cvt_f32_i32_e32 v76, v2
	v_cvt_f32_f16_e32 v2, v129
	v_fma_mix_f32 v22, v40, v129, -v22 op_sel_hi:[0,1,0]
	v_add_f32_e32 v40, v23, v22
	v_pk_fma_f32 v[22:23], v[82:83], v[88:89], 0 op_sel_hi:[1,1,0]
	v_lshrrev_b32_e32 v152, 24, v78
	v_pk_fma_f32 v[22:23], v[4:5], v[76:77], v[22:23]
	s_nop 0
	v_pk_mul_f32 v[2:3], v[22:23], v[2:3]
	v_mov_b32_e32 v22, 0
	v_sub_f32_e32 v2, v2, v3
	v_add_f32_e32 v23, v40, v2
	s_waitcnt lgkmcnt(0)
	v_and_b32_e32 v2, 0xf0f0f0f, v86
	v_dot4c_i32_i8_e32 v22, v2, v18
	v_and_b32_e32 v2, 0xf0f0f0f, v87
	v_dot4c_i32_i8_e32 v22, v2, v19
	v_add_u32_e32 v2, 0x31e8, v119
	ds_read2_b32 v[2:3], v2 offset1:1
	v_add_u32_e32 v18, 0x31f0, v119
	v_add_u32_e32 v40, 0x31f8, v119
	ds_read2_b32 v[18:19], v18 offset1:1
	ds_read2_b32 v[76:77], v40 offset1:1
	s_waitcnt lgkmcnt(0)
	v_and_b32_e32 v40, 0xf0f0f0f, v2
	v_dot4c_i32_i8_e32 v22, v40, v20
	v_and_b32_e32 v20, 0xf0f0f0f, v3
	v_dot4c_i32_i8_e32 v22, v20, v21
	v_and_b32_e32 v20, 0xf0f0f0f, v18
	v_dot4c_i32_i8_e32 v22, v20, v14
	v_and_b32_e32 v14, 0xf0f0f0f, v19
	v_dot4c_i32_i8_e32 v22, v14, v15
	v_and_b32_e32 v14, 0xf0f0f0f, v76
	v_dot4c_i32_i8_e32 v22, v14, v16
	v_and_b32_e32 v14, 0xf0f0f0f, v77
	v_lshrrev_b32_e32 v16, 4, v86
	v_dot4c_i32_i8_e32 v22, v14, v17
	v_and_b32_e32 v16, 0xf0f0f0f, v16
	v_mov_b32_e32 v17, 0
	v_dot4c_i32_i8_e32 v17, v16, v10
	v_lshrrev_b32_e32 v10, 4, v87
	v_and_b32_e32 v10, 0xf0f0f0f, v10
	v_lshrrev_b32_e32 v2, 4, v2
	v_dot4c_i32_i8_e32 v17, v10, v11
	v_and_b32_e32 v2, 0xf0f0f0f, v2
	v_dot4c_i32_i8_e32 v17, v2, v12
	v_lshrrev_b32_e32 v2, 4, v3
	v_and_b32_e32 v2, 0xf0f0f0f, v2
	v_dot4c_i32_i8_e32 v17, v2, v13
	v_lshrrev_b32_e32 v2, 4, v18
	;; [unrolled: 3-line block ×5, first 2 shown]
	v_bfe_u32 v14, v78, 16, 8
	v_and_b32_e32 v2, 0xf0f0f0f, v2
	v_cvt_f32_f16_sdwa v3, v25 dst_sel:DWORD dst_unused:UNUSED_PAD src0_sel:WORD_1
	v_mul_lo_u32 v14, v22, v14
	v_dot4c_i32_i8_e32 v17, v2, v9
	v_cvt_f32_i32_e32 v14, v14
	v_mul_f32_e32 v8, v141, v3
	v_cvt_f32_ubyte2_e32 v15, v79
	v_mul_lo_u32 v2, v17, v152
	v_cvt_f32_i32_e32 v6, v2
	v_cvt_f32_f16_e32 v2, v25
	v_fma_mix_f32 v8, v140, v25, -v8 op_sel_hi:[0,1,0]
	v_cvt_f32_ubyte3_e32 v7, v79
	v_add_f32_e32 v10, v41, v8
	v_pk_fma_f32 v[8:9], v[82:83], v[14:15], 0 op_sel_hi:[1,1,0]
	s_barrier
	v_pk_fma_f32 v[4:5], v[4:5], v[6:7], v[8:9]
	s_nop 0
	v_pk_mul_f32 v[2:3], v[4:5], v[2:3]
	s_nop 0
	v_sub_f32_e32 v2, v2, v3
	v_add_f32_e32 v41, v10, v2
.LBB231_5:                              ;   in Loop: Header=BB231_6 Depth=1
	s_add_i32 s25, s25, -1
	s_addk_i32 s14, 0x100
	v_add_u32_e32 v24, 8, v24
	v_add_u32_e32 v121, 8, v121
	;; [unrolled: 1-line block ×3, first 2 shown]
	v_lshl_add_u64 v[30:31], v[30:31], 0, s[18:19]
	v_lshl_add_u64 v[32:33], v[32:33], 0, s[18:19]
	;; [unrolled: 1-line block ×20, first 2 shown]
	s_cmp_eq_u32 s25, 0
	v_lshl_add_u64 v[74:75], v[74:75], 0, s[18:19]
	s_cbranch_scc1 .LBB231_19
.LBB231_6:                              ; =>This Inner Loop Header: Depth=1
	v_lshl_add_u64 v[2:3], v[30:31], 0, s[16:17]
	global_load_dword v4, v[2:3], off
	v_lshl_add_u64 v[2:3], v[32:33], 0, s[16:17]
	global_load_dword v5, v[2:3], off
	;; [unrolled: 2-line block ×21, first 2 shown]
	s_add_i32 s2, s14, 0xffffff80
	s_cmp_lt_i32 s2, s15
	s_waitcnt vmcnt(20)
	ds_write_b32 v92, v4
	s_waitcnt vmcnt(19)
	ds_write_b32 v93, v5
	;; [unrolled: 2-line block ×17, first 2 shown]
	s_waitcnt vmcnt(3)
	v_ashrrev_i32_e32 v3, v109, v21
	v_and_b32_e32 v3, 0xf0f0f0f, v3
	s_waitcnt vmcnt(2)
	v_ashrrev_i32_e32 v4, v110, v22
	v_and_or_b32 v3, v4, s22, v3
	s_waitcnt vmcnt(1)
	v_ashrrev_i32_e32 v5, v109, v25
	v_and_b32_e32 v5, 0xf0f0f0f, v5
	s_waitcnt vmcnt(0)
	v_ashrrev_i32_e32 v2, v110, v2
	v_and_or_b32 v2, v2, s22, v5
	ds_write_b32 v111, v3
	ds_write_b32 v112, v2
	s_cbranch_scc0 .LBB231_5
; %bb.7:                                ;   in Loop: Header=BB231_6 Depth=1
	v_cmp_gt_i32_e64 s[2:3], s5, v115
	s_and_b64 s[8:9], s[0:1], s[2:3]
	s_and_saveexec_b64 s[2:3], s[8:9]
	s_cbranch_execz .LBB231_9
; %bb.8:                                ;   in Loop: Header=BB231_6 Depth=1
	v_add_u32_e32 v2, v28, v115
	v_mad_i64_i32 v[2:3], s[8:9], v2, 36, v[26:27]
	global_load_dword v2, v[2:3], off offset:4
	s_waitcnt vmcnt(0)
	ds_write_b32 v113, v2
.LBB231_9:                              ;   in Loop: Header=BB231_6 Depth=1
	s_or_b64 exec, exec, s[2:3]
	s_and_saveexec_b64 s[8:9], vcc
	s_cbranch_execz .LBB231_12
; %bb.10:                               ;   in Loop: Header=BB231_6 Depth=1
	v_cmp_gt_i32_e64 s[2:3], s5, v24
	s_and_b64 s[2:3], s[0:1], s[2:3]
	s_and_b64 exec, exec, s[2:3]
	s_cbranch_execz .LBB231_12
; %bb.11:                               ;   in Loop: Header=BB231_6 Depth=1
	v_add_u32_e32 v2, v28, v24
	v_mad_i64_i32 v[2:3], s[2:3], v2, 36, s[10:11]
	global_load_dword v2, v[2:3], off
	s_waitcnt vmcnt(0)
	ds_write_b32 v114, v2
.LBB231_12:                             ;   in Loop: Header=BB231_6 Depth=1
	s_or_b64 exec, exec, s[8:9]
	s_waitcnt lgkmcnt(0)
	s_barrier
	ds_read_b128 v[2:5], v117 offset:20560
	ds_read2_b32 v[76:77], v119 offset1:1
	ds_read_b128 v[18:21], v116
	ds_read_b128 v[14:17], v116 offset:16
	ds_read_b128 v[10:13], v116 offset:32
	;; [unrolled: 1-line block ×3, first 2 shown]
	ds_read_b32 v25, v120
	ds_read2_b32 v[78:79], v119 offset0:2 offset1:3
	s_waitcnt lgkmcnt(6)
	v_and_b32_e32 v22, 0xf0f0f0f, v76
	v_mov_b32_e32 v128, 0
	s_waitcnt lgkmcnt(5)
	v_dot4c_i32_i8_e32 v128, v22, v18
	v_and_b32_e32 v22, 0xf0f0f0f, v77
	ds_read2_b32 v[80:81], v119 offset0:4 offset1:5
	ds_read2_b32 v[86:87], v119 offset0:6 offset1:7
	;; [unrolled: 1-line block ×3, first 2 shown]
	v_dot4c_i32_i8_e32 v128, v22, v19
	s_waitcnt lgkmcnt(3)
	v_and_b32_e32 v22, 0xf0f0f0f, v78
	v_dot4c_i32_i8_e32 v128, v22, v20
	v_and_b32_e32 v22, 0xf0f0f0f, v79
	v_dot4c_i32_i8_e32 v128, v22, v21
	s_waitcnt lgkmcnt(2)
	v_and_b32_e32 v22, 0xf0f0f0f, v80
	v_dot4c_i32_i8_e32 v128, v22, v14
	v_and_b32_e32 v22, 0xf0f0f0f, v81
	;; [unrolled: 5-line block ×3, first 2 shown]
	v_dot4c_i32_i8_e32 v128, v22, v17
	v_lshrrev_b32_e32 v22, 4, v76
	v_and_b32_e32 v22, 0xf0f0f0f, v22
	v_mov_b32_e32 v141, 0
	v_dot4c_i32_i8_e32 v141, v22, v10
	v_lshrrev_b32_e32 v22, 4, v77
	v_and_b32_e32 v22, 0xf0f0f0f, v22
	v_dot4c_i32_i8_e32 v141, v22, v11
	v_lshrrev_b32_e32 v22, 4, v78
	v_and_b32_e32 v22, 0xf0f0f0f, v22
	v_dot4c_i32_i8_e32 v141, v22, v12
	v_lshrrev_b32_e32 v22, 4, v79
	v_and_b32_e32 v22, 0xf0f0f0f, v22
	v_dot4c_i32_i8_e32 v141, v22, v13
	v_lshrrev_b32_e32 v22, 4, v80
	v_and_b32_e32 v22, 0xf0f0f0f, v22
	v_dot4c_i32_i8_e32 v141, v22, v6
	v_lshrrev_b32_e32 v22, 4, v81
	v_and_b32_e32 v22, 0xf0f0f0f, v22
	v_dot4c_i32_i8_e32 v141, v22, v7
	v_lshrrev_b32_e32 v22, 4, v86
	v_and_b32_e32 v22, 0xf0f0f0f, v22
	v_add_u32_e32 v40, 0x1080, v119
	ds_read2_b32 v[84:85], v118 offset1:2
	v_dot4c_i32_i8_e32 v141, v22, v8
	v_lshrrev_b32_e32 v22, 4, v87
	ds_read2_b32 v[86:87], v119 offset0:10 offset1:11
	ds_read2_b32 v[88:89], v119 offset0:12 offset1:13
	ds_read2_b32 v[90:91], v119 offset0:14 offset1:15
	ds_read2_b32 v[76:77], v40 offset1:1
	v_mov_b32_e32 v130, 0
	v_and_b32_e32 v22, 0xf0f0f0f, v22
	v_dot4c_i32_i8_e32 v141, v22, v9
	v_cvt_f32_f16_e32 v22, v25
	s_waitcnt lgkmcnt(0)
	v_and_b32_e32 v78, 0xf0f0f0f, v76
	v_dot4c_i32_i8_e32 v130, v78, v18
	v_and_b32_e32 v78, 0xf0f0f0f, v77
	v_dot4c_i32_i8_e32 v130, v78, v19
	v_add_u32_e32 v78, 0x1088, v119
	v_cvt_f32_f16_sdwa v40, v25 dst_sel:DWORD dst_unused:UNUSED_PAD src0_sel:WORD_1
	ds_read_b32 v131, v123 offset:128
	ds_read_b32 v129, v125 offset:256
	;; [unrolled: 1-line block ×3, first 2 shown]
	ds_read2_b32 v[78:79], v78 offset1:1
	v_add_u32_e32 v80, 0x1090, v119
	v_add_u32_e32 v136, 0x2100, v119
	;; [unrolled: 1-line block ×3, first 2 shown]
	ds_read2_b32 v[132:133], v80 offset1:1
	ds_read2_b32 v[134:135], v81 offset1:1
	;; [unrolled: 1-line block ×3, first 2 shown]
	s_waitcnt lgkmcnt(3)
	v_and_b32_e32 v80, 0xf0f0f0f, v78
	v_dot4c_i32_i8_e32 v130, v80, v20
	v_and_b32_e32 v80, 0xf0f0f0f, v79
	v_dot4c_i32_i8_e32 v130, v80, v21
	s_waitcnt lgkmcnt(2)
	v_and_b32_e32 v80, 0xf0f0f0f, v132
	v_dot4c_i32_i8_e32 v130, v80, v14
	v_and_b32_e32 v80, 0xf0f0f0f, v133
	v_dot4c_i32_i8_e32 v130, v80, v15
	ds_read2_b32 v[80:81], v122 offset1:2
	s_waitcnt lgkmcnt(2)
	v_and_b32_e32 v138, 0xf0f0f0f, v134
	v_dot4c_i32_i8_e32 v130, v138, v16
	v_and_b32_e32 v138, 0xf0f0f0f, v135
	v_dot4c_i32_i8_e32 v130, v138, v17
	s_waitcnt lgkmcnt(0)
	v_and_b32_e32 v138, 0xff, v80
	v_lshrrev_b32_e32 v76, 4, v76
	v_and_b32_e32 v76, 0xf0f0f0f, v76
	v_mul_lo_u32 v130, v130, v138
	v_cvt_f32_i32_e32 v143, v130
	v_mov_b32_e32 v130, 0
	v_dot4c_i32_i8_e32 v130, v76, v10
	v_lshrrev_b32_e32 v76, 4, v77
	v_and_b32_e32 v76, 0xf0f0f0f, v76
	v_dot4c_i32_i8_e32 v130, v76, v11
	v_lshrrev_b32_e32 v76, 4, v78
	v_and_b32_e32 v76, 0xf0f0f0f, v76
	;; [unrolled: 3-line block ×7, first 2 shown]
	v_dot4c_i32_i8_e32 v130, v76, v9
	v_bfe_u32 v76, v80, 8, 8
	v_mov_b32_e32 v147, 0
	v_mov_b32_e32 v149, 0
	v_mul_lo_u32 v76, v130, v76
	v_cvt_f32_i32_e32 v145, v76
	v_and_b32_e32 v76, 0xf0f0f0f, v136
	v_dot4c_i32_i8_e32 v147, v76, v18
	v_and_b32_e32 v76, 0xf0f0f0f, v137
	v_dot4c_i32_i8_e32 v147, v76, v19
	v_add_u32_e32 v76, 0x2108, v119
	ds_read2_b32 v[78:79], v76 offset1:1
	v_lshrrev_b32_e32 v136, 4, v136
	v_and_b32_e32 v136, 0xf0f0f0f, v136
	v_add_u32_e32 v77, 0x2110, v119
	v_add_u32_e32 v76, 0x3180, v119
	v_dot4c_i32_i8_e32 v149, v136, v10
	v_lshrrev_b32_e32 v136, 4, v137
	v_add_u32_e32 v130, 0x2118, v119
	ds_read2_b32 v[132:133], v77 offset1:1
	ds_read2_b32 v[134:135], v130 offset1:1
	;; [unrolled: 1-line block ×3, first 2 shown]
	s_waitcnt lgkmcnt(3)
	v_and_b32_e32 v76, 0xf0f0f0f, v78
	v_and_b32_e32 v136, 0xf0f0f0f, v136
	v_lshrrev_b32_e32 v78, 4, v78
	v_dot4c_i32_i8_e32 v149, v136, v11
	v_and_b32_e32 v78, 0xf0f0f0f, v78
	v_dot4c_i32_i8_e32 v149, v78, v12
	v_lshrrev_b32_e32 v78, 4, v79
	v_and_b32_e32 v78, 0xf0f0f0f, v78
	v_dot4c_i32_i8_e32 v147, v76, v20
	v_and_b32_e32 v76, 0xf0f0f0f, v79
	v_dot4c_i32_i8_e32 v149, v78, v13
	s_waitcnt lgkmcnt(2)
	v_lshrrev_b32_e32 v78, 4, v132
	v_dot4c_i32_i8_e32 v147, v76, v21
	v_and_b32_e32 v76, 0xf0f0f0f, v132
	v_and_b32_e32 v78, 0xf0f0f0f, v78
	v_dot4c_i32_i8_e32 v147, v76, v14
	v_and_b32_e32 v76, 0xf0f0f0f, v133
	v_dot4c_i32_i8_e32 v149, v78, v6
	v_lshrrev_b32_e32 v78, 4, v133
	v_dot4c_i32_i8_e32 v147, v76, v15
	ds_read2_b32 v[76:77], v124 offset1:2
	v_and_b32_e32 v78, 0xf0f0f0f, v78
	v_dot4c_i32_i8_e32 v149, v78, v7
	s_waitcnt lgkmcnt(2)
	v_lshrrev_b32_e32 v78, 4, v134
	v_and_b32_e32 v78, 0xf0f0f0f, v78
	v_dot4c_i32_i8_e32 v149, v78, v8
	v_lshrrev_b32_e32 v78, 4, v135
	v_and_b32_e32 v78, 0xf0f0f0f, v78
	v_dot4c_i32_i8_e32 v149, v78, v9
	s_waitcnt lgkmcnt(0)
	v_bfe_u32 v78, v76, 8, 8
	v_mov_b32_e32 v151, 0
	v_and_b32_e32 v130, 0xf0f0f0f, v134
	v_mul_lo_u32 v78, v149, v78
	v_cvt_f32_i32_e32 v149, v78
	v_and_b32_e32 v78, 0xf0f0f0f, v138
	v_dot4c_i32_i8_e32 v151, v78, v18
	v_and_b32_e32 v18, 0xf0f0f0f, v139
	v_dot4c_i32_i8_e32 v151, v18, v19
	v_add_u32_e32 v18, 0x3188, v119
	ds_read2_b32 v[18:19], v18 offset1:1
	v_add_u32_e32 v78, 0x3190, v119
	v_add_u32_e32 v136, 0x10a0, v119
	v_dot4c_i32_i8_e32 v147, v130, v16
	v_and_b32_e32 v130, 0xf0f0f0f, v135
	v_add_u32_e32 v79, 0x3198, v119
	ds_read2_b32 v[132:133], v78 offset1:1
	ds_read2_b32 v[134:135], v79 offset1:1
	;; [unrolled: 1-line block ×3, first 2 shown]
	s_waitcnt lgkmcnt(3)
	v_and_b32_e32 v78, 0xf0f0f0f, v18
	v_dot4c_i32_i8_e32 v151, v78, v20
	v_and_b32_e32 v20, 0xf0f0f0f, v19
	ds_read2_b32 v[78:79], v126 offset1:2
	v_dot4c_i32_i8_e32 v151, v20, v21
	s_waitcnt lgkmcnt(3)
	v_and_b32_e32 v20, 0xf0f0f0f, v132
	v_dot4c_i32_i8_e32 v151, v20, v14
	v_and_b32_e32 v14, 0xf0f0f0f, v133
	v_dot4c_i32_i8_e32 v151, v14, v15
	s_waitcnt lgkmcnt(2)
	v_and_b32_e32 v14, 0xf0f0f0f, v134
	v_dot4c_i32_i8_e32 v151, v14, v16
	v_and_b32_e32 v14, 0xf0f0f0f, v135
	v_dot4c_i32_i8_e32 v151, v14, v17
	s_waitcnt lgkmcnt(0)
	v_and_b32_e32 v14, 0xff, v78
	v_mov_b32_e32 v15, 0
	v_dot4c_i32_i8_e32 v147, v130, v17
	v_mul_lo_u32 v14, v151, v14
	v_cvt_f32_i32_e32 v151, v14
	v_lshrrev_b32_e32 v14, 4, v138
	v_and_b32_e32 v14, 0xf0f0f0f, v14
	v_dot4c_i32_i8_e32 v15, v14, v10
	v_lshrrev_b32_e32 v10, 4, v139
	v_and_b32_e32 v10, 0xf0f0f0f, v10
	v_dot4c_i32_i8_e32 v15, v10, v11
	;; [unrolled: 3-line block ×8, first 2 shown]
	v_bfe_u32 v6, v78, 8, 8
	v_and_b32_e32 v132, 0xf0f0f0f, v82
	v_mov_b32_e32 v133, 0
	v_mul_lo_u32 v6, v15, v6
	v_cvt_f32_i32_e32 v138, v6
	ds_read_b128 v[18:21], v116 offset:64
	ds_read_b128 v[14:17], v116 offset:80
	ds_read_b128 v[10:13], v116 offset:96
	ds_read_b128 v[6:9], v116 offset:112
	v_lshrrev_b32_e32 v82, 4, v82
	s_waitcnt lgkmcnt(3)
	v_dot4c_i32_i8_e32 v133, v132, v18
	v_and_b32_e32 v132, 0xf0f0f0f, v83
	v_dot4c_i32_i8_e32 v133, v132, v19
	v_and_b32_e32 v132, 0xf0f0f0f, v86
	v_dot4c_i32_i8_e32 v133, v132, v20
	v_and_b32_e32 v132, 0xf0f0f0f, v87
	v_dot4c_i32_i8_e32 v133, v132, v21
	v_and_b32_e32 v132, 0xf0f0f0f, v88
	s_waitcnt lgkmcnt(2)
	v_dot4c_i32_i8_e32 v133, v132, v14
	v_and_b32_e32 v132, 0xf0f0f0f, v89
	v_dot4c_i32_i8_e32 v133, v132, v15
	v_and_b32_e32 v132, 0xf0f0f0f, v90
	;; [unrolled: 2-line block ×4, first 2 shown]
	v_mov_b32_e32 v132, 0
	s_waitcnt lgkmcnt(1)
	v_dot4c_i32_i8_e32 v132, v82, v10
	v_lshrrev_b32_e32 v82, 4, v83
	v_and_b32_e32 v82, 0xf0f0f0f, v82
	v_dot4c_i32_i8_e32 v132, v82, v11
	v_lshrrev_b32_e32 v82, 4, v86
	v_and_b32_e32 v82, 0xf0f0f0f, v82
	;; [unrolled: 3-line block ×4, first 2 shown]
	s_waitcnt lgkmcnt(0)
	v_dot4c_i32_i8_e32 v132, v82, v6
	v_lshrrev_b32_e32 v82, 4, v89
	v_and_b32_e32 v82, 0xf0f0f0f, v82
	v_dot4c_i32_i8_e32 v132, v82, v7
	v_lshrrev_b32_e32 v82, 4, v90
	v_cvt_f32_f16_e32 v87, v4
	v_cvt_f32_f16_sdwa v83, v4 dst_sel:DWORD dst_unused:UNUSED_PAD src0_sel:WORD_1
	v_and_b32_e32 v4, 0xff, v84
	v_bfe_u32 v88, v84, 16, 8
	v_and_b32_e32 v82, 0xf0f0f0f, v82
	v_mul_lo_u32 v4, v128, v4
	v_mul_lo_u32 v88, v133, v88
	v_dot4c_i32_i8_e32 v132, v82, v8
	v_lshrrev_b32_e32 v82, 4, v91
	v_cvt_f32_f16_e32 v86, v2
	v_cvt_f32_i32_e32 v91, v88
	v_cvt_f32_i32_e32 v90, v4
	v_and_b32_e32 v82, 0xf0f0f0f, v82
	v_lshrrev_b32_e32 v140, 24, v84
	v_dot4c_i32_i8_e32 v132, v82, v9
	v_bfe_u32 v84, v84, 8, 8
	v_pk_fma_f32 v[90:91], v[86:87], v[90:91], 0 op_sel_hi:[1,1,0]
	v_mul_lo_u32 v84, v141, v84
	v_mul_lo_u32 v86, v132, v140
	v_cvt_f32_f16_sdwa v82, v2 dst_sel:DWORD dst_unused:UNUSED_PAD src0_sel:WORD_1
	v_cvt_f32_f16_e32 v89, v5
	v_cvt_f32_f16_e32 v88, v3
	v_cvt_f32_i32_e32 v133, v86
	v_cvt_f32_i32_e32 v132, v84
	v_and_b32_e32 v148, 0xff, v76
	v_cvt_f32_f16_sdwa v5, v5 dst_sel:DWORD dst_unused:UNUSED_PAD src0_sel:WORD_1
	v_cvt_f32_f16_sdwa v4, v3 dst_sel:DWORD dst_unused:UNUSED_PAD src0_sel:WORD_1
	v_mul_lo_u32 v147, v147, v148
	v_cvt_f32_i32_e32 v147, v147
	v_cvt_f32_ubyte2_e32 v135, v85
	v_cvt_f32_ubyte0_e32 v134, v85
	v_pk_fma_f32 v[134:135], v[82:83], v[134:135], 0 op_sel_hi:[1,1,0]
	v_pk_fma_f32 v[90:91], v[88:89], v[132:133], v[90:91]
	v_cvt_f32_ubyte3_e32 v133, v85
	v_cvt_f32_ubyte1_e32 v132, v85
	v_cvt_f32_ubyte0_e32 v148, v77
	v_pk_fma_f32 v[84:85], v[4:5], v[132:133], v[134:135]
	v_cvt_f32_ubyte0_e32 v144, v81
	v_cvt_f32_ubyte1_e32 v150, v77
	v_cvt_f32_ubyte0_e32 v153, v79
	v_pk_mul_f32 v[84:85], v[84:85], v[40:41] op_sel_hi:[1,0]
	v_fma_mix_f32 v82, v2, v148, 0 op_sel:[1,0,0] op_sel_hi:[1,0,0]
	v_cvt_f32_ubyte1_e32 v139, v79
	v_pk_fma_f32 v[84:85], v[90:91], v[22:23], v[84:85] op_sel_hi:[1,0,1] neg_lo:[0,0,1] neg_hi:[0,0,1]
	v_fma_mix_f32 v4, v2, v143, 0 op_sel_hi:[1,0,0]
	v_fma_mix_f32 v22, v2, v144, 0 op_sel:[1,0,0] op_sel_hi:[1,0,0]
	v_fma_mix_f32 v40, v2, v147, 0 op_sel_hi:[1,0,0]
	v_fma_mix_f32 v128, v3, v150, v82 op_sel:[1,0,0] op_sel_hi:[1,0,0]
	;; [unrolled: 2-line block ×4, first 2 shown]
	v_and_b32_e32 v2, 0xf0f0f0f, v136
	v_mov_b32_e32 v82, 0
	v_dot4c_i32_i8_e32 v82, v2, v18
	v_and_b32_e32 v2, 0xf0f0f0f, v137
	v_cvt_f32_ubyte1_e32 v146, v81
	v_dot4c_i32_i8_e32 v82, v2, v19
	v_add_u32_e32 v2, 0x10a8, v119
	v_fma_mix_f32 v4, v3, v145, v4 op_sel_hi:[1,0,0]
	v_fma_mix_f32 v22, v3, v146, v22 op_sel:[1,0,0] op_sel_hi:[1,0,0]
	v_fma_mix_f32 v40, v3, v149, v40 op_sel_hi:[1,0,0]
	ds_read2_b32 v[2:3], v2 offset1:1
	v_add_u32_e32 v86, 0x10b0, v119
	v_add_u32_e32 v134, 0x2120, v119
	;; [unrolled: 1-line block ×3, first 2 shown]
	ds_read2_b32 v[90:91], v86 offset1:1
	ds_read2_b32 v[132:133], v88 offset1:1
	;; [unrolled: 1-line block ×3, first 2 shown]
	s_waitcnt lgkmcnt(3)
	v_and_b32_e32 v86, 0xf0f0f0f, v2
	v_dot4c_i32_i8_e32 v82, v86, v20
	v_and_b32_e32 v86, 0xf0f0f0f, v3
	v_dot4c_i32_i8_e32 v82, v86, v21
	s_waitcnt lgkmcnt(2)
	v_and_b32_e32 v86, 0xf0f0f0f, v90
	v_dot4c_i32_i8_e32 v82, v86, v14
	v_and_b32_e32 v86, 0xf0f0f0f, v91
	v_dot4c_i32_i8_e32 v82, v86, v15
	s_waitcnt lgkmcnt(1)
	v_and_b32_e32 v86, 0xf0f0f0f, v132
	v_dot4c_i32_i8_e32 v82, v86, v16
	v_and_b32_e32 v86, 0xf0f0f0f, v133
	v_lshrrev_b32_e32 v142, 24, v80
	v_dot4c_i32_i8_e32 v82, v86, v17
	v_bfe_u32 v80, v80, 16, 8
	v_lshrrev_b32_e32 v2, 4, v2
	v_and_b32_e32 v2, 0xf0f0f0f, v2
	v_mul_lo_u32 v80, v82, v80
	v_cvt_f32_i32_e32 v138, v80
	v_lshrrev_b32_e32 v80, 4, v136
	v_and_b32_e32 v80, 0xf0f0f0f, v80
	v_mov_b32_e32 v82, 0
	v_dot4c_i32_i8_e32 v82, v80, v10
	v_lshrrev_b32_e32 v80, 4, v137
	v_and_b32_e32 v80, 0xf0f0f0f, v80
	v_dot4c_i32_i8_e32 v82, v80, v11
	v_dot4c_i32_i8_e32 v82, v2, v12
	v_lshrrev_b32_e32 v2, 4, v3
	v_and_b32_e32 v2, 0xf0f0f0f, v2
	v_dot4c_i32_i8_e32 v82, v2, v13
	v_lshrrev_b32_e32 v2, 4, v90
	v_and_b32_e32 v2, 0xf0f0f0f, v2
	;; [unrolled: 3-line block ×5, first 2 shown]
	v_dot4c_i32_i8_e32 v82, v2, v9
	v_cvt_f32_f16_sdwa v3, v131 dst_sel:DWORD dst_unused:UNUSED_PAD src0_sel:WORD_1
	v_cvt_f32_ubyte2_e32 v139, v81
	v_cvt_f32_ubyte3_e32 v81, v81
	v_mul_lo_u32 v2, v82, v142
	v_cvt_f32_i32_e32 v80, v2
	v_cvt_f32_f16_e32 v2, v131
	v_mul_f32_e32 v22, v22, v3
	v_mov_b32_e32 v82, v87
	v_fma_mix_f32 v91, v4, v131, -v22 op_sel_hi:[0,1,0]
	v_pk_fma_f32 v[86:87], v[82:83], v[138:139], 0 op_sel_hi:[1,1,0]
	v_mov_b32_e32 v4, v89
	v_pk_fma_f32 v[80:81], v[4:5], v[80:81], v[86:87]
	v_mov_b32_e32 v90, v84
	v_pk_mul_f32 v[86:87], v[80:81], v[2:3]
	v_pk_add_f32 v[60:61], v[60:61], v[90:91]
	v_mov_b32_e32 v87, v86
	v_pk_fma_f32 v[2:3], v[80:81], v[2:3], v[86:87] neg_lo:[1,0,0] neg_hi:[1,0,0]
	v_mov_b32_e32 v22, 0
	v_mov_b32_e32 v2, v85
	v_pk_add_f32 v[60:61], v[60:61], v[2:3]
	s_waitcnt lgkmcnt(0)
	v_and_b32_e32 v2, 0xf0f0f0f, v134
	v_dot4c_i32_i8_e32 v22, v2, v18
	v_and_b32_e32 v2, 0xf0f0f0f, v135
	v_dot4c_i32_i8_e32 v22, v2, v19
	v_add_u32_e32 v2, 0x2128, v119
	ds_read2_b32 v[2:3], v2 offset1:1
	v_add_u32_e32 v80, 0x2130, v119
	v_add_u32_e32 v84, 0x2138, v119
	;; [unrolled: 1-line block ×3, first 2 shown]
	ds_read2_b32 v[80:81], v80 offset1:1
	ds_read2_b32 v[84:85], v84 offset1:1
	;; [unrolled: 1-line block ×3, first 2 shown]
	s_waitcnt lgkmcnt(3)
	v_and_b32_e32 v88, 0xf0f0f0f, v2
	v_dot4c_i32_i8_e32 v22, v88, v20
	v_and_b32_e32 v88, 0xf0f0f0f, v3
	v_dot4c_i32_i8_e32 v22, v88, v21
	s_waitcnt lgkmcnt(2)
	v_and_b32_e32 v88, 0xf0f0f0f, v80
	v_dot4c_i32_i8_e32 v22, v88, v14
	v_and_b32_e32 v88, 0xf0f0f0f, v81
	v_dot4c_i32_i8_e32 v22, v88, v15
	s_waitcnt lgkmcnt(1)
	v_and_b32_e32 v88, 0xf0f0f0f, v84
	v_dot4c_i32_i8_e32 v22, v88, v16
	v_and_b32_e32 v88, 0xf0f0f0f, v85
	v_lshrrev_b32_e32 v130, 24, v76
	v_dot4c_i32_i8_e32 v22, v88, v17
	v_bfe_u32 v76, v76, 16, 8
	v_lshrrev_b32_e32 v2, 4, v2
	v_and_b32_e32 v2, 0xf0f0f0f, v2
	v_mul_lo_u32 v22, v22, v76
	v_cvt_f32_i32_e32 v88, v22
	v_lshrrev_b32_e32 v22, 4, v134
	v_and_b32_e32 v22, 0xf0f0f0f, v22
	v_mov_b32_e32 v76, 0
	v_dot4c_i32_i8_e32 v76, v22, v10
	v_lshrrev_b32_e32 v22, 4, v135
	v_and_b32_e32 v22, 0xf0f0f0f, v22
	v_dot4c_i32_i8_e32 v76, v22, v11
	v_dot4c_i32_i8_e32 v76, v2, v12
	v_lshrrev_b32_e32 v2, 4, v3
	v_and_b32_e32 v2, 0xf0f0f0f, v2
	v_dot4c_i32_i8_e32 v76, v2, v13
	v_lshrrev_b32_e32 v2, 4, v80
	v_and_b32_e32 v2, 0xf0f0f0f, v2
	;; [unrolled: 3-line block ×5, first 2 shown]
	v_cvt_f32_f16_sdwa v3, v129 dst_sel:DWORD dst_unused:UNUSED_PAD src0_sel:WORD_1
	v_dot4c_i32_i8_e32 v76, v2, v9
	v_cvt_f32_ubyte2_e32 v89, v77
	v_cvt_f32_ubyte3_e32 v77, v77
	v_mul_f32_e32 v22, v128, v3
	v_mul_lo_u32 v2, v76, v130
	v_cvt_f32_i32_e32 v76, v2
	v_cvt_f32_f16_e32 v2, v129
	v_fma_mix_f32 v22, v40, v129, -v22 op_sel_hi:[0,1,0]
	v_add_f32_e32 v40, v23, v22
	v_pk_fma_f32 v[22:23], v[82:83], v[88:89], 0 op_sel_hi:[1,1,0]
	v_lshrrev_b32_e32 v152, 24, v78
	v_pk_fma_f32 v[22:23], v[4:5], v[76:77], v[22:23]
	s_cmp_ge_i32 s14, s15
	v_pk_mul_f32 v[2:3], v[22:23], v[2:3]
	v_mov_b32_e32 v22, 0
	v_sub_f32_e32 v2, v2, v3
	v_add_f32_e32 v23, v40, v2
	s_waitcnt lgkmcnt(0)
	v_and_b32_e32 v2, 0xf0f0f0f, v86
	v_dot4c_i32_i8_e32 v22, v2, v18
	v_and_b32_e32 v2, 0xf0f0f0f, v87
	v_dot4c_i32_i8_e32 v22, v2, v19
	v_add_u32_e32 v2, 0x31a8, v119
	ds_read2_b32 v[2:3], v2 offset1:1
	v_add_u32_e32 v18, 0x31b0, v119
	v_add_u32_e32 v40, 0x31b8, v119
	ds_read2_b32 v[18:19], v18 offset1:1
	ds_read2_b32 v[76:77], v40 offset1:1
	s_waitcnt lgkmcnt(0)
	v_and_b32_e32 v40, 0xf0f0f0f, v2
	v_dot4c_i32_i8_e32 v22, v40, v20
	v_and_b32_e32 v20, 0xf0f0f0f, v3
	v_dot4c_i32_i8_e32 v22, v20, v21
	;; [unrolled: 2-line block ×5, first 2 shown]
	v_and_b32_e32 v14, 0xf0f0f0f, v77
	v_lshrrev_b32_e32 v16, 4, v86
	v_dot4c_i32_i8_e32 v22, v14, v17
	v_and_b32_e32 v16, 0xf0f0f0f, v16
	v_mov_b32_e32 v17, 0
	v_dot4c_i32_i8_e32 v17, v16, v10
	v_lshrrev_b32_e32 v10, 4, v87
	v_and_b32_e32 v10, 0xf0f0f0f, v10
	v_lshrrev_b32_e32 v2, 4, v2
	v_dot4c_i32_i8_e32 v17, v10, v11
	v_and_b32_e32 v2, 0xf0f0f0f, v2
	v_dot4c_i32_i8_e32 v17, v2, v12
	v_lshrrev_b32_e32 v2, 4, v3
	v_and_b32_e32 v2, 0xf0f0f0f, v2
	v_dot4c_i32_i8_e32 v17, v2, v13
	v_lshrrev_b32_e32 v2, 4, v18
	;; [unrolled: 3-line block ×5, first 2 shown]
	v_bfe_u32 v14, v78, 16, 8
	v_and_b32_e32 v2, 0xf0f0f0f, v2
	v_cvt_f32_f16_sdwa v3, v25 dst_sel:DWORD dst_unused:UNUSED_PAD src0_sel:WORD_1
	v_mul_lo_u32 v14, v22, v14
	v_dot4c_i32_i8_e32 v17, v2, v9
	v_cvt_f32_i32_e32 v14, v14
	v_mul_f32_e32 v8, v141, v3
	v_cvt_f32_ubyte2_e32 v15, v79
	v_mul_lo_u32 v2, v17, v152
	v_cvt_f32_i32_e32 v6, v2
	v_cvt_f32_f16_e32 v2, v25
	v_fma_mix_f32 v8, v140, v25, -v8 op_sel_hi:[0,1,0]
	v_cvt_f32_ubyte3_e32 v7, v79
	v_add_f32_e32 v10, v41, v8
	v_pk_fma_f32 v[8:9], v[82:83], v[14:15], 0 op_sel_hi:[1,1,0]
	s_barrier
	v_pk_fma_f32 v[4:5], v[4:5], v[6:7], v[8:9]
	s_nop 0
	v_pk_mul_f32 v[2:3], v[4:5], v[2:3]
	s_nop 0
	v_sub_f32_e32 v2, v2, v3
	v_add_f32_e32 v41, v10, v2
	s_cbranch_scc1 .LBB231_5
; %bb.13:                               ;   in Loop: Header=BB231_6 Depth=1
	v_cmp_gt_i32_e64 s[2:3], s5, v121
	s_and_b64 s[8:9], s[0:1], s[2:3]
	s_and_saveexec_b64 s[2:3], s[8:9]
	s_cbranch_execz .LBB231_15
; %bb.14:                               ;   in Loop: Header=BB231_6 Depth=1
	v_add_u32_e32 v2, v28, v121
	v_mad_i64_i32 v[2:3], s[8:9], v2, 36, v[26:27]
	global_load_dword v2, v[2:3], off offset:4
	s_waitcnt vmcnt(0)
	ds_write_b32 v113, v2
.LBB231_15:                             ;   in Loop: Header=BB231_6 Depth=1
	s_or_b64 exec, exec, s[2:3]
	s_and_saveexec_b64 s[8:9], vcc
	s_cbranch_execz .LBB231_4
; %bb.16:                               ;   in Loop: Header=BB231_6 Depth=1
	v_add_u32_e32 v2, 4, v24
	v_cmp_gt_i32_e64 s[2:3], s5, v2
	s_and_b64 s[2:3], s[0:1], s[2:3]
	s_and_b64 exec, exec, s[2:3]
	s_cbranch_execz .LBB231_4
; %bb.17:                               ;   in Loop: Header=BB231_6 Depth=1
	v_ashrrev_i32_e32 v25, 31, v24
	v_lshl_add_u64 v[2:3], v[28:29], 0, v[24:25]
	v_mad_u64_u32 v[4:5], s[2:3], v2, 36, s[20:21]
	v_mad_i32_i24 v5, v3, 36, v5
	global_load_dword v2, v[4:5], off
	s_waitcnt vmcnt(0)
	ds_write_b32 v114, v2
	s_branch .LBB231_4
.LBB231_18:
	v_mov_b32_e32 v23, 0
	v_mov_b32_e32 v61, 0
	;; [unrolled: 1-line block ×3, first 2 shown]
.LBB231_19:
	s_mul_i32 s0, s7, s4
	s_waitcnt vmcnt(0)
	v_cmp_gt_i32_e32 vcc, s0, v1
	s_and_saveexec_b64 s[0:1], vcc
	s_cbranch_execz .LBB231_28
; %bb.20:
	v_and_b32_e32 v0, 0x3ff, v0
	v_add_u32_e32 v2, s24, v0
	v_mul_lo_u32 v0, v1, s6
	v_cmp_gt_u32_e32 vcc, s6, v2
	s_and_saveexec_b64 s[0:1], vcc
	s_cbranch_execz .LBB231_22
; %bb.21:
	v_bfe_u32 v1, v60, 16, 1
	s_movk_i32 s2, 0x7fff
	v_add3_u32 v1, v60, v1, s2
	v_lshrrev_b32_e32 v1, 16, v1
	v_mov_b32_e32 v3, 0x7fc0
	v_cmp_o_f32_e32 vcc, v60, v60
	v_add_u32_e32 v4, v0, v2
	v_mov_b32_e32 v5, 0
	v_cndmask_b32_e32 v1, v3, v1, vcc
	v_lshl_add_u64 v[4:5], v[4:5], 1, s[12:13]
	global_store_short v[4:5], v1, off
.LBB231_22:
	s_or_b64 exec, exec, s[0:1]
	v_add_u32_e32 v1, 32, v2
	v_cmp_gt_u32_e32 vcc, s6, v1
	s_and_saveexec_b64 s[0:1], vcc
	s_cbranch_execz .LBB231_24
; %bb.23:
	v_bfe_u32 v3, v61, 16, 1
	s_movk_i32 s2, 0x7fff
	v_add3_u32 v3, v61, v3, s2
	v_lshrrev_b32_e32 v3, 16, v3
	v_mov_b32_e32 v4, 0x7fc0
	v_cmp_o_f32_e32 vcc, v61, v61
	v_mov_b32_e32 v5, 0
	s_nop 0
	v_cndmask_b32_e32 v3, v4, v3, vcc
	v_add_u32_e32 v4, v0, v1
	v_lshl_add_u64 v[4:5], v[4:5], 1, s[12:13]
	global_store_short v[4:5], v3, off
.LBB231_24:
	s_or_b64 exec, exec, s[0:1]
	v_add_u32_e32 v1, 64, v2
	v_cmp_gt_u32_e32 vcc, s6, v1
	s_and_saveexec_b64 s[0:1], vcc
	s_cbranch_execz .LBB231_26
; %bb.25:
	v_bfe_u32 v3, v23, 16, 1
	s_movk_i32 s2, 0x7fff
	v_add3_u32 v3, v23, v3, s2
	v_lshrrev_b32_e32 v3, 16, v3
	v_mov_b32_e32 v4, 0x7fc0
	v_cmp_o_f32_e32 vcc, v23, v23
	v_mov_b32_e32 v5, 0
	s_nop 0
	v_cndmask_b32_e32 v3, v4, v3, vcc
	v_add_u32_e32 v4, v0, v1
	v_lshl_add_u64 v[4:5], v[4:5], 1, s[12:13]
	global_store_short v[4:5], v3, off
.LBB231_26:
	s_or_b64 exec, exec, s[0:1]
	v_add_u32_e32 v1, 0x60, v2
	v_cmp_gt_u32_e32 vcc, s6, v1
	s_and_b64 exec, exec, vcc
	s_cbranch_execz .LBB231_28
; %bb.27:
	v_bfe_u32 v2, v41, 16, 1
	s_movk_i32 s0, 0x7fff
	v_add3_u32 v2, v41, v2, s0
	v_lshrrev_b32_e32 v2, 16, v2
	v_mov_b32_e32 v3, 0x7fc0
	v_cmp_o_f32_e32 vcc, v41, v41
	v_add_u32_e32 v0, v0, v1
	v_mov_b32_e32 v1, 0
	v_cndmask_b32_e32 v2, v3, v2, vcc
	v_lshl_add_u64 v[0:1], v[0:1], 1, s[12:13]
	global_store_short v[0:1], v2, off
.LBB231_28:
	s_endpgm
	.section	.rodata,"a",@progbits
	.p2align	6, 0x0
	.amdhsa_kernel _ZL8moe_q4_KIN3c108BFloat16ELb0EEvPKvS3_PT_PKiS7_S7_iiiiiii
		.amdhsa_group_segment_fixed_size 20688
		.amdhsa_private_segment_fixed_size 0
		.amdhsa_kernarg_size 76
		.amdhsa_user_sgpr_count 2
		.amdhsa_user_sgpr_dispatch_ptr 0
		.amdhsa_user_sgpr_queue_ptr 0
		.amdhsa_user_sgpr_kernarg_segment_ptr 1
		.amdhsa_user_sgpr_dispatch_id 0
		.amdhsa_user_sgpr_kernarg_preload_length 0
		.amdhsa_user_sgpr_kernarg_preload_offset 0
		.amdhsa_user_sgpr_private_segment_size 0
		.amdhsa_uses_dynamic_stack 0
		.amdhsa_enable_private_segment 0
		.amdhsa_system_sgpr_workgroup_id_x 1
		.amdhsa_system_sgpr_workgroup_id_y 1
		.amdhsa_system_sgpr_workgroup_id_z 0
		.amdhsa_system_sgpr_workgroup_info 0
		.amdhsa_system_vgpr_workitem_id 1
		.amdhsa_next_free_vgpr 154
		.amdhsa_next_free_sgpr 30
		.amdhsa_accum_offset 156
		.amdhsa_reserve_vcc 1
		.amdhsa_float_round_mode_32 0
		.amdhsa_float_round_mode_16_64 0
		.amdhsa_float_denorm_mode_32 3
		.amdhsa_float_denorm_mode_16_64 3
		.amdhsa_dx10_clamp 1
		.amdhsa_ieee_mode 1
		.amdhsa_fp16_overflow 0
		.amdhsa_tg_split 0
		.amdhsa_exception_fp_ieee_invalid_op 0
		.amdhsa_exception_fp_denorm_src 0
		.amdhsa_exception_fp_ieee_div_zero 0
		.amdhsa_exception_fp_ieee_overflow 0
		.amdhsa_exception_fp_ieee_underflow 0
		.amdhsa_exception_fp_ieee_inexact 0
		.amdhsa_exception_int_div_zero 0
	.end_amdhsa_kernel
	.section	.text._ZL8moe_q4_KIN3c108BFloat16ELb0EEvPKvS3_PT_PKiS7_S7_iiiiiii,"axG",@progbits,_ZL8moe_q4_KIN3c108BFloat16ELb0EEvPKvS3_PT_PKiS7_S7_iiiiiii,comdat
.Lfunc_end231:
	.size	_ZL8moe_q4_KIN3c108BFloat16ELb0EEvPKvS3_PT_PKiS7_S7_iiiiiii, .Lfunc_end231-_ZL8moe_q4_KIN3c108BFloat16ELb0EEvPKvS3_PT_PKiS7_S7_iiiiiii
                                        ; -- End function
	.section	.AMDGPU.csdata,"",@progbits
; Kernel info:
; codeLenInByte = 10080
; NumSgprs: 36
; NumVgprs: 154
; NumAgprs: 0
; TotalNumVgprs: 154
; ScratchSize: 0
; MemoryBound: 0
; FloatMode: 240
; IeeeMode: 1
; LDSByteSize: 20688 bytes/workgroup (compile time only)
; SGPRBlocks: 4
; VGPRBlocks: 19
; NumSGPRsForWavesPerEU: 36
; NumVGPRsForWavesPerEU: 154
; AccumOffset: 156
; Occupancy: 3
; WaveLimiterHint : 1
; COMPUTE_PGM_RSRC2:SCRATCH_EN: 0
; COMPUTE_PGM_RSRC2:USER_SGPR: 2
; COMPUTE_PGM_RSRC2:TRAP_HANDLER: 0
; COMPUTE_PGM_RSRC2:TGID_X_EN: 1
; COMPUTE_PGM_RSRC2:TGID_Y_EN: 1
; COMPUTE_PGM_RSRC2:TGID_Z_EN: 0
; COMPUTE_PGM_RSRC2:TIDIG_COMP_CNT: 1
; COMPUTE_PGM_RSRC3_GFX90A:ACCUM_OFFSET: 38
; COMPUTE_PGM_RSRC3_GFX90A:TG_SPLIT: 0
	.section	.text._ZL8moe_q4_KIN3c108BFloat16ELb1EEvPKvS3_PT_PKiS7_S7_iiiiiii,"axG",@progbits,_ZL8moe_q4_KIN3c108BFloat16ELb1EEvPKvS3_PT_PKiS7_S7_iiiiiii,comdat
	.globl	_ZL8moe_q4_KIN3c108BFloat16ELb1EEvPKvS3_PT_PKiS7_S7_iiiiiii ; -- Begin function _ZL8moe_q4_KIN3c108BFloat16ELb1EEvPKvS3_PT_PKiS7_S7_iiiiiii
	.p2align	8
	.type	_ZL8moe_q4_KIN3c108BFloat16ELb1EEvPKvS3_PT_PKiS7_S7_iiiiiii,@function
_ZL8moe_q4_KIN3c108BFloat16ELb1EEvPKvS3_PT_PKiS7_S7_iiiiiii: ; @_ZL8moe_q4_KIN3c108BFloat16ELb1EEvPKvS3_PT_PKiS7_S7_iiiiiii
; %bb.0:
	s_load_dwordx4 s[4:7], s[0:1], 0x18
	s_mov_b32 s8, s3
	s_mov_b32 s9, 0
	s_lshl_b64 s[10:11], s[8:9], 2
	s_waitcnt lgkmcnt(0)
	s_add_u32 s6, s6, s10
	s_addc_u32 s7, s7, s11
	s_load_dword s3, s[6:7], 0x0
	s_waitcnt lgkmcnt(0)
	s_cmpk_gt_u32 s3, 0xff
	s_cbranch_scc1 .LBB232_28
; %bb.1:
	s_load_dwordx2 s[6:7], s[0:1], 0x28
	s_waitcnt lgkmcnt(0)
	s_load_dword s7, s[6:7], 0x0
	s_lshl_b32 s6, s8, 3
	s_waitcnt lgkmcnt(0)
	s_cmp_gt_u32 s6, s7
	s_cbranch_scc1 .LBB232_28
; %bb.2:
	v_bfe_u32 v2, v0, 10, 10
	v_mov_b32_e32 v4, s4
	v_mov_b32_e32 v5, s5
	v_add_u32_e32 v26, s6, v2
	v_mov_b32_e32 v27, 0
	v_lshl_add_u64 v[4:5], v[26:27], 2, v[4:5]
	global_load_dword v1, v[4:5], off
	s_load_dwordx8 s[4:11], s[0:1], 0x30
	s_load_dwordx2 s[16:17], s[0:1], 0x10
	s_waitcnt lgkmcnt(0)
	s_lshl_b32 s11, s2, 7
	s_mov_b32 s24, 0
	s_cmpk_lt_i32 s5, 0x100
	s_cbranch_scc1 .LBB232_18
; %bb.3:
	s_load_dwordx4 s[12:15], s[0:1], 0x0
	s_ashr_i32 s0, s5, 31
	s_lshr_b32 s0, s0, 24
	s_add_i32 s0, s5, s0
	s_ashr_i32 s26, s0, 8
	s_ashr_i32 s0, s8, 31
	s_lshr_b32 s0, s0, 27
	s_add_i32 s0, s8, s0
	s_ashr_i32 s8, s0, 5
	s_not_b32 s0, s11
	s_add_i32 s6, s0, s6
	v_and_b32_e32 v24, 0x3ff, v0
	v_lshrrev_b32_e32 v5, 5, v24
	v_lshlrev_b32_e32 v4, 2, v24
	v_min_i32_e32 v3, s6, v2
	s_movk_i32 s2, 0x84
	v_mul_lo_u32 v8, v3, s26
	v_mad_u64_u32 v[26:27], s[0:1], v3, s2, v[4:5]
	v_add_u32_e32 v3, 8, v2
	v_min_i32_e32 v3, s6, v3
	v_mul_lo_u32 v9, v3, s26
	v_mad_u64_u32 v[28:29], s[0:1], v3, s2, v[4:5]
	v_add_u32_e32 v3, 16, v2
	v_min_i32_e32 v3, s6, v3
	;; [unrolled: 4-line block ×15, first 2 shown]
	v_mul_lo_u32 v27, v3, s26
	v_mad_u64_u32 v[56:57], s[0:1], v3, s2, v[4:5]
	v_lshlrev_b32_e32 v3, 5, v2
	v_add_u32_e32 v37, v3, v24
	v_and_b32_e32 v6, 0x7f, v37
	v_min_i32_e32 v6, s6, v6
	v_ashrrev_i32_e32 v7, 31, v6
	v_lshrrev_b32_e32 v7, 27, v7
	v_add_u32_e32 v7, v6, v7
	v_ashrrev_i32_e32 v7, 5, v7
	v_mul_lo_u32 v88, v6, s26
	v_lshlrev_b32_e32 v7, 2, v7
	v_lshlrev_b32_e32 v6, 2, v6
	s_movk_i32 s0, 0x4e40
	v_add3_u32 v29, v7, v6, s0
	v_lshrrev_b32_e32 v6, 2, v24
	v_lshl_add_u32 v6, v2, 3, v6
	v_and_b32_e32 v6, 0x7f, v6
	v_min_i32_e32 v35, s6, v6
	v_ashrrev_i32_e32 v39, 31, v35
	v_xor_b32_e32 v6, 64, v6
	v_lshrrev_b32_e32 v39, 29, v39
	v_min_i32_e32 v6, s6, v6
	v_mul_lo_u32 v98, v35, s26
	v_add_u32_e32 v39, v35, v39
	v_lshlrev_b32_e32 v107, 4, v35
	v_ashrrev_i32_e32 v35, 31, v6
	v_lshrrev_b32_e32 v35, 29, v35
	v_and_b32_e32 v7, 3, v24
	v_add_u32_e32 v35, v6, v35
	v_add_u32_e32 v31, 0xfe, v7
	v_cmp_gt_u32_e32 vcc, 2, v7
	v_ashrrev_i32_e32 v39, 3, v39
	v_ashrrev_i32_e32 v35, 3, v35
	s_mul_i32 s18, s3, s4
	v_mov_b32_e32 v23, 0
	v_cndmask_b32_e32 v31, v31, v7, vcc
	v_cmp_ne_u32_e32 vcc, 0, v7
	v_cmp_lt_u32_e64 s[2:3], 1, v7
	v_lshlrev_b32_e32 v39, 2, v39
	v_lshlrev_b32_e32 v7, 2, v7
	s_movk_i32 s1, 0x4200
	v_lshlrev_b32_e32 v35, 2, v35
	v_add3_u32 v106, v39, v7, s1
	v_mul_lo_u32 v102, v6, s26
	v_add3_u32 v108, v35, v7, s1
	v_lshlrev_b32_e32 v109, 4, v6
	v_and_b32_e32 v6, 28, v4
	v_mov_b32_e32 v7, v23
	v_and_or_b32 v3, v24, 31, v3
	s_waitcnt lgkmcnt(0)
	v_lshl_add_u64 v[58:59], s[14:15], 0, v[6:7]
	v_mov_b32_e32 v6, 0x4a40
	s_movk_i32 s1, 0xffe4
	v_lshl_add_u32 v35, v3, 2, v6
	v_mad_i32_i24 v3, v2, s1, v37
	v_mov_b32_e32 v7, 0x5050
	v_lshrrev_b32_e32 v39, 3, v24
	v_lshl_add_u32 v37, v3, 2, v7
	v_lshl_add_u32 v41, v2, 7, v6
	v_lshlrev_b32_e32 v43, 4, v2
	v_add_u32_e32 v2, v39, v4
	v_mov_b32_e32 v3, 0x4200
	v_lshl_add_u32 v45, v2, 2, v3
	v_lshlrev_b32_e32 v2, 2, v5
	v_add3_u32 v49, v2, v4, s0
	v_add_u32_e32 v2, 32, v24
	v_lshrrev_b32_e32 v51, 3, v2
	v_lshl_add_u32 v2, v2, 2, v51
	v_lshl_add_u32 v53, v2, 2, v3
	v_and_b32_e32 v2, 60, v51
	v_add3_u32 v55, v4, v2, s0
	v_add_u32_e32 v2, 64, v24
	v_lshrrev_b32_e32 v6, 3, v2
	v_lshl_add_u32 v2, v2, 2, v6
	s_abs_i32 s6, s10
	v_lshl_add_u32 v57, v2, 2, v3
	v_and_b32_e32 v2, 60, v6
	v_cvt_f32_u32_e32 v7, s6
	v_add3_u32 v124, v4, v2, s0
	v_add_u32_e32 v2, 0x60, v24
	v_lshrrev_b32_e32 v6, 3, v2
	v_lshl_add_u32 v2, v2, 2, v6
	v_lshl_add_u32 v125, v2, 2, v3
	v_rcp_iflag_f32_e32 v3, v7
	v_and_b32_e32 v2, 60, v6
	v_add3_u32 v126, v4, v2, s0
	s_sub_i32 s0, 0, s6
	v_mul_f32_e32 v3, 0x4f7ffffe, v3
	v_cvt_u32_f32_e32 v3, v3
	v_and_b32_e32 v22, 0x7c, v4
	v_and_b32_e32 v33, 0xff, v31
	v_and_b32_e32 v31, 4, v4
	v_mul_lo_u32 v6, s0, v3
	s_waitcnt vmcnt(0)
	v_sub_u32_e32 v4, 0, v1
	v_mul_hi_u32 v6, v3, v6
	v_max_i32_e32 v4, v1, v4
	v_add_u32_e32 v3, v3, v6
	v_mul_hi_u32 v3, v4, v3
	v_mul_lo_u32 v6, v3, s6
	v_sub_u32_e32 v4, v4, v6
	v_add_u32_e32 v6, 1, v3
	v_cmp_le_u32_e64 s[0:1], s6, v4
	v_xor_b32_e32 v2, s10, v1
	v_ashrrev_i32_e32 v2, 31, v2
	v_cndmask_b32_e64 v3, v3, v6, s[0:1]
	v_subrev_u32_e32 v6, s6, v4
	v_cndmask_b32_e64 v4, v4, v6, s[0:1]
	v_add_u32_e32 v6, 1, v3
	v_cmp_le_u32_e64 s[0:1], s6, v4
	s_mul_i32 s4, s26, s11
	s_mul_hi_i32 s29, s4, 0x90
	v_cndmask_b32_e64 v3, v3, v6, s[0:1]
	v_xor_b32_e32 v3, v3, v2
	v_sub_u32_e32 v2, v3, v2
	s_mul_i32 s28, s4, 0x90
	v_cmp_gt_i32_e64 s[0:1], s7, v2
	v_mul_lo_u32 v60, v2, s8
	s_movk_i32 s6, 0x90
	v_mov_b64_e32 v[2:3], s[28:29]
	v_mad_u64_u32 v[2:3], s[30:31], v5, s6, v[2:3]
	v_mad_i64_i32 v[4:5], s[30:31], v8, s6, v[2:3]
	v_lshl_add_u64 v[4:5], v[4:5], 0, v[22:23]
	v_lshl_add_u64 v[4:5], v[4:5], 0, s[12:13]
	v_lshl_add_u64 v[62:63], v[4:5], 0, 16
	v_mad_i64_i32 v[4:5], s[30:31], v9, s6, v[2:3]
	v_lshl_add_u64 v[4:5], v[4:5], 0, v[22:23]
	v_lshl_add_u64 v[4:5], v[4:5], 0, s[12:13]
	v_lshl_add_u64 v[64:65], v[4:5], 0, 16
	v_mad_i64_i32 v[4:5], s[30:31], v10, s6, v[2:3]
	v_lshl_add_u64 v[4:5], v[4:5], 0, v[22:23]
	v_lshl_add_u64 v[4:5], v[4:5], 0, s[12:13]
	v_lshl_add_u64 v[66:67], v[4:5], 0, 16
	v_mad_i64_i32 v[4:5], s[30:31], v11, s6, v[2:3]
	v_lshl_add_u64 v[4:5], v[4:5], 0, v[22:23]
	v_lshl_add_u64 v[4:5], v[4:5], 0, s[12:13]
	v_lshl_add_u64 v[68:69], v[4:5], 0, 16
	v_mad_i64_i32 v[4:5], s[30:31], v12, s6, v[2:3]
	v_lshl_add_u64 v[4:5], v[4:5], 0, v[22:23]
	v_lshl_add_u64 v[4:5], v[4:5], 0, s[12:13]
	v_lshl_add_u64 v[70:71], v[4:5], 0, 16
	v_mad_i64_i32 v[4:5], s[30:31], v13, s6, v[2:3]
	v_lshl_add_u64 v[4:5], v[4:5], 0, v[22:23]
	v_lshl_add_u64 v[4:5], v[4:5], 0, s[12:13]
	v_lshl_add_u64 v[72:73], v[4:5], 0, 16
	v_mad_i64_i32 v[4:5], s[30:31], v14, s6, v[2:3]
	v_lshl_add_u64 v[4:5], v[4:5], 0, v[22:23]
	v_lshl_add_u64 v[4:5], v[4:5], 0, s[12:13]
	v_lshl_add_u64 v[74:75], v[4:5], 0, 16
	v_mad_i64_i32 v[4:5], s[30:31], v15, s6, v[2:3]
	v_lshl_add_u64 v[4:5], v[4:5], 0, v[22:23]
	v_lshl_add_u64 v[4:5], v[4:5], 0, s[12:13]
	v_lshl_add_u64 v[76:77], v[4:5], 0, 16
	v_mad_i64_i32 v[4:5], s[30:31], v16, s6, v[2:3]
	v_lshl_add_u64 v[4:5], v[4:5], 0, v[22:23]
	v_lshl_add_u64 v[4:5], v[4:5], 0, s[12:13]
	v_lshl_add_u64 v[78:79], v[4:5], 0, 16
	v_mad_i64_i32 v[4:5], s[30:31], v17, s6, v[2:3]
	v_lshl_add_u64 v[4:5], v[4:5], 0, v[22:23]
	v_lshl_add_u64 v[4:5], v[4:5], 0, s[12:13]
	v_lshl_add_u64 v[80:81], v[4:5], 0, 16
	v_mad_i64_i32 v[4:5], s[30:31], v18, s6, v[2:3]
	v_lshl_add_u64 v[4:5], v[4:5], 0, v[22:23]
	v_lshl_add_u64 v[4:5], v[4:5], 0, s[12:13]
	v_lshl_add_u64 v[82:83], v[4:5], 0, 16
	v_mad_i64_i32 v[4:5], s[30:31], v19, s6, v[2:3]
	v_lshl_add_u64 v[4:5], v[4:5], 0, v[22:23]
	v_lshl_add_u64 v[4:5], v[4:5], 0, s[12:13]
	v_lshl_add_u64 v[84:85], v[4:5], 0, 16
	v_mad_i64_i32 v[4:5], s[30:31], v20, s6, v[2:3]
	v_lshl_add_u64 v[4:5], v[4:5], 0, v[22:23]
	v_lshl_add_u64 v[4:5], v[4:5], 0, s[12:13]
	v_lshl_add_u64 v[86:87], v[4:5], 0, 16
	v_mad_i64_i32 v[4:5], s[30:31], v21, s6, v[2:3]
	s_ashr_i32 s19, s18, 31
	v_lshl_add_u64 v[4:5], v[4:5], 0, v[22:23]
	s_add_u32 s22, s14, 0x90
	v_lshl_add_u64 v[4:5], v[4:5], 0, s[12:13]
	s_addc_u32 s23, s15, 0
	v_lshl_add_u64 v[90:91], v[4:5], 0, 16
	v_mad_i64_i32 v[4:5], s[30:31], v25, s6, v[2:3]
	v_mad_i64_i32 v[2:3], s[30:31], v27, s6, v[2:3]
	v_lshl_add_u64 v[2:3], v[2:3], 0, v[22:23]
	s_add_u32 s28, s12, s28
	v_lshl_add_u64 v[2:3], v[2:3], 0, s[12:13]
	s_addc_u32 s29, s13, s29
	v_lshl_add_u64 v[94:95], v[2:3], 0, 16
	v_mov_b64_e32 v[2:3], s[28:29]
	v_addc_co_u32_e32 v89, vcc, 0, v33, vcc
	v_lshl_add_u64 v[4:5], v[4:5], 0, v[22:23]
	v_mad_i64_i32 v[96:97], s[28:29], v88, s6, v[2:3]
	v_mad_i64_i32 v[2:3], s[28:29], v98, s6, 0
	v_mov_b32_e32 v6, 0x90
	v_lshl_add_u64 v[4:5], v[4:5], 0, s[12:13]
	v_mad_i64_i32 v[2:3], s[28:29], s4, v6, v[2:3]
	v_lshlrev_b32_e32 v22, 2, v89
	v_lshl_add_u64 v[92:93], v[4:5], 0, 16
	v_lshl_add_u64 v[4:5], v[2:3], 0, v[22:23]
	;; [unrolled: 1-line block ×4, first 2 shown]
	v_cndmask_b32_e64 v4, 0, 1, s[2:3]
	v_lshlrev_b32_e32 v7, 2, v4
	v_or_b32_e32 v2, v2, v7
	v_lshl_add_u64 v[2:3], v[2:3], 0, s[12:13]
	v_cndmask_b32_e64 v31, 0, v31, s[2:3]
	v_lshl_add_u64 v[100:101], v[2:3], 0, 4
	v_mad_i64_i32 v[2:3], s[2:3], v102, s6, 0
	v_mad_i64_i32 v[2:3], s[2:3], s4, v6, v[2:3]
	v_lshl_add_u64 v[4:5], v[2:3], 0, v[22:23]
	v_or_b32_e32 v2, v2, v7
	v_lshl_add_u64 v[4:5], v[4:5], 0, s[12:13]
	v_lshl_add_u64 v[2:3], v[2:3], 0, s[12:13]
	s_mov_b32 s25, s24
	v_lshlrev_b32_e32 v33, 1, v33
	v_cmp_gt_u32_e32 vcc, 4, v24
	v_mul_u32_u24_e32 v47, 0x84, v24
	v_ashrrev_i32_e32 v61, 31, v60
	s_mov_b64 s[20:21], 0x90
	v_lshl_add_u64 v[102:103], v[4:5], 0, 4
	v_lshl_add_u64 v[104:105], v[2:3], 0, 4
	s_movk_i32 s4, 0x80
	v_mov_b64_e32 v[88:89], s[24:25]
	s_mov_b32 s6, 0x30303030
	v_add_u32_e32 v127, v106, v107
	v_add_u32_e32 v128, v108, v109
	v_mov_b32_e32 v27, v23
	s_branch .LBB232_6
.LBB232_4:                              ;   in Loop: Header=BB232_6 Depth=1
	s_or_b64 exec, exec, s[12:13]
	s_waitcnt lgkmcnt(0)
	s_barrier
	ds_read_b128 v[2:5], v43 offset:20560
	ds_read2_b32 v[106:107], v47 offset0:16 offset1:17
	ds_read_b128 v[18:21], v41
	ds_read_b128 v[14:17], v41 offset:16
	ds_read_b128 v[10:13], v41 offset:32
	ds_read_b128 v[6:9], v41 offset:48
	ds_read_b32 v25, v49
	ds_read2_b32 v[108:109], v47 offset0:18 offset1:19
	s_waitcnt lgkmcnt(6)
	v_and_b32_e32 v22, 0xf0f0f0f, v106
	v_mov_b32_e32 v129, 0
	s_waitcnt lgkmcnt(5)
	v_dot4c_i32_i8_e32 v129, v22, v18
	v_and_b32_e32 v22, 0xf0f0f0f, v107
	ds_read2_b32 v[110:111], v47 offset0:20 offset1:21
	ds_read2_b32 v[116:117], v47 offset0:22 offset1:23
	;; [unrolled: 1-line block ×3, first 2 shown]
	v_dot4c_i32_i8_e32 v129, v22, v19
	s_waitcnt lgkmcnt(3)
	v_and_b32_e32 v22, 0xf0f0f0f, v108
	v_dot4c_i32_i8_e32 v129, v22, v20
	v_and_b32_e32 v22, 0xf0f0f0f, v109
	v_dot4c_i32_i8_e32 v129, v22, v21
	s_waitcnt lgkmcnt(2)
	v_and_b32_e32 v22, 0xf0f0f0f, v110
	v_dot4c_i32_i8_e32 v129, v22, v14
	v_and_b32_e32 v22, 0xf0f0f0f, v111
	;; [unrolled: 5-line block ×3, first 2 shown]
	v_dot4c_i32_i8_e32 v129, v22, v17
	v_lshrrev_b32_e32 v22, 4, v106
	v_and_b32_e32 v22, 0xf0f0f0f, v22
	v_mov_b32_e32 v141, 0
	v_dot4c_i32_i8_e32 v141, v22, v10
	v_lshrrev_b32_e32 v22, 4, v107
	v_and_b32_e32 v22, 0xf0f0f0f, v22
	v_dot4c_i32_i8_e32 v141, v22, v11
	v_lshrrev_b32_e32 v22, 4, v108
	v_and_b32_e32 v22, 0xf0f0f0f, v22
	;; [unrolled: 3-line block ×3, first 2 shown]
	v_add_u32_e32 v106, 0x10c0, v47
	ds_read2_b32 v[114:115], v45 offset0:1 offset1:3
	v_dot4c_i32_i8_e32 v141, v22, v13
	v_lshrrev_b32_e32 v22, 4, v110
	ds_read2_b32 v[118:119], v47 offset0:26 offset1:27
	ds_read2_b32 v[120:121], v47 offset0:28 offset1:29
	;; [unrolled: 1-line block ×3, first 2 shown]
	ds_read2_b32 v[106:107], v106 offset1:1
	v_and_b32_e32 v22, 0xf0f0f0f, v22
	v_dot4c_i32_i8_e32 v141, v22, v6
	v_lshrrev_b32_e32 v22, 4, v111
	v_and_b32_e32 v22, 0xf0f0f0f, v22
	v_dot4c_i32_i8_e32 v141, v22, v7
	v_lshrrev_b32_e32 v22, 4, v116
	v_and_b32_e32 v22, 0xf0f0f0f, v22
	s_waitcnt lgkmcnt(0)
	v_and_b32_e32 v108, 0xf0f0f0f, v106
	v_mov_b32_e32 v130, 0
	v_dot4c_i32_i8_e32 v141, v22, v8
	v_lshrrev_b32_e32 v22, 4, v117
	v_dot4c_i32_i8_e32 v130, v108, v18
	v_and_b32_e32 v108, 0xf0f0f0f, v107
	v_and_b32_e32 v22, 0xf0f0f0f, v22
	v_dot4c_i32_i8_e32 v130, v108, v19
	v_add_u32_e32 v108, 0x10c8, v47
	v_dot4c_i32_i8_e32 v141, v22, v9
	v_cvt_f32_f16_e32 v22, v25
	v_cvt_f32_f16_sdwa v116, v25 dst_sel:DWORD dst_unused:UNUSED_PAD src0_sel:WORD_1
	ds_read_b32 v131, v55 offset:128
	ds_read_b32 v117, v124 offset:256
	;; [unrolled: 1-line block ×3, first 2 shown]
	ds_read2_b32 v[108:109], v108 offset1:1
	v_add_u32_e32 v110, 0x10d0, v47
	v_add_u32_e32 v136, 0x2140, v47
	;; [unrolled: 1-line block ×3, first 2 shown]
	ds_read2_b32 v[132:133], v110 offset1:1
	ds_read2_b32 v[134:135], v111 offset1:1
	;; [unrolled: 1-line block ×3, first 2 shown]
	s_waitcnt lgkmcnt(3)
	v_and_b32_e32 v110, 0xf0f0f0f, v108
	v_dot4c_i32_i8_e32 v130, v110, v20
	v_and_b32_e32 v110, 0xf0f0f0f, v109
	v_dot4c_i32_i8_e32 v130, v110, v21
	s_waitcnt lgkmcnt(2)
	v_and_b32_e32 v110, 0xf0f0f0f, v132
	v_dot4c_i32_i8_e32 v130, v110, v14
	v_and_b32_e32 v110, 0xf0f0f0f, v133
	v_dot4c_i32_i8_e32 v130, v110, v15
	ds_read2_b32 v[110:111], v53 offset0:1 offset1:3
	s_waitcnt lgkmcnt(2)
	v_and_b32_e32 v138, 0xf0f0f0f, v134
	v_dot4c_i32_i8_e32 v130, v138, v16
	v_and_b32_e32 v138, 0xf0f0f0f, v135
	v_dot4c_i32_i8_e32 v130, v138, v17
	s_waitcnt lgkmcnt(0)
	v_and_b32_e32 v138, 0xff, v110
	v_lshrrev_b32_e32 v106, 4, v106
	v_and_b32_e32 v106, 0xf0f0f0f, v106
	v_mul_lo_u32 v130, v130, v138
	v_cvt_f32_i32_e32 v143, v130
	v_mov_b32_e32 v130, 0
	v_dot4c_i32_i8_e32 v130, v106, v10
	v_lshrrev_b32_e32 v106, 4, v107
	v_and_b32_e32 v106, 0xf0f0f0f, v106
	v_dot4c_i32_i8_e32 v130, v106, v11
	v_lshrrev_b32_e32 v106, 4, v108
	v_and_b32_e32 v106, 0xf0f0f0f, v106
	;; [unrolled: 3-line block ×7, first 2 shown]
	v_dot4c_i32_i8_e32 v130, v106, v9
	v_bfe_u32 v106, v110, 8, 8
	v_mov_b32_e32 v147, 0
	v_mov_b32_e32 v149, 0
	v_mul_lo_u32 v106, v130, v106
	v_cvt_f32_i32_e32 v145, v106
	v_and_b32_e32 v106, 0xf0f0f0f, v136
	v_dot4c_i32_i8_e32 v147, v106, v18
	v_and_b32_e32 v106, 0xf0f0f0f, v137
	v_dot4c_i32_i8_e32 v147, v106, v19
	v_add_u32_e32 v106, 0x2148, v47
	ds_read2_b32 v[108:109], v106 offset1:1
	v_lshrrev_b32_e32 v136, 4, v136
	v_and_b32_e32 v136, 0xf0f0f0f, v136
	v_add_u32_e32 v107, 0x2150, v47
	v_add_u32_e32 v106, 0x31c0, v47
	v_dot4c_i32_i8_e32 v149, v136, v10
	v_lshrrev_b32_e32 v136, 4, v137
	v_add_u32_e32 v130, 0x2158, v47
	ds_read2_b32 v[132:133], v107 offset1:1
	ds_read2_b32 v[134:135], v130 offset1:1
	;; [unrolled: 1-line block ×3, first 2 shown]
	s_waitcnt lgkmcnt(3)
	v_and_b32_e32 v106, 0xf0f0f0f, v108
	v_and_b32_e32 v136, 0xf0f0f0f, v136
	v_lshrrev_b32_e32 v108, 4, v108
	v_dot4c_i32_i8_e32 v149, v136, v11
	v_and_b32_e32 v108, 0xf0f0f0f, v108
	v_dot4c_i32_i8_e32 v149, v108, v12
	v_lshrrev_b32_e32 v108, 4, v109
	v_and_b32_e32 v108, 0xf0f0f0f, v108
	v_dot4c_i32_i8_e32 v147, v106, v20
	v_and_b32_e32 v106, 0xf0f0f0f, v109
	v_dot4c_i32_i8_e32 v149, v108, v13
	s_waitcnt lgkmcnt(2)
	v_lshrrev_b32_e32 v108, 4, v132
	v_dot4c_i32_i8_e32 v147, v106, v21
	v_and_b32_e32 v106, 0xf0f0f0f, v132
	v_and_b32_e32 v108, 0xf0f0f0f, v108
	v_dot4c_i32_i8_e32 v147, v106, v14
	v_and_b32_e32 v106, 0xf0f0f0f, v133
	v_dot4c_i32_i8_e32 v149, v108, v6
	v_lshrrev_b32_e32 v108, 4, v133
	v_dot4c_i32_i8_e32 v147, v106, v15
	ds_read2_b32 v[106:107], v57 offset0:1 offset1:3
	v_and_b32_e32 v108, 0xf0f0f0f, v108
	v_dot4c_i32_i8_e32 v149, v108, v7
	s_waitcnt lgkmcnt(2)
	v_lshrrev_b32_e32 v108, 4, v134
	v_and_b32_e32 v108, 0xf0f0f0f, v108
	v_dot4c_i32_i8_e32 v149, v108, v8
	v_lshrrev_b32_e32 v108, 4, v135
	v_and_b32_e32 v108, 0xf0f0f0f, v108
	v_dot4c_i32_i8_e32 v149, v108, v9
	s_waitcnt lgkmcnt(0)
	v_bfe_u32 v108, v106, 8, 8
	v_mov_b32_e32 v151, 0
	v_and_b32_e32 v130, 0xf0f0f0f, v134
	v_mul_lo_u32 v108, v149, v108
	v_cvt_f32_i32_e32 v149, v108
	v_and_b32_e32 v108, 0xf0f0f0f, v138
	v_dot4c_i32_i8_e32 v151, v108, v18
	v_and_b32_e32 v18, 0xf0f0f0f, v139
	v_dot4c_i32_i8_e32 v151, v18, v19
	v_add_u32_e32 v18, 0x31c8, v47
	ds_read2_b32 v[18:19], v18 offset1:1
	v_add_u32_e32 v108, 0x31d0, v47
	v_add_u32_e32 v136, 0x10e0, v47
	v_dot4c_i32_i8_e32 v147, v130, v16
	v_and_b32_e32 v130, 0xf0f0f0f, v135
	v_add_u32_e32 v109, 0x31d8, v47
	ds_read2_b32 v[132:133], v108 offset1:1
	ds_read2_b32 v[134:135], v109 offset1:1
	;; [unrolled: 1-line block ×3, first 2 shown]
	s_waitcnt lgkmcnt(3)
	v_and_b32_e32 v108, 0xf0f0f0f, v18
	v_dot4c_i32_i8_e32 v151, v108, v20
	v_and_b32_e32 v20, 0xf0f0f0f, v19
	ds_read2_b32 v[108:109], v125 offset0:1 offset1:3
	v_dot4c_i32_i8_e32 v151, v20, v21
	s_waitcnt lgkmcnt(3)
	v_and_b32_e32 v20, 0xf0f0f0f, v132
	v_dot4c_i32_i8_e32 v151, v20, v14
	v_and_b32_e32 v14, 0xf0f0f0f, v133
	v_dot4c_i32_i8_e32 v151, v14, v15
	s_waitcnt lgkmcnt(2)
	v_and_b32_e32 v14, 0xf0f0f0f, v134
	v_dot4c_i32_i8_e32 v151, v14, v16
	v_and_b32_e32 v14, 0xf0f0f0f, v135
	v_dot4c_i32_i8_e32 v151, v14, v17
	s_waitcnt lgkmcnt(0)
	v_and_b32_e32 v14, 0xff, v108
	v_mov_b32_e32 v15, 0
	v_dot4c_i32_i8_e32 v147, v130, v17
	v_mul_lo_u32 v14, v151, v14
	v_cvt_f32_i32_e32 v151, v14
	v_lshrrev_b32_e32 v14, 4, v138
	v_and_b32_e32 v14, 0xf0f0f0f, v14
	v_dot4c_i32_i8_e32 v15, v14, v10
	v_lshrrev_b32_e32 v10, 4, v139
	v_and_b32_e32 v10, 0xf0f0f0f, v10
	v_dot4c_i32_i8_e32 v15, v10, v11
	;; [unrolled: 3-line block ×8, first 2 shown]
	v_bfe_u32 v6, v108, 8, 8
	v_and_b32_e32 v132, 0xf0f0f0f, v112
	v_mov_b32_e32 v133, 0
	v_mul_lo_u32 v6, v15, v6
	v_cvt_f32_i32_e32 v138, v6
	ds_read_b128 v[18:21], v41 offset:64
	ds_read_b128 v[14:17], v41 offset:80
	ds_read_b128 v[10:13], v41 offset:96
	ds_read_b128 v[6:9], v41 offset:112
	v_lshrrev_b32_e32 v112, 4, v112
	s_waitcnt lgkmcnt(3)
	v_dot4c_i32_i8_e32 v133, v132, v18
	v_and_b32_e32 v132, 0xf0f0f0f, v113
	v_dot4c_i32_i8_e32 v133, v132, v19
	v_and_b32_e32 v132, 0xf0f0f0f, v118
	v_dot4c_i32_i8_e32 v133, v132, v20
	v_and_b32_e32 v132, 0xf0f0f0f, v119
	v_dot4c_i32_i8_e32 v133, v132, v21
	v_and_b32_e32 v132, 0xf0f0f0f, v120
	s_waitcnt lgkmcnt(2)
	v_dot4c_i32_i8_e32 v133, v132, v14
	v_and_b32_e32 v132, 0xf0f0f0f, v121
	v_dot4c_i32_i8_e32 v133, v132, v15
	v_and_b32_e32 v132, 0xf0f0f0f, v122
	;; [unrolled: 2-line block ×4, first 2 shown]
	v_mov_b32_e32 v132, 0
	s_waitcnt lgkmcnt(1)
	v_dot4c_i32_i8_e32 v132, v112, v10
	v_lshrrev_b32_e32 v112, 4, v113
	v_and_b32_e32 v112, 0xf0f0f0f, v112
	v_dot4c_i32_i8_e32 v132, v112, v11
	v_lshrrev_b32_e32 v112, 4, v118
	v_and_b32_e32 v112, 0xf0f0f0f, v112
	;; [unrolled: 3-line block ×4, first 2 shown]
	s_waitcnt lgkmcnt(0)
	v_dot4c_i32_i8_e32 v132, v112, v6
	v_lshrrev_b32_e32 v112, 4, v121
	v_and_b32_e32 v112, 0xf0f0f0f, v112
	v_dot4c_i32_i8_e32 v132, v112, v7
	v_lshrrev_b32_e32 v112, 4, v122
	v_cvt_f32_f16_e32 v119, v4
	v_cvt_f32_f16_sdwa v113, v4 dst_sel:DWORD dst_unused:UNUSED_PAD src0_sel:WORD_1
	v_and_b32_e32 v4, 0xff, v114
	v_bfe_u32 v120, v114, 16, 8
	v_and_b32_e32 v112, 0xf0f0f0f, v112
	v_mul_lo_u32 v4, v129, v4
	v_mul_lo_u32 v120, v133, v120
	v_dot4c_i32_i8_e32 v132, v112, v8
	v_lshrrev_b32_e32 v112, 4, v123
	v_cvt_f32_f16_e32 v118, v2
	v_cvt_f32_i32_e32 v123, v120
	v_cvt_f32_i32_e32 v122, v4
	v_and_b32_e32 v112, 0xf0f0f0f, v112
	v_lshrrev_b32_e32 v140, 24, v114
	v_dot4c_i32_i8_e32 v132, v112, v9
	v_bfe_u32 v114, v114, 8, 8
	v_pk_fma_f32 v[122:123], v[118:119], v[122:123], 0 op_sel_hi:[1,1,0]
	v_mul_lo_u32 v114, v141, v114
	v_mul_lo_u32 v118, v132, v140
	v_and_b32_e32 v148, 0xff, v106
	v_cvt_f32_f16_sdwa v112, v2 dst_sel:DWORD dst_unused:UNUSED_PAD src0_sel:WORD_1
	v_cvt_f32_f16_e32 v121, v5
	v_cvt_f32_f16_e32 v120, v3
	v_cvt_f32_i32_e32 v133, v118
	v_cvt_f32_i32_e32 v132, v114
	v_mul_lo_u32 v147, v147, v148
	v_cvt_f32_f16_sdwa v5, v5 dst_sel:DWORD dst_unused:UNUSED_PAD src0_sel:WORD_1
	v_cvt_f32_f16_sdwa v4, v3 dst_sel:DWORD dst_unused:UNUSED_PAD src0_sel:WORD_1
	v_cvt_f32_i32_e32 v147, v147
	v_cvt_f32_ubyte2_e32 v135, v115
	v_cvt_f32_ubyte0_e32 v134, v115
	v_pk_fma_f32 v[134:135], v[112:113], v[134:135], 0 op_sel_hi:[1,1,0]
	v_pk_fma_f32 v[122:123], v[120:121], v[132:133], v[122:123]
	v_cvt_f32_ubyte3_e32 v133, v115
	v_cvt_f32_ubyte1_e32 v132, v115
	v_pk_fma_f32 v[114:115], v[4:5], v[132:133], v[134:135]
	v_cvt_f32_ubyte0_e32 v144, v111
	v_cvt_f32_ubyte0_e32 v148, v107
	;; [unrolled: 1-line block ×3, first 2 shown]
	v_pk_mul_f32 v[114:115], v[114:115], v[116:117] op_sel_hi:[1,0]
	v_fma_mix_f32 v112, v2, v147, 0 op_sel_hi:[1,0,0]
	v_cvt_f32_ubyte1_e32 v139, v109
	v_pk_fma_f32 v[114:115], v[122:123], v[22:23], v[114:115] op_sel_hi:[1,0,1] neg_lo:[0,0,1] neg_hi:[0,0,1]
	v_fma_mix_f32 v4, v2, v143, 0 op_sel_hi:[1,0,0]
	v_fma_mix_f32 v22, v2, v144, 0 op_sel:[1,0,0] op_sel_hi:[1,0,0]
	v_fma_mix_f32 v116, v2, v148, 0 op_sel:[1,0,0] op_sel_hi:[1,0,0]
	v_fma_mix_f32 v129, v3, v149, v112 op_sel_hi:[1,0,0]
	v_fma_mix_f32 v112, v2, v151, 0 op_sel_hi:[1,0,0]
	v_fma_mix_f32 v2, v2, v153, 0 op_sel:[1,0,0] op_sel_hi:[1,0,0]
	v_fma_mix_f32 v140, v3, v138, v112 op_sel_hi:[1,0,0]
	v_fma_mix_f32 v141, v3, v139, v2 op_sel:[1,0,0] op_sel_hi:[1,0,0]
	v_and_b32_e32 v2, 0xf0f0f0f, v136
	v_mov_b32_e32 v112, 0
	v_dot4c_i32_i8_e32 v112, v2, v18
	v_and_b32_e32 v2, 0xf0f0f0f, v137
	v_cvt_f32_ubyte1_e32 v146, v111
	v_cvt_f32_ubyte1_e32 v150, v107
	v_dot4c_i32_i8_e32 v112, v2, v19
	v_add_u32_e32 v2, 0x10e8, v47
	v_fma_mix_f32 v4, v3, v145, v4 op_sel_hi:[1,0,0]
	v_fma_mix_f32 v22, v3, v146, v22 op_sel:[1,0,0] op_sel_hi:[1,0,0]
	v_fma_mix_f32 v116, v3, v150, v116 op_sel:[1,0,0] op_sel_hi:[1,0,0]
	ds_read2_b32 v[2:3], v2 offset1:1
	v_add_u32_e32 v118, 0x10f0, v47
	v_add_u32_e32 v134, 0x2160, v47
	;; [unrolled: 1-line block ×3, first 2 shown]
	ds_read2_b32 v[122:123], v118 offset1:1
	ds_read2_b32 v[132:133], v120 offset1:1
	;; [unrolled: 1-line block ×3, first 2 shown]
	s_waitcnt lgkmcnt(3)
	v_and_b32_e32 v118, 0xf0f0f0f, v2
	v_dot4c_i32_i8_e32 v112, v118, v20
	v_and_b32_e32 v118, 0xf0f0f0f, v3
	v_dot4c_i32_i8_e32 v112, v118, v21
	s_waitcnt lgkmcnt(2)
	v_and_b32_e32 v118, 0xf0f0f0f, v122
	v_dot4c_i32_i8_e32 v112, v118, v14
	v_and_b32_e32 v118, 0xf0f0f0f, v123
	v_dot4c_i32_i8_e32 v112, v118, v15
	s_waitcnt lgkmcnt(1)
	v_and_b32_e32 v118, 0xf0f0f0f, v132
	v_dot4c_i32_i8_e32 v112, v118, v16
	v_and_b32_e32 v118, 0xf0f0f0f, v133
	v_lshrrev_b32_e32 v142, 24, v110
	v_dot4c_i32_i8_e32 v112, v118, v17
	v_bfe_u32 v110, v110, 16, 8
	v_lshrrev_b32_e32 v2, 4, v2
	v_and_b32_e32 v2, 0xf0f0f0f, v2
	v_mul_lo_u32 v110, v112, v110
	v_cvt_f32_i32_e32 v138, v110
	v_lshrrev_b32_e32 v110, 4, v136
	v_and_b32_e32 v110, 0xf0f0f0f, v110
	v_mov_b32_e32 v112, 0
	v_dot4c_i32_i8_e32 v112, v110, v10
	v_lshrrev_b32_e32 v110, 4, v137
	v_and_b32_e32 v110, 0xf0f0f0f, v110
	v_dot4c_i32_i8_e32 v112, v110, v11
	v_dot4c_i32_i8_e32 v112, v2, v12
	v_lshrrev_b32_e32 v2, 4, v3
	v_and_b32_e32 v2, 0xf0f0f0f, v2
	v_dot4c_i32_i8_e32 v112, v2, v13
	v_lshrrev_b32_e32 v2, 4, v122
	v_and_b32_e32 v2, 0xf0f0f0f, v2
	;; [unrolled: 3-line block ×5, first 2 shown]
	v_dot4c_i32_i8_e32 v112, v2, v9
	v_cvt_f32_f16_sdwa v3, v131 dst_sel:DWORD dst_unused:UNUSED_PAD src0_sel:WORD_1
	v_cvt_f32_ubyte2_e32 v139, v111
	v_cvt_f32_ubyte3_e32 v111, v111
	v_mul_lo_u32 v2, v112, v142
	v_cvt_f32_i32_e32 v110, v2
	v_cvt_f32_f16_e32 v2, v131
	v_mul_f32_e32 v22, v22, v3
	v_mov_b32_e32 v112, v119
	v_fma_mix_f32 v123, v4, v131, -v22 op_sel_hi:[0,1,0]
	v_pk_fma_f32 v[118:119], v[112:113], v[138:139], 0 op_sel_hi:[1,1,0]
	v_mov_b32_e32 v4, v121
	v_pk_fma_f32 v[110:111], v[4:5], v[110:111], v[118:119]
	v_mov_b32_e32 v122, v114
	v_pk_mul_f32 v[118:119], v[110:111], v[2:3]
	v_pk_add_f32 v[88:89], v[88:89], v[122:123]
	v_mov_b32_e32 v119, v118
	v_pk_fma_f32 v[2:3], v[110:111], v[2:3], v[118:119] neg_lo:[1,0,0] neg_hi:[1,0,0]
	v_mov_b32_e32 v22, 0
	v_mov_b32_e32 v2, v115
	v_pk_add_f32 v[88:89], v[88:89], v[2:3]
	s_waitcnt lgkmcnt(0)
	v_and_b32_e32 v2, 0xf0f0f0f, v134
	v_dot4c_i32_i8_e32 v22, v2, v18
	v_and_b32_e32 v2, 0xf0f0f0f, v135
	v_dot4c_i32_i8_e32 v22, v2, v19
	v_add_u32_e32 v2, 0x2168, v47
	ds_read2_b32 v[2:3], v2 offset1:1
	v_add_u32_e32 v110, 0x2170, v47
	v_add_u32_e32 v114, 0x2178, v47
	;; [unrolled: 1-line block ×3, first 2 shown]
	ds_read2_b32 v[110:111], v110 offset1:1
	ds_read2_b32 v[114:115], v114 offset1:1
	;; [unrolled: 1-line block ×3, first 2 shown]
	s_waitcnt lgkmcnt(3)
	v_and_b32_e32 v120, 0xf0f0f0f, v2
	v_dot4c_i32_i8_e32 v22, v120, v20
	v_and_b32_e32 v120, 0xf0f0f0f, v3
	v_dot4c_i32_i8_e32 v22, v120, v21
	s_waitcnt lgkmcnt(2)
	v_and_b32_e32 v120, 0xf0f0f0f, v110
	v_dot4c_i32_i8_e32 v22, v120, v14
	v_and_b32_e32 v120, 0xf0f0f0f, v111
	v_dot4c_i32_i8_e32 v22, v120, v15
	s_waitcnt lgkmcnt(1)
	v_and_b32_e32 v120, 0xf0f0f0f, v114
	v_dot4c_i32_i8_e32 v22, v120, v16
	v_and_b32_e32 v120, 0xf0f0f0f, v115
	v_lshrrev_b32_e32 v130, 24, v106
	v_dot4c_i32_i8_e32 v22, v120, v17
	v_bfe_u32 v106, v106, 16, 8
	v_lshrrev_b32_e32 v2, 4, v2
	v_and_b32_e32 v2, 0xf0f0f0f, v2
	v_mul_lo_u32 v22, v22, v106
	v_cvt_f32_i32_e32 v120, v22
	v_lshrrev_b32_e32 v22, 4, v134
	v_and_b32_e32 v22, 0xf0f0f0f, v22
	v_mov_b32_e32 v106, 0
	v_dot4c_i32_i8_e32 v106, v22, v10
	v_lshrrev_b32_e32 v22, 4, v135
	v_and_b32_e32 v22, 0xf0f0f0f, v22
	v_dot4c_i32_i8_e32 v106, v22, v11
	v_dot4c_i32_i8_e32 v106, v2, v12
	v_lshrrev_b32_e32 v2, 4, v3
	v_and_b32_e32 v2, 0xf0f0f0f, v2
	v_dot4c_i32_i8_e32 v106, v2, v13
	v_lshrrev_b32_e32 v2, 4, v110
	v_and_b32_e32 v2, 0xf0f0f0f, v2
	v_dot4c_i32_i8_e32 v106, v2, v6
	v_lshrrev_b32_e32 v2, 4, v111
	v_and_b32_e32 v2, 0xf0f0f0f, v2
	v_dot4c_i32_i8_e32 v106, v2, v7
	v_lshrrev_b32_e32 v2, 4, v114
	v_and_b32_e32 v2, 0xf0f0f0f, v2
	v_dot4c_i32_i8_e32 v106, v2, v8
	v_lshrrev_b32_e32 v2, 4, v115
	v_and_b32_e32 v2, 0xf0f0f0f, v2
	v_cvt_f32_f16_sdwa v3, v117 dst_sel:DWORD dst_unused:UNUSED_PAD src0_sel:WORD_1
	v_dot4c_i32_i8_e32 v106, v2, v9
	v_cvt_f32_ubyte2_e32 v121, v107
	v_cvt_f32_ubyte3_e32 v107, v107
	v_mul_f32_e32 v22, v116, v3
	v_mul_lo_u32 v2, v106, v130
	v_cvt_f32_i32_e32 v106, v2
	v_cvt_f32_f16_e32 v2, v117
	v_fma_mix_f32 v22, v129, v117, -v22 op_sel_hi:[0,1,0]
	v_add_f32_e32 v110, v23, v22
	v_pk_fma_f32 v[22:23], v[112:113], v[120:121], 0 op_sel_hi:[1,1,0]
	v_lshrrev_b32_e32 v152, 24, v108
	v_pk_fma_f32 v[22:23], v[4:5], v[106:107], v[22:23]
	v_add_u32_e32 v106, 0x31f8, v47
	v_pk_mul_f32 v[2:3], v[22:23], v[2:3]
	v_mov_b32_e32 v22, 0
	v_sub_f32_e32 v2, v2, v3
	v_add_f32_e32 v23, v110, v2
	s_waitcnt lgkmcnt(0)
	v_and_b32_e32 v2, 0xf0f0f0f, v118
	v_dot4c_i32_i8_e32 v22, v2, v18
	v_and_b32_e32 v2, 0xf0f0f0f, v119
	v_dot4c_i32_i8_e32 v22, v2, v19
	v_add_u32_e32 v2, 0x31e8, v47
	ds_read2_b32 v[2:3], v2 offset1:1
	v_add_u32_e32 v18, 0x31f0, v47
	ds_read2_b32 v[18:19], v18 offset1:1
	ds_read2_b32 v[106:107], v106 offset1:1
	s_waitcnt lgkmcnt(0)
	s_barrier
	v_and_b32_e32 v110, 0xf0f0f0f, v2
	v_dot4c_i32_i8_e32 v22, v110, v20
	v_and_b32_e32 v20, 0xf0f0f0f, v3
	v_dot4c_i32_i8_e32 v22, v20, v21
	;; [unrolled: 2-line block ×5, first 2 shown]
	v_and_b32_e32 v14, 0xf0f0f0f, v107
	v_lshrrev_b32_e32 v16, 4, v118
	v_dot4c_i32_i8_e32 v22, v14, v17
	v_and_b32_e32 v16, 0xf0f0f0f, v16
	v_mov_b32_e32 v17, 0
	v_dot4c_i32_i8_e32 v17, v16, v10
	v_lshrrev_b32_e32 v10, 4, v119
	v_and_b32_e32 v10, 0xf0f0f0f, v10
	v_lshrrev_b32_e32 v2, 4, v2
	v_dot4c_i32_i8_e32 v17, v10, v11
	v_and_b32_e32 v2, 0xf0f0f0f, v2
	v_dot4c_i32_i8_e32 v17, v2, v12
	v_lshrrev_b32_e32 v2, 4, v3
	v_and_b32_e32 v2, 0xf0f0f0f, v2
	v_dot4c_i32_i8_e32 v17, v2, v13
	v_lshrrev_b32_e32 v2, 4, v18
	;; [unrolled: 3-line block ×5, first 2 shown]
	v_bfe_u32 v14, v108, 16, 8
	v_and_b32_e32 v2, 0xf0f0f0f, v2
	v_cvt_f32_f16_sdwa v3, v25 dst_sel:DWORD dst_unused:UNUSED_PAD src0_sel:WORD_1
	v_mul_lo_u32 v14, v22, v14
	v_dot4c_i32_i8_e32 v17, v2, v9
	v_cvt_f32_i32_e32 v14, v14
	v_mul_f32_e32 v8, v141, v3
	v_cvt_f32_ubyte2_e32 v15, v109
	v_mul_lo_u32 v2, v17, v152
	v_cvt_f32_i32_e32 v6, v2
	v_cvt_f32_f16_e32 v2, v25
	v_fma_mix_f32 v8, v140, v25, -v8 op_sel_hi:[0,1,0]
	v_cvt_f32_ubyte3_e32 v7, v109
	v_add_f32_e32 v10, v27, v8
	v_pk_fma_f32 v[8:9], v[112:113], v[14:15], 0 op_sel_hi:[1,1,0]
	s_nop 0
	v_pk_fma_f32 v[4:5], v[4:5], v[6:7], v[8:9]
	s_nop 0
	v_pk_mul_f32 v[2:3], v[4:5], v[2:3]
	s_nop 0
	v_sub_f32_e32 v2, v2, v3
	v_add_f32_e32 v27, v10, v2
.LBB232_5:                              ;   in Loop: Header=BB232_6 Depth=1
	s_add_i32 s26, s26, -1
	s_addk_i32 s4, 0x100
	v_add_u32_e32 v24, 8, v24
	v_add_u32_e32 v51, 8, v51
	;; [unrolled: 1-line block ×3, first 2 shown]
	v_lshl_add_u64 v[62:63], v[62:63], 0, s[20:21]
	v_lshl_add_u64 v[64:65], v[64:65], 0, s[20:21]
	;; [unrolled: 1-line block ×20, first 2 shown]
	s_cmp_eq_u32 s26, 0
	v_lshl_add_u64 v[104:105], v[104:105], 0, s[20:21]
	s_cbranch_scc1 .LBB232_19
.LBB232_6:                              ; =>This Inner Loop Header: Depth=1
	v_lshl_add_u64 v[2:3], v[62:63], 0, s[18:19]
	global_load_dword v4, v[2:3], off
	v_lshl_add_u64 v[2:3], v[64:65], 0, s[18:19]
	global_load_dword v5, v[2:3], off
	;; [unrolled: 2-line block ×21, first 2 shown]
	s_add_i32 s2, s4, 0xffffff80
	s_cmp_lt_i32 s2, s5
	s_waitcnt vmcnt(20)
	ds_write_b32 v26, v4
	s_waitcnt vmcnt(19)
	ds_write_b32 v28, v5
	;; [unrolled: 2-line block ×17, first 2 shown]
	s_waitcnt vmcnt(3)
	v_ashrrev_i32_e32 v3, v31, v21
	v_and_b32_e32 v3, 0xf0f0f0f, v3
	s_waitcnt vmcnt(2)
	v_ashrrev_i32_e32 v4, v33, v22
	v_and_or_b32 v3, v4, s6, v3
	s_waitcnt vmcnt(1)
	v_ashrrev_i32_e32 v5, v31, v25
	v_and_b32_e32 v5, 0xf0f0f0f, v5
	s_waitcnt vmcnt(0)
	v_ashrrev_i32_e32 v2, v33, v2
	v_and_or_b32 v2, v2, s6, v5
	ds_write_b32 v127, v3
	ds_write_b32 v128, v2
	s_cbranch_scc0 .LBB232_5
; %bb.7:                                ;   in Loop: Header=BB232_6 Depth=1
	v_cmp_gt_i32_e64 s[2:3], s8, v39
	s_and_b64 s[12:13], s[0:1], s[2:3]
	s_and_saveexec_b64 s[2:3], s[12:13]
	s_cbranch_execz .LBB232_9
; %bb.8:                                ;   in Loop: Header=BB232_6 Depth=1
	v_add_u32_e32 v2, v60, v39
	v_mad_i64_i32 v[2:3], s[12:13], v2, 36, v[58:59]
	global_load_dword v2, v[2:3], off offset:4
	s_waitcnt vmcnt(0)
	ds_write_b32 v35, v2
.LBB232_9:                              ;   in Loop: Header=BB232_6 Depth=1
	s_or_b64 exec, exec, s[2:3]
	s_and_saveexec_b64 s[12:13], vcc
	s_cbranch_execz .LBB232_12
; %bb.10:                               ;   in Loop: Header=BB232_6 Depth=1
	v_cmp_gt_i32_e64 s[2:3], s8, v24
	s_and_b64 s[2:3], s[0:1], s[2:3]
	s_and_b64 exec, exec, s[2:3]
	s_cbranch_execz .LBB232_12
; %bb.11:                               ;   in Loop: Header=BB232_6 Depth=1
	v_add_u32_e32 v2, v60, v24
	v_mad_i64_i32 v[2:3], s[2:3], v2, 36, s[14:15]
	global_load_dword v2, v[2:3], off
	s_waitcnt vmcnt(0)
	ds_write_b32 v37, v2
.LBB232_12:                             ;   in Loop: Header=BB232_6 Depth=1
	s_or_b64 exec, exec, s[12:13]
	s_waitcnt lgkmcnt(0)
	s_barrier
	ds_read_b128 v[2:5], v43 offset:20560
	ds_read2_b32 v[106:107], v47 offset1:1
	ds_read_b128 v[18:21], v41
	ds_read_b128 v[14:17], v41 offset:16
	ds_read_b128 v[10:13], v41 offset:32
	;; [unrolled: 1-line block ×3, first 2 shown]
	ds_read_b32 v25, v49
	ds_read2_b32 v[108:109], v47 offset0:2 offset1:3
	s_waitcnt lgkmcnt(6)
	v_and_b32_e32 v22, 0xf0f0f0f, v106
	v_mov_b32_e32 v129, 0
	s_waitcnt lgkmcnt(5)
	v_dot4c_i32_i8_e32 v129, v22, v18
	v_and_b32_e32 v22, 0xf0f0f0f, v107
	ds_read2_b32 v[110:111], v47 offset0:4 offset1:5
	ds_read2_b32 v[116:117], v47 offset0:6 offset1:7
	;; [unrolled: 1-line block ×3, first 2 shown]
	v_dot4c_i32_i8_e32 v129, v22, v19
	s_waitcnt lgkmcnt(3)
	v_and_b32_e32 v22, 0xf0f0f0f, v108
	v_dot4c_i32_i8_e32 v129, v22, v20
	v_and_b32_e32 v22, 0xf0f0f0f, v109
	v_dot4c_i32_i8_e32 v129, v22, v21
	s_waitcnt lgkmcnt(2)
	v_and_b32_e32 v22, 0xf0f0f0f, v110
	v_dot4c_i32_i8_e32 v129, v22, v14
	v_and_b32_e32 v22, 0xf0f0f0f, v111
	;; [unrolled: 5-line block ×3, first 2 shown]
	v_dot4c_i32_i8_e32 v129, v22, v17
	v_lshrrev_b32_e32 v22, 4, v106
	v_and_b32_e32 v22, 0xf0f0f0f, v22
	v_mov_b32_e32 v141, 0
	v_dot4c_i32_i8_e32 v141, v22, v10
	v_lshrrev_b32_e32 v22, 4, v107
	v_and_b32_e32 v22, 0xf0f0f0f, v22
	v_dot4c_i32_i8_e32 v141, v22, v11
	v_lshrrev_b32_e32 v22, 4, v108
	v_and_b32_e32 v22, 0xf0f0f0f, v22
	;; [unrolled: 3-line block ×3, first 2 shown]
	v_add_u32_e32 v106, 0x1080, v47
	ds_read2_b32 v[114:115], v45 offset1:2
	v_dot4c_i32_i8_e32 v141, v22, v13
	v_lshrrev_b32_e32 v22, 4, v110
	ds_read2_b32 v[118:119], v47 offset0:10 offset1:11
	ds_read2_b32 v[120:121], v47 offset0:12 offset1:13
	ds_read2_b32 v[122:123], v47 offset0:14 offset1:15
	ds_read2_b32 v[106:107], v106 offset1:1
	v_and_b32_e32 v22, 0xf0f0f0f, v22
	v_dot4c_i32_i8_e32 v141, v22, v6
	v_lshrrev_b32_e32 v22, 4, v111
	v_and_b32_e32 v22, 0xf0f0f0f, v22
	v_dot4c_i32_i8_e32 v141, v22, v7
	v_lshrrev_b32_e32 v22, 4, v116
	v_and_b32_e32 v22, 0xf0f0f0f, v22
	s_waitcnt lgkmcnt(0)
	v_and_b32_e32 v108, 0xf0f0f0f, v106
	v_mov_b32_e32 v130, 0
	v_dot4c_i32_i8_e32 v141, v22, v8
	v_lshrrev_b32_e32 v22, 4, v117
	v_dot4c_i32_i8_e32 v130, v108, v18
	v_and_b32_e32 v108, 0xf0f0f0f, v107
	v_and_b32_e32 v22, 0xf0f0f0f, v22
	v_dot4c_i32_i8_e32 v130, v108, v19
	v_add_u32_e32 v108, 0x1088, v47
	v_dot4c_i32_i8_e32 v141, v22, v9
	v_cvt_f32_f16_e32 v22, v25
	v_cvt_f32_f16_sdwa v116, v25 dst_sel:DWORD dst_unused:UNUSED_PAD src0_sel:WORD_1
	ds_read_b32 v131, v55 offset:128
	ds_read_b32 v117, v124 offset:256
	ds_read_b32 v25, v126 offset:384
	ds_read2_b32 v[108:109], v108 offset1:1
	v_add_u32_e32 v110, 0x1090, v47
	v_add_u32_e32 v136, 0x2100, v47
	;; [unrolled: 1-line block ×3, first 2 shown]
	ds_read2_b32 v[132:133], v110 offset1:1
	ds_read2_b32 v[134:135], v111 offset1:1
	;; [unrolled: 1-line block ×3, first 2 shown]
	s_waitcnt lgkmcnt(3)
	v_and_b32_e32 v110, 0xf0f0f0f, v108
	v_dot4c_i32_i8_e32 v130, v110, v20
	v_and_b32_e32 v110, 0xf0f0f0f, v109
	v_dot4c_i32_i8_e32 v130, v110, v21
	s_waitcnt lgkmcnt(2)
	v_and_b32_e32 v110, 0xf0f0f0f, v132
	v_dot4c_i32_i8_e32 v130, v110, v14
	v_and_b32_e32 v110, 0xf0f0f0f, v133
	v_dot4c_i32_i8_e32 v130, v110, v15
	ds_read2_b32 v[110:111], v53 offset1:2
	s_waitcnt lgkmcnt(2)
	v_and_b32_e32 v138, 0xf0f0f0f, v134
	v_dot4c_i32_i8_e32 v130, v138, v16
	v_and_b32_e32 v138, 0xf0f0f0f, v135
	v_dot4c_i32_i8_e32 v130, v138, v17
	s_waitcnt lgkmcnt(0)
	v_and_b32_e32 v138, 0xff, v110
	v_lshrrev_b32_e32 v106, 4, v106
	v_and_b32_e32 v106, 0xf0f0f0f, v106
	v_mul_lo_u32 v130, v130, v138
	v_cvt_f32_i32_e32 v143, v130
	v_mov_b32_e32 v130, 0
	v_dot4c_i32_i8_e32 v130, v106, v10
	v_lshrrev_b32_e32 v106, 4, v107
	v_and_b32_e32 v106, 0xf0f0f0f, v106
	v_dot4c_i32_i8_e32 v130, v106, v11
	v_lshrrev_b32_e32 v106, 4, v108
	v_and_b32_e32 v106, 0xf0f0f0f, v106
	;; [unrolled: 3-line block ×7, first 2 shown]
	v_dot4c_i32_i8_e32 v130, v106, v9
	v_bfe_u32 v106, v110, 8, 8
	v_mov_b32_e32 v147, 0
	v_mov_b32_e32 v149, 0
	v_mul_lo_u32 v106, v130, v106
	v_cvt_f32_i32_e32 v145, v106
	v_and_b32_e32 v106, 0xf0f0f0f, v136
	v_dot4c_i32_i8_e32 v147, v106, v18
	v_and_b32_e32 v106, 0xf0f0f0f, v137
	v_dot4c_i32_i8_e32 v147, v106, v19
	v_add_u32_e32 v106, 0x2108, v47
	ds_read2_b32 v[108:109], v106 offset1:1
	v_lshrrev_b32_e32 v136, 4, v136
	v_and_b32_e32 v136, 0xf0f0f0f, v136
	v_add_u32_e32 v107, 0x2110, v47
	v_add_u32_e32 v106, 0x3180, v47
	v_dot4c_i32_i8_e32 v149, v136, v10
	v_lshrrev_b32_e32 v136, 4, v137
	v_add_u32_e32 v130, 0x2118, v47
	ds_read2_b32 v[132:133], v107 offset1:1
	ds_read2_b32 v[134:135], v130 offset1:1
	;; [unrolled: 1-line block ×3, first 2 shown]
	s_waitcnt lgkmcnt(3)
	v_and_b32_e32 v106, 0xf0f0f0f, v108
	v_and_b32_e32 v136, 0xf0f0f0f, v136
	v_lshrrev_b32_e32 v108, 4, v108
	v_dot4c_i32_i8_e32 v149, v136, v11
	v_and_b32_e32 v108, 0xf0f0f0f, v108
	v_dot4c_i32_i8_e32 v149, v108, v12
	v_lshrrev_b32_e32 v108, 4, v109
	v_and_b32_e32 v108, 0xf0f0f0f, v108
	v_dot4c_i32_i8_e32 v147, v106, v20
	v_and_b32_e32 v106, 0xf0f0f0f, v109
	v_dot4c_i32_i8_e32 v149, v108, v13
	s_waitcnt lgkmcnt(2)
	v_lshrrev_b32_e32 v108, 4, v132
	v_dot4c_i32_i8_e32 v147, v106, v21
	v_and_b32_e32 v106, 0xf0f0f0f, v132
	v_and_b32_e32 v108, 0xf0f0f0f, v108
	v_dot4c_i32_i8_e32 v147, v106, v14
	v_and_b32_e32 v106, 0xf0f0f0f, v133
	v_dot4c_i32_i8_e32 v149, v108, v6
	v_lshrrev_b32_e32 v108, 4, v133
	v_dot4c_i32_i8_e32 v147, v106, v15
	ds_read2_b32 v[106:107], v57 offset1:2
	v_and_b32_e32 v108, 0xf0f0f0f, v108
	v_dot4c_i32_i8_e32 v149, v108, v7
	s_waitcnt lgkmcnt(2)
	v_lshrrev_b32_e32 v108, 4, v134
	v_and_b32_e32 v108, 0xf0f0f0f, v108
	v_dot4c_i32_i8_e32 v149, v108, v8
	v_lshrrev_b32_e32 v108, 4, v135
	v_and_b32_e32 v108, 0xf0f0f0f, v108
	v_dot4c_i32_i8_e32 v149, v108, v9
	s_waitcnt lgkmcnt(0)
	v_bfe_u32 v108, v106, 8, 8
	v_mov_b32_e32 v151, 0
	v_and_b32_e32 v130, 0xf0f0f0f, v134
	v_mul_lo_u32 v108, v149, v108
	v_cvt_f32_i32_e32 v149, v108
	v_and_b32_e32 v108, 0xf0f0f0f, v138
	v_dot4c_i32_i8_e32 v151, v108, v18
	v_and_b32_e32 v18, 0xf0f0f0f, v139
	v_dot4c_i32_i8_e32 v151, v18, v19
	v_add_u32_e32 v18, 0x3188, v47
	ds_read2_b32 v[18:19], v18 offset1:1
	v_add_u32_e32 v108, 0x3190, v47
	v_add_u32_e32 v136, 0x10a0, v47
	v_dot4c_i32_i8_e32 v147, v130, v16
	v_and_b32_e32 v130, 0xf0f0f0f, v135
	v_add_u32_e32 v109, 0x3198, v47
	ds_read2_b32 v[132:133], v108 offset1:1
	ds_read2_b32 v[134:135], v109 offset1:1
	;; [unrolled: 1-line block ×3, first 2 shown]
	s_waitcnt lgkmcnt(3)
	v_and_b32_e32 v108, 0xf0f0f0f, v18
	v_dot4c_i32_i8_e32 v151, v108, v20
	v_and_b32_e32 v20, 0xf0f0f0f, v19
	ds_read2_b32 v[108:109], v125 offset1:2
	v_dot4c_i32_i8_e32 v151, v20, v21
	s_waitcnt lgkmcnt(3)
	v_and_b32_e32 v20, 0xf0f0f0f, v132
	v_dot4c_i32_i8_e32 v151, v20, v14
	v_and_b32_e32 v14, 0xf0f0f0f, v133
	v_dot4c_i32_i8_e32 v151, v14, v15
	s_waitcnt lgkmcnt(2)
	v_and_b32_e32 v14, 0xf0f0f0f, v134
	v_dot4c_i32_i8_e32 v151, v14, v16
	v_and_b32_e32 v14, 0xf0f0f0f, v135
	v_dot4c_i32_i8_e32 v151, v14, v17
	s_waitcnt lgkmcnt(0)
	v_and_b32_e32 v14, 0xff, v108
	v_mov_b32_e32 v15, 0
	v_dot4c_i32_i8_e32 v147, v130, v17
	v_mul_lo_u32 v14, v151, v14
	v_cvt_f32_i32_e32 v151, v14
	v_lshrrev_b32_e32 v14, 4, v138
	v_and_b32_e32 v14, 0xf0f0f0f, v14
	v_dot4c_i32_i8_e32 v15, v14, v10
	v_lshrrev_b32_e32 v10, 4, v139
	v_and_b32_e32 v10, 0xf0f0f0f, v10
	v_dot4c_i32_i8_e32 v15, v10, v11
	;; [unrolled: 3-line block ×8, first 2 shown]
	v_bfe_u32 v6, v108, 8, 8
	v_and_b32_e32 v132, 0xf0f0f0f, v112
	v_mov_b32_e32 v133, 0
	v_mul_lo_u32 v6, v15, v6
	v_cvt_f32_i32_e32 v138, v6
	ds_read_b128 v[18:21], v41 offset:64
	ds_read_b128 v[14:17], v41 offset:80
	;; [unrolled: 1-line block ×4, first 2 shown]
	v_lshrrev_b32_e32 v112, 4, v112
	s_waitcnt lgkmcnt(3)
	v_dot4c_i32_i8_e32 v133, v132, v18
	v_and_b32_e32 v132, 0xf0f0f0f, v113
	v_dot4c_i32_i8_e32 v133, v132, v19
	v_and_b32_e32 v132, 0xf0f0f0f, v118
	;; [unrolled: 2-line block ×4, first 2 shown]
	s_waitcnt lgkmcnt(2)
	v_dot4c_i32_i8_e32 v133, v132, v14
	v_and_b32_e32 v132, 0xf0f0f0f, v121
	v_dot4c_i32_i8_e32 v133, v132, v15
	v_and_b32_e32 v132, 0xf0f0f0f, v122
	;; [unrolled: 2-line block ×4, first 2 shown]
	v_mov_b32_e32 v132, 0
	s_waitcnt lgkmcnt(1)
	v_dot4c_i32_i8_e32 v132, v112, v10
	v_lshrrev_b32_e32 v112, 4, v113
	v_and_b32_e32 v112, 0xf0f0f0f, v112
	v_dot4c_i32_i8_e32 v132, v112, v11
	v_lshrrev_b32_e32 v112, 4, v118
	v_and_b32_e32 v112, 0xf0f0f0f, v112
	;; [unrolled: 3-line block ×4, first 2 shown]
	s_waitcnt lgkmcnt(0)
	v_dot4c_i32_i8_e32 v132, v112, v6
	v_lshrrev_b32_e32 v112, 4, v121
	v_and_b32_e32 v112, 0xf0f0f0f, v112
	v_dot4c_i32_i8_e32 v132, v112, v7
	v_lshrrev_b32_e32 v112, 4, v122
	v_cvt_f32_f16_e32 v119, v4
	v_cvt_f32_f16_sdwa v113, v4 dst_sel:DWORD dst_unused:UNUSED_PAD src0_sel:WORD_1
	v_and_b32_e32 v4, 0xff, v114
	v_bfe_u32 v120, v114, 16, 8
	v_and_b32_e32 v112, 0xf0f0f0f, v112
	v_mul_lo_u32 v4, v129, v4
	v_mul_lo_u32 v120, v133, v120
	v_dot4c_i32_i8_e32 v132, v112, v8
	v_lshrrev_b32_e32 v112, 4, v123
	v_cvt_f32_f16_e32 v118, v2
	v_cvt_f32_i32_e32 v123, v120
	v_cvt_f32_i32_e32 v122, v4
	v_and_b32_e32 v112, 0xf0f0f0f, v112
	v_lshrrev_b32_e32 v140, 24, v114
	v_dot4c_i32_i8_e32 v132, v112, v9
	v_bfe_u32 v114, v114, 8, 8
	v_pk_fma_f32 v[122:123], v[118:119], v[122:123], 0 op_sel_hi:[1,1,0]
	v_mul_lo_u32 v114, v141, v114
	v_mul_lo_u32 v118, v132, v140
	v_and_b32_e32 v148, 0xff, v106
	v_cvt_f32_f16_sdwa v112, v2 dst_sel:DWORD dst_unused:UNUSED_PAD src0_sel:WORD_1
	v_cvt_f32_f16_e32 v121, v5
	v_cvt_f32_f16_e32 v120, v3
	v_cvt_f32_i32_e32 v133, v118
	v_cvt_f32_i32_e32 v132, v114
	v_mul_lo_u32 v147, v147, v148
	v_cvt_f32_f16_sdwa v5, v5 dst_sel:DWORD dst_unused:UNUSED_PAD src0_sel:WORD_1
	v_cvt_f32_f16_sdwa v4, v3 dst_sel:DWORD dst_unused:UNUSED_PAD src0_sel:WORD_1
	v_cvt_f32_i32_e32 v147, v147
	v_cvt_f32_ubyte2_e32 v135, v115
	v_cvt_f32_ubyte0_e32 v134, v115
	v_pk_fma_f32 v[134:135], v[112:113], v[134:135], 0 op_sel_hi:[1,1,0]
	v_pk_fma_f32 v[122:123], v[120:121], v[132:133], v[122:123]
	v_cvt_f32_ubyte3_e32 v133, v115
	v_cvt_f32_ubyte1_e32 v132, v115
	v_pk_fma_f32 v[114:115], v[4:5], v[132:133], v[134:135]
	v_cvt_f32_ubyte0_e32 v144, v111
	v_cvt_f32_ubyte0_e32 v148, v107
	;; [unrolled: 1-line block ×3, first 2 shown]
	v_pk_mul_f32 v[114:115], v[114:115], v[116:117] op_sel_hi:[1,0]
	v_fma_mix_f32 v112, v2, v147, 0 op_sel_hi:[1,0,0]
	v_cvt_f32_ubyte1_e32 v139, v109
	v_pk_fma_f32 v[114:115], v[122:123], v[22:23], v[114:115] op_sel_hi:[1,0,1] neg_lo:[0,0,1] neg_hi:[0,0,1]
	v_fma_mix_f32 v4, v2, v143, 0 op_sel_hi:[1,0,0]
	v_fma_mix_f32 v22, v2, v144, 0 op_sel:[1,0,0] op_sel_hi:[1,0,0]
	v_fma_mix_f32 v116, v2, v148, 0 op_sel:[1,0,0] op_sel_hi:[1,0,0]
	v_fma_mix_f32 v129, v3, v149, v112 op_sel_hi:[1,0,0]
	v_fma_mix_f32 v112, v2, v151, 0 op_sel_hi:[1,0,0]
	v_fma_mix_f32 v2, v2, v153, 0 op_sel:[1,0,0] op_sel_hi:[1,0,0]
	v_fma_mix_f32 v140, v3, v138, v112 op_sel_hi:[1,0,0]
	v_fma_mix_f32 v141, v3, v139, v2 op_sel:[1,0,0] op_sel_hi:[1,0,0]
	v_and_b32_e32 v2, 0xf0f0f0f, v136
	v_mov_b32_e32 v112, 0
	v_dot4c_i32_i8_e32 v112, v2, v18
	v_and_b32_e32 v2, 0xf0f0f0f, v137
	v_cvt_f32_ubyte1_e32 v146, v111
	v_cvt_f32_ubyte1_e32 v150, v107
	v_dot4c_i32_i8_e32 v112, v2, v19
	v_add_u32_e32 v2, 0x10a8, v47
	v_fma_mix_f32 v4, v3, v145, v4 op_sel_hi:[1,0,0]
	v_fma_mix_f32 v22, v3, v146, v22 op_sel:[1,0,0] op_sel_hi:[1,0,0]
	v_fma_mix_f32 v116, v3, v150, v116 op_sel:[1,0,0] op_sel_hi:[1,0,0]
	ds_read2_b32 v[2:3], v2 offset1:1
	v_add_u32_e32 v118, 0x10b0, v47
	v_add_u32_e32 v134, 0x2120, v47
	;; [unrolled: 1-line block ×3, first 2 shown]
	ds_read2_b32 v[122:123], v118 offset1:1
	ds_read2_b32 v[132:133], v120 offset1:1
	;; [unrolled: 1-line block ×3, first 2 shown]
	s_waitcnt lgkmcnt(3)
	v_and_b32_e32 v118, 0xf0f0f0f, v2
	v_dot4c_i32_i8_e32 v112, v118, v20
	v_and_b32_e32 v118, 0xf0f0f0f, v3
	v_dot4c_i32_i8_e32 v112, v118, v21
	s_waitcnt lgkmcnt(2)
	v_and_b32_e32 v118, 0xf0f0f0f, v122
	v_dot4c_i32_i8_e32 v112, v118, v14
	v_and_b32_e32 v118, 0xf0f0f0f, v123
	v_dot4c_i32_i8_e32 v112, v118, v15
	s_waitcnt lgkmcnt(1)
	v_and_b32_e32 v118, 0xf0f0f0f, v132
	v_dot4c_i32_i8_e32 v112, v118, v16
	v_and_b32_e32 v118, 0xf0f0f0f, v133
	v_lshrrev_b32_e32 v142, 24, v110
	v_dot4c_i32_i8_e32 v112, v118, v17
	v_bfe_u32 v110, v110, 16, 8
	v_lshrrev_b32_e32 v2, 4, v2
	v_and_b32_e32 v2, 0xf0f0f0f, v2
	v_mul_lo_u32 v110, v112, v110
	v_cvt_f32_i32_e32 v138, v110
	v_lshrrev_b32_e32 v110, 4, v136
	v_and_b32_e32 v110, 0xf0f0f0f, v110
	v_mov_b32_e32 v112, 0
	v_dot4c_i32_i8_e32 v112, v110, v10
	v_lshrrev_b32_e32 v110, 4, v137
	v_and_b32_e32 v110, 0xf0f0f0f, v110
	v_dot4c_i32_i8_e32 v112, v110, v11
	v_dot4c_i32_i8_e32 v112, v2, v12
	v_lshrrev_b32_e32 v2, 4, v3
	v_and_b32_e32 v2, 0xf0f0f0f, v2
	v_dot4c_i32_i8_e32 v112, v2, v13
	v_lshrrev_b32_e32 v2, 4, v122
	v_and_b32_e32 v2, 0xf0f0f0f, v2
	;; [unrolled: 3-line block ×5, first 2 shown]
	v_dot4c_i32_i8_e32 v112, v2, v9
	v_cvt_f32_f16_sdwa v3, v131 dst_sel:DWORD dst_unused:UNUSED_PAD src0_sel:WORD_1
	v_cvt_f32_ubyte2_e32 v139, v111
	v_cvt_f32_ubyte3_e32 v111, v111
	v_mul_lo_u32 v2, v112, v142
	v_cvt_f32_i32_e32 v110, v2
	v_cvt_f32_f16_e32 v2, v131
	v_mul_f32_e32 v22, v22, v3
	v_mov_b32_e32 v112, v119
	v_fma_mix_f32 v123, v4, v131, -v22 op_sel_hi:[0,1,0]
	v_pk_fma_f32 v[118:119], v[112:113], v[138:139], 0 op_sel_hi:[1,1,0]
	v_mov_b32_e32 v4, v121
	v_pk_fma_f32 v[110:111], v[4:5], v[110:111], v[118:119]
	v_mov_b32_e32 v122, v114
	v_pk_mul_f32 v[118:119], v[110:111], v[2:3]
	v_pk_add_f32 v[88:89], v[88:89], v[122:123]
	v_mov_b32_e32 v119, v118
	v_pk_fma_f32 v[2:3], v[110:111], v[2:3], v[118:119] neg_lo:[1,0,0] neg_hi:[1,0,0]
	v_mov_b32_e32 v22, 0
	v_mov_b32_e32 v2, v115
	v_pk_add_f32 v[88:89], v[88:89], v[2:3]
	s_waitcnt lgkmcnt(0)
	v_and_b32_e32 v2, 0xf0f0f0f, v134
	v_dot4c_i32_i8_e32 v22, v2, v18
	v_and_b32_e32 v2, 0xf0f0f0f, v135
	v_dot4c_i32_i8_e32 v22, v2, v19
	v_add_u32_e32 v2, 0x2128, v47
	ds_read2_b32 v[2:3], v2 offset1:1
	v_add_u32_e32 v110, 0x2130, v47
	v_add_u32_e32 v114, 0x2138, v47
	;; [unrolled: 1-line block ×3, first 2 shown]
	ds_read2_b32 v[110:111], v110 offset1:1
	ds_read2_b32 v[114:115], v114 offset1:1
	ds_read2_b32 v[118:119], v118 offset1:1
	s_waitcnt lgkmcnt(3)
	v_and_b32_e32 v120, 0xf0f0f0f, v2
	v_dot4c_i32_i8_e32 v22, v120, v20
	v_and_b32_e32 v120, 0xf0f0f0f, v3
	v_dot4c_i32_i8_e32 v22, v120, v21
	s_waitcnt lgkmcnt(2)
	v_and_b32_e32 v120, 0xf0f0f0f, v110
	v_dot4c_i32_i8_e32 v22, v120, v14
	v_and_b32_e32 v120, 0xf0f0f0f, v111
	v_dot4c_i32_i8_e32 v22, v120, v15
	s_waitcnt lgkmcnt(1)
	v_and_b32_e32 v120, 0xf0f0f0f, v114
	v_dot4c_i32_i8_e32 v22, v120, v16
	v_and_b32_e32 v120, 0xf0f0f0f, v115
	v_lshrrev_b32_e32 v130, 24, v106
	v_dot4c_i32_i8_e32 v22, v120, v17
	v_bfe_u32 v106, v106, 16, 8
	v_lshrrev_b32_e32 v2, 4, v2
	v_and_b32_e32 v2, 0xf0f0f0f, v2
	v_mul_lo_u32 v22, v22, v106
	v_cvt_f32_i32_e32 v120, v22
	v_lshrrev_b32_e32 v22, 4, v134
	v_and_b32_e32 v22, 0xf0f0f0f, v22
	v_mov_b32_e32 v106, 0
	v_dot4c_i32_i8_e32 v106, v22, v10
	v_lshrrev_b32_e32 v22, 4, v135
	v_and_b32_e32 v22, 0xf0f0f0f, v22
	v_dot4c_i32_i8_e32 v106, v22, v11
	v_dot4c_i32_i8_e32 v106, v2, v12
	v_lshrrev_b32_e32 v2, 4, v3
	v_and_b32_e32 v2, 0xf0f0f0f, v2
	v_dot4c_i32_i8_e32 v106, v2, v13
	v_lshrrev_b32_e32 v2, 4, v110
	v_and_b32_e32 v2, 0xf0f0f0f, v2
	;; [unrolled: 3-line block ×5, first 2 shown]
	v_cvt_f32_f16_sdwa v3, v117 dst_sel:DWORD dst_unused:UNUSED_PAD src0_sel:WORD_1
	v_dot4c_i32_i8_e32 v106, v2, v9
	v_cvt_f32_ubyte2_e32 v121, v107
	v_cvt_f32_ubyte3_e32 v107, v107
	v_mul_f32_e32 v22, v116, v3
	v_mul_lo_u32 v2, v106, v130
	v_cvt_f32_i32_e32 v106, v2
	v_cvt_f32_f16_e32 v2, v117
	v_fma_mix_f32 v22, v129, v117, -v22 op_sel_hi:[0,1,0]
	v_add_f32_e32 v110, v23, v22
	v_pk_fma_f32 v[22:23], v[112:113], v[120:121], 0 op_sel_hi:[1,1,0]
	v_lshrrev_b32_e32 v152, 24, v108
	v_pk_fma_f32 v[22:23], v[4:5], v[106:107], v[22:23]
	v_add_u32_e32 v106, 0x31b8, v47
	v_pk_mul_f32 v[2:3], v[22:23], v[2:3]
	v_mov_b32_e32 v22, 0
	v_sub_f32_e32 v2, v2, v3
	v_add_f32_e32 v23, v110, v2
	s_waitcnt lgkmcnt(0)
	v_and_b32_e32 v2, 0xf0f0f0f, v118
	v_dot4c_i32_i8_e32 v22, v2, v18
	v_and_b32_e32 v2, 0xf0f0f0f, v119
	v_dot4c_i32_i8_e32 v22, v2, v19
	v_add_u32_e32 v2, 0x31a8, v47
	ds_read2_b32 v[2:3], v2 offset1:1
	v_add_u32_e32 v18, 0x31b0, v47
	ds_read2_b32 v[18:19], v18 offset1:1
	ds_read2_b32 v[106:107], v106 offset1:1
	s_cmp_ge_i32 s4, s5
	s_waitcnt lgkmcnt(0)
	v_and_b32_e32 v110, 0xf0f0f0f, v2
	v_dot4c_i32_i8_e32 v22, v110, v20
	v_and_b32_e32 v20, 0xf0f0f0f, v3
	v_dot4c_i32_i8_e32 v22, v20, v21
	;; [unrolled: 2-line block ×5, first 2 shown]
	v_and_b32_e32 v14, 0xf0f0f0f, v107
	v_lshrrev_b32_e32 v16, 4, v118
	v_dot4c_i32_i8_e32 v22, v14, v17
	v_and_b32_e32 v16, 0xf0f0f0f, v16
	v_mov_b32_e32 v17, 0
	v_dot4c_i32_i8_e32 v17, v16, v10
	v_lshrrev_b32_e32 v10, 4, v119
	v_and_b32_e32 v10, 0xf0f0f0f, v10
	v_lshrrev_b32_e32 v2, 4, v2
	v_dot4c_i32_i8_e32 v17, v10, v11
	v_and_b32_e32 v2, 0xf0f0f0f, v2
	v_dot4c_i32_i8_e32 v17, v2, v12
	v_lshrrev_b32_e32 v2, 4, v3
	v_and_b32_e32 v2, 0xf0f0f0f, v2
	v_dot4c_i32_i8_e32 v17, v2, v13
	v_lshrrev_b32_e32 v2, 4, v18
	;; [unrolled: 3-line block ×5, first 2 shown]
	v_bfe_u32 v14, v108, 16, 8
	v_and_b32_e32 v2, 0xf0f0f0f, v2
	v_cvt_f32_f16_sdwa v3, v25 dst_sel:DWORD dst_unused:UNUSED_PAD src0_sel:WORD_1
	v_mul_lo_u32 v14, v22, v14
	v_dot4c_i32_i8_e32 v17, v2, v9
	v_cvt_f32_i32_e32 v14, v14
	v_mul_f32_e32 v8, v141, v3
	v_cvt_f32_ubyte2_e32 v15, v109
	v_mul_lo_u32 v2, v17, v152
	v_cvt_f32_i32_e32 v6, v2
	v_cvt_f32_f16_e32 v2, v25
	v_fma_mix_f32 v8, v140, v25, -v8 op_sel_hi:[0,1,0]
	v_cvt_f32_ubyte3_e32 v7, v109
	v_add_f32_e32 v10, v27, v8
	v_pk_fma_f32 v[8:9], v[112:113], v[14:15], 0 op_sel_hi:[1,1,0]
	s_barrier
	v_pk_fma_f32 v[4:5], v[4:5], v[6:7], v[8:9]
	s_nop 0
	v_pk_mul_f32 v[2:3], v[4:5], v[2:3]
	s_nop 0
	v_sub_f32_e32 v2, v2, v3
	v_add_f32_e32 v27, v10, v2
	s_cbranch_scc1 .LBB232_5
; %bb.13:                               ;   in Loop: Header=BB232_6 Depth=1
	v_cmp_gt_i32_e64 s[2:3], s8, v51
	s_and_b64 s[12:13], s[0:1], s[2:3]
	s_and_saveexec_b64 s[2:3], s[12:13]
	s_cbranch_execz .LBB232_15
; %bb.14:                               ;   in Loop: Header=BB232_6 Depth=1
	v_add_u32_e32 v2, v60, v51
	v_mad_i64_i32 v[2:3], s[12:13], v2, 36, v[58:59]
	global_load_dword v2, v[2:3], off offset:4
	s_waitcnt vmcnt(0)
	ds_write_b32 v35, v2
.LBB232_15:                             ;   in Loop: Header=BB232_6 Depth=1
	s_or_b64 exec, exec, s[2:3]
	s_and_saveexec_b64 s[12:13], vcc
	s_cbranch_execz .LBB232_4
; %bb.16:                               ;   in Loop: Header=BB232_6 Depth=1
	v_add_u32_e32 v2, 4, v24
	v_cmp_gt_i32_e64 s[2:3], s8, v2
	s_and_b64 s[2:3], s[0:1], s[2:3]
	s_and_b64 exec, exec, s[2:3]
	s_cbranch_execz .LBB232_4
; %bb.17:                               ;   in Loop: Header=BB232_6 Depth=1
	v_ashrrev_i32_e32 v25, 31, v24
	v_lshl_add_u64 v[2:3], v[60:61], 0, v[24:25]
	v_mad_u64_u32 v[4:5], s[2:3], v2, 36, s[22:23]
	v_mad_i32_i24 v5, v3, 36, v5
	global_load_dword v2, v[4:5], off
	s_waitcnt vmcnt(0)
	ds_write_b32 v37, v2
	s_branch .LBB232_4
.LBB232_18:
	v_mov_b32_e32 v23, 0
	v_mov_b32_e32 v89, 0
	;; [unrolled: 1-line block ×3, first 2 shown]
.LBB232_19:
	s_mul_i32 s0, s10, s7
	s_waitcnt vmcnt(0)
	v_cmp_gt_i32_e32 vcc, s0, v1
	s_and_saveexec_b64 s[0:1], vcc
	s_cbranch_execz .LBB232_28
; %bb.20:
	v_and_b32_e32 v0, 0x3ff, v0
	v_add_u32_e32 v2, s11, v0
	v_mul_lo_u32 v0, v1, s9
	v_cmp_gt_u32_e32 vcc, s9, v2
	s_and_saveexec_b64 s[0:1], vcc
	s_cbranch_execz .LBB232_22
; %bb.21:
	v_bfe_u32 v1, v88, 16, 1
	s_movk_i32 s2, 0x7fff
	v_add3_u32 v1, v88, v1, s2
	v_lshrrev_b32_e32 v1, 16, v1
	v_mov_b32_e32 v3, 0x7fc0
	v_cmp_o_f32_e32 vcc, v88, v88
	v_add_u32_e32 v4, v0, v2
	v_mov_b32_e32 v5, 0
	v_cndmask_b32_e32 v1, v3, v1, vcc
	v_lshl_add_u64 v[4:5], v[4:5], 1, s[16:17]
	global_store_short v[4:5], v1, off
.LBB232_22:
	s_or_b64 exec, exec, s[0:1]
	v_add_u32_e32 v1, 32, v2
	v_cmp_gt_u32_e32 vcc, s9, v1
	s_and_saveexec_b64 s[0:1], vcc
	s_cbranch_execz .LBB232_24
; %bb.23:
	v_bfe_u32 v3, v89, 16, 1
	s_movk_i32 s2, 0x7fff
	v_add3_u32 v3, v89, v3, s2
	v_lshrrev_b32_e32 v3, 16, v3
	v_mov_b32_e32 v4, 0x7fc0
	v_cmp_o_f32_e32 vcc, v89, v89
	v_mov_b32_e32 v5, 0
	s_nop 0
	v_cndmask_b32_e32 v3, v4, v3, vcc
	v_add_u32_e32 v4, v0, v1
	v_lshl_add_u64 v[4:5], v[4:5], 1, s[16:17]
	global_store_short v[4:5], v3, off
.LBB232_24:
	s_or_b64 exec, exec, s[0:1]
	v_add_u32_e32 v1, 64, v2
	v_cmp_gt_u32_e32 vcc, s9, v1
	s_and_saveexec_b64 s[0:1], vcc
	s_cbranch_execz .LBB232_26
; %bb.25:
	v_bfe_u32 v3, v23, 16, 1
	s_movk_i32 s2, 0x7fff
	v_add3_u32 v3, v23, v3, s2
	v_lshrrev_b32_e32 v3, 16, v3
	v_mov_b32_e32 v4, 0x7fc0
	v_cmp_o_f32_e32 vcc, v23, v23
	v_mov_b32_e32 v5, 0
	s_nop 0
	v_cndmask_b32_e32 v3, v4, v3, vcc
	v_add_u32_e32 v4, v0, v1
	v_lshl_add_u64 v[4:5], v[4:5], 1, s[16:17]
	global_store_short v[4:5], v3, off
.LBB232_26:
	s_or_b64 exec, exec, s[0:1]
	v_add_u32_e32 v1, 0x60, v2
	v_cmp_gt_u32_e32 vcc, s9, v1
	s_and_b64 exec, exec, vcc
	s_cbranch_execz .LBB232_28
; %bb.27:
	v_bfe_u32 v2, v27, 16, 1
	s_movk_i32 s0, 0x7fff
	v_add3_u32 v2, v27, v2, s0
	v_lshrrev_b32_e32 v2, 16, v2
	v_mov_b32_e32 v3, 0x7fc0
	v_cmp_o_f32_e32 vcc, v27, v27
	v_add_u32_e32 v0, v0, v1
	v_mov_b32_e32 v1, 0
	v_cndmask_b32_e32 v2, v3, v2, vcc
	v_lshl_add_u64 v[0:1], v[0:1], 1, s[16:17]
	global_store_short v[0:1], v2, off
.LBB232_28:
	s_endpgm
	.section	.rodata,"a",@progbits
	.p2align	6, 0x0
	.amdhsa_kernel _ZL8moe_q4_KIN3c108BFloat16ELb1EEvPKvS3_PT_PKiS7_S7_iiiiiii
		.amdhsa_group_segment_fixed_size 20688
		.amdhsa_private_segment_fixed_size 0
		.amdhsa_kernarg_size 76
		.amdhsa_user_sgpr_count 2
		.amdhsa_user_sgpr_dispatch_ptr 0
		.amdhsa_user_sgpr_queue_ptr 0
		.amdhsa_user_sgpr_kernarg_segment_ptr 1
		.amdhsa_user_sgpr_dispatch_id 0
		.amdhsa_user_sgpr_kernarg_preload_length 0
		.amdhsa_user_sgpr_kernarg_preload_offset 0
		.amdhsa_user_sgpr_private_segment_size 0
		.amdhsa_uses_dynamic_stack 0
		.amdhsa_enable_private_segment 0
		.amdhsa_system_sgpr_workgroup_id_x 1
		.amdhsa_system_sgpr_workgroup_id_y 1
		.amdhsa_system_sgpr_workgroup_id_z 0
		.amdhsa_system_sgpr_workgroup_info 0
		.amdhsa_system_vgpr_workitem_id 1
		.amdhsa_next_free_vgpr 154
		.amdhsa_next_free_sgpr 32
		.amdhsa_accum_offset 156
		.amdhsa_reserve_vcc 1
		.amdhsa_float_round_mode_32 0
		.amdhsa_float_round_mode_16_64 0
		.amdhsa_float_denorm_mode_32 3
		.amdhsa_float_denorm_mode_16_64 3
		.amdhsa_dx10_clamp 1
		.amdhsa_ieee_mode 1
		.amdhsa_fp16_overflow 0
		.amdhsa_tg_split 0
		.amdhsa_exception_fp_ieee_invalid_op 0
		.amdhsa_exception_fp_denorm_src 0
		.amdhsa_exception_fp_ieee_div_zero 0
		.amdhsa_exception_fp_ieee_overflow 0
		.amdhsa_exception_fp_ieee_underflow 0
		.amdhsa_exception_fp_ieee_inexact 0
		.amdhsa_exception_int_div_zero 0
	.end_amdhsa_kernel
	.section	.text._ZL8moe_q4_KIN3c108BFloat16ELb1EEvPKvS3_PT_PKiS7_S7_iiiiiii,"axG",@progbits,_ZL8moe_q4_KIN3c108BFloat16ELb1EEvPKvS3_PT_PKiS7_S7_iiiiiii,comdat
.Lfunc_end232:
	.size	_ZL8moe_q4_KIN3c108BFloat16ELb1EEvPKvS3_PT_PKiS7_S7_iiiiiii, .Lfunc_end232-_ZL8moe_q4_KIN3c108BFloat16ELb1EEvPKvS3_PT_PKiS7_S7_iiiiiii
                                        ; -- End function
	.section	.AMDGPU.csdata,"",@progbits
; Kernel info:
; codeLenInByte = 10324
; NumSgprs: 38
; NumVgprs: 154
; NumAgprs: 0
; TotalNumVgprs: 154
; ScratchSize: 0
; MemoryBound: 0
; FloatMode: 240
; IeeeMode: 1
; LDSByteSize: 20688 bytes/workgroup (compile time only)
; SGPRBlocks: 4
; VGPRBlocks: 19
; NumSGPRsForWavesPerEU: 38
; NumVGPRsForWavesPerEU: 154
; AccumOffset: 156
; Occupancy: 3
; WaveLimiterHint : 1
; COMPUTE_PGM_RSRC2:SCRATCH_EN: 0
; COMPUTE_PGM_RSRC2:USER_SGPR: 2
; COMPUTE_PGM_RSRC2:TRAP_HANDLER: 0
; COMPUTE_PGM_RSRC2:TGID_X_EN: 1
; COMPUTE_PGM_RSRC2:TGID_Y_EN: 1
; COMPUTE_PGM_RSRC2:TGID_Z_EN: 0
; COMPUTE_PGM_RSRC2:TIDIG_COMP_CNT: 1
; COMPUTE_PGM_RSRC3_GFX90A:ACCUM_OFFSET: 38
; COMPUTE_PGM_RSRC3_GFX90A:TG_SPLIT: 0
	.section	.text._ZL8moe_q5_KIN3c108BFloat16ELb0EEvPKvS3_PT_PKiS7_S7_iiiiiii,"axG",@progbits,_ZL8moe_q5_KIN3c108BFloat16ELb0EEvPKvS3_PT_PKiS7_S7_iiiiiii,comdat
	.globl	_ZL8moe_q5_KIN3c108BFloat16ELb0EEvPKvS3_PT_PKiS7_S7_iiiiiii ; -- Begin function _ZL8moe_q5_KIN3c108BFloat16ELb0EEvPKvS3_PT_PKiS7_S7_iiiiiii
	.p2align	8
	.type	_ZL8moe_q5_KIN3c108BFloat16ELb0EEvPKvS3_PT_PKiS7_S7_iiiiiii,@function
_ZL8moe_q5_KIN3c108BFloat16ELb0EEvPKvS3_PT_PKiS7_S7_iiiiiii: ; @_ZL8moe_q5_KIN3c108BFloat16ELb0EEvPKvS3_PT_PKiS7_S7_iiiiiii
; %bb.0:
	s_load_dwordx4 s[4:7], s[0:1], 0x18
	s_mov_b32 s8, s3
	s_mov_b32 s9, 0
	s_lshl_b64 s[10:11], s[8:9], 2
	s_waitcnt lgkmcnt(0)
	s_add_u32 s6, s6, s10
	s_addc_u32 s7, s7, s11
	s_load_dword s3, s[6:7], 0x0
	s_waitcnt lgkmcnt(0)
	s_cmpk_gt_u32 s3, 0xff
	s_cbranch_scc1 .LBB233_28
; %bb.1:
	s_load_dwordx2 s[6:7], s[0:1], 0x28
	s_waitcnt lgkmcnt(0)
	s_load_dword s7, s[6:7], 0x0
	s_lshl_b32 s6, s8, 3
	s_waitcnt lgkmcnt(0)
	s_cmp_gt_u32 s6, s7
	s_cbranch_scc1 .LBB233_28
; %bb.2:
	v_bfe_u32 v4, v0, 10, 10
	v_mov_b32_e32 v2, s4
	v_mov_b32_e32 v3, s5
	v_add_u32_e32 v78, s6, v4
	v_mov_b32_e32 v79, 0
	v_lshl_add_u64 v[2:3], v[78:79], 2, v[2:3]
	global_load_dword v1, v[2:3], off
	s_load_dwordx2 s[14:15], s[0:1], 0x30
	s_load_dwordx2 s[12:13], s[0:1], 0x10
	s_load_dwordx4 s[4:7], s[0:1], 0x3c
	s_lshl_b32 s24, s2, 7
	s_mov_b32 s20, 0
	s_waitcnt lgkmcnt(0)
	s_cmpk_lt_i32 s15, 0x100
	s_cbranch_scc1 .LBB233_18
; %bb.3:
	s_load_dwordx4 s[8:11], s[0:1], 0x0
	s_ashr_i32 s0, s15, 31
	s_lshr_b32 s0, s0, 24
	s_add_i32 s0, s15, s0
	s_ashr_i32 s25, s0, 8
	s_ashr_i32 s0, s5, 31
	s_lshr_b32 s0, s0, 27
	v_and_b32_e32 v24, 0x3ff, v0
	s_add_i32 s0, s5, s0
	v_lshlrev_b32_e32 v6, 1, v24
	v_and_b32_e32 v9, 7, v24
	s_ashr_i32 s5, s0, 5
	v_and_or_b32 v6, v6, 48, v9
	v_mul_u32_u24_e32 v10, 0x41, v4
	s_lshl_b32 s0, s25, 3
	v_add_lshl_u32 v119, v6, v10, 2
	v_mov_b32_e32 v6, s0
	v_mad_i32_i24 v12, s25, v4, v6
	v_add_u32_e32 v13, s0, v12
	v_add_u32_e32 v14, s0, v13
	;; [unrolled: 1-line block ×10, first 2 shown]
	v_lshlrev_b32_e32 v6, 5, v4
	v_add_u32_e32 v79, s0, v25
	v_add_u32_e32 v10, v6, v24
	v_add_u32_e32 v84, s0, v79
	v_and_b32_e32 v11, 0x7f, v10
	v_lshrrev_b32_e32 v26, 3, v10
	v_add_u32_e32 v88, s0, v84
	v_mul_i32_i24_e32 v92, s25, v11
	v_and_b32_e32 v26, 12, v26
	v_lshlrev_b32_e32 v11, 2, v11
	s_mov_b32 s0, 0x8e40
	v_and_b32_e32 v27, 3, v24
	v_lshrrev_b32_e32 v8, 2, v24
	v_add3_u32 v135, v11, v26, s0
	v_lshlrev_b32_e32 v11, 3, v4
	v_add_u32_e32 v28, 0xfe, v27
	v_cmp_gt_u32_e32 vcc, 2, v27
	v_and_b32_e32 v78, 6, v8
	v_add_u32_e32 v26, v8, v11
	v_cndmask_b32_e32 v28, v28, v27, vcc
	v_add_u16_e32 v8, v8, v11
	s_mul_i32 s16, s3, s14
	v_and_b32_e32 v28, 0xff, v28
	v_cmp_ne_u32_e32 vcc, 0, v27
	v_cmp_lt_u32_e64 s[2:3], 1, v27
	v_and_b32_e32 v26, 0x7f, v26
	v_lshlrev_b32_e32 v27, 2, v27
	v_lshrrev_b16_e32 v8, 1, v8
	v_addc_co_u32_e32 v93, vcc, 0, v28, vcc
	v_lshlrev_b32_e32 v137, 1, v28
	v_lshl_or_b32 v28, v26, 4, v27
	v_and_b32_e32 v8, 60, v8
	s_mov_b32 s1, 0x8200
	v_add3_u32 v138, v28, v8, s1
	v_xor_b32_e32 v8, 64, v26
	v_mul_i32_i24_e32 v104, s25, v8
	v_lshl_or_b32 v11, v8, 4, v27
	v_lshrrev_b32_e32 v8, 1, v8
	v_and_b32_e32 v8, 60, v8
	v_add3_u32 v139, v11, v8, s1
	v_and_or_b32 v6, v24, 31, v6
	v_mov_b32_e32 v8, 0x8a40
	s_movk_i32 s1, 0xffe4
	v_lshlrev_b32_e32 v7, 2, v24
	v_lshl_add_u32 v140, v6, 2, v8
	v_mad_i32_i24 v6, v4, s1, v10
	v_mov_b32_e32 v10, 0x9050
	v_lshrrev_b32_e32 v142, 3, v24
	v_lshrrev_b32_e32 v5, 5, v24
	v_lshl_add_u32 v141, v6, 2, v10
	v_lshl_add_u32 v143, v4, 7, v8
	v_add_u32_e32 v6, v142, v7
	v_mov_b32_e32 v8, 0x8200
	v_lshl_add_u32 v145, v6, 2, v8
	v_lshlrev_b32_e32 v6, 2, v5
	v_add3_u32 v147, v6, v7, s0
	v_add_u32_e32 v6, 32, v24
	v_lshrrev_b32_e32 v148, 3, v6
	v_lshl_add_u32 v6, v6, 2, v148
	v_lshl_add_u32 v149, v6, 2, v8
	v_and_b32_e32 v6, 60, v148
	v_add3_u32 v150, v7, v6, s0
	v_add_u32_e32 v6, 64, v24
	v_lshrrev_b32_e32 v10, 3, v6
	v_lshl_add_u32 v6, v6, 2, v10
	s_abs_i32 s18, s7
	v_lshl_add_u32 v151, v6, 2, v8
	v_and_b32_e32 v6, 60, v10
	v_cvt_f32_u32_e32 v11, s18
	v_add3_u32 v152, v7, v6, s0
	v_add_u32_e32 v6, 0x60, v24
	v_lshrrev_b32_e32 v10, 3, v6
	v_lshl_add_u32 v6, v6, 2, v10
	v_lshl_add_u32 v153, v6, 2, v8
	v_rcp_iflag_f32_e32 v8, v11
	v_and_b32_e32 v6, 60, v10
	v_and_b32_e32 v22, 0x7c, v7
	;; [unrolled: 1-line block ×4, first 2 shown]
	v_add3_u32 v154, v7, v6, s0
	v_mul_f32_e32 v7, 0x4f7ffffe, v8
	v_cvt_u32_f32_e32 v7, v7
	s_sub_i32 s0, 0, s18
	s_waitcnt vmcnt(0)
	v_sub_u32_e32 v8, 0, v1
	v_max_i32_e32 v8, v1, v8
	v_mul_lo_u32 v10, s0, v7
	v_mul_hi_u32 v10, v7, v10
	v_add_u32_e32 v7, v7, v10
	v_mul_hi_u32 v7, v8, v7
	v_mul_lo_u32 v10, v7, s18
	v_sub_u32_e32 v8, v8, v10
	v_add_u32_e32 v10, 1, v7
	v_cmp_le_u32_e64 s[0:1], s18, v8
	v_xor_b32_e32 v6, s7, v1
	v_ashrrev_i32_e32 v6, 31, v6
	v_cndmask_b32_e64 v7, v7, v10, s[0:1]
	v_subrev_u32_e32 v10, s18, v8
	v_cndmask_b32_e64 v8, v8, v10, s[0:1]
	v_add_u32_e32 v10, 1, v7
	v_cmp_le_u32_e64 s[0:1], s18, v8
	s_mul_i32 s14, s25, s24
	s_mul_hi_i32 s23, s14, 0xb0
	v_cndmask_b32_e64 v7, v7, v10, s[0:1]
	v_xor_b32_e32 v7, v7, v6
	v_sub_u32_e32 v6, v7, v6
	s_mul_i32 s22, s14, 0xb0
	v_cmp_gt_i32_e64 s[0:1], s4, v6
	v_mul_lo_u32 v28, v6, s5
	s_movk_i32 s21, 0xb0
	v_mov_b64_e32 v[6:7], s[22:23]
	v_mov_b32_e32 v23, 0
	v_mul_i32_i24_e32 v9, s25, v4
	v_mad_u64_u32 v[6:7], s[26:27], v5, s21, v[6:7]
	v_mov_b32_e32 v3, v23
	v_mad_u64_u32 v[8:9], s[26:27], v9, s21, v[6:7]
	v_lshl_add_u64 v[10:11], v[8:9], 0, v[2:3]
	v_lshl_add_u64 v[8:9], v[8:9], 0, v[22:23]
	s_waitcnt lgkmcnt(0)
	v_lshl_add_u64 v[8:9], v[8:9], 0, s[8:9]
	v_lshl_add_u64 v[10:11], v[10:11], 0, s[8:9]
	v_lshl_add_u64 v[32:33], v[8:9], 0, 48
	v_mad_u64_u32 v[8:9], s[26:27], v12, s21, v[6:7]
	v_lshl_add_u64 v[30:31], v[10:11], 0, 16
	v_lshl_add_u64 v[10:11], v[8:9], 0, v[2:3]
	v_lshl_add_u64 v[8:9], v[8:9], 0, v[22:23]
	v_lshl_add_u64 v[8:9], v[8:9], 0, s[8:9]
	v_lshl_add_u64 v[10:11], v[10:11], 0, s[8:9]
	v_lshl_add_u64 v[36:37], v[8:9], 0, 48
	v_mad_u64_u32 v[8:9], s[26:27], v13, s21, v[6:7]
	v_lshl_add_u64 v[34:35], v[10:11], 0, 16
	v_lshl_add_u64 v[10:11], v[8:9], 0, v[2:3]
	v_lshl_add_u64 v[8:9], v[8:9], 0, v[22:23]
	;; [unrolled: 7-line block ×13, first 2 shown]
	v_lshl_add_u64 v[8:9], v[8:9], 0, s[8:9]
	v_lshl_add_u64 v[86:87], v[8:9], 0, 48
	v_mad_u64_u32 v[8:9], s[26:27], v88, s21, v[6:7]
	s_mul_i32 s26, s25, 0x78
	s_nop 0
	v_mov_b32_e32 v5, s26
	v_lshlrev_b32_e32 v144, 4, v4
	v_mad_i32_i24 v4, s25, v4, v5
	s_ashr_i32 s17, s16, 31
	v_lshl_add_u64 v[10:11], v[10:11], 0, s[8:9]
	v_mad_u64_u32 v[4:5], s[26:27], v4, s21, v[6:7]
	v_mul_i32_i24_e32 v100, s25, v26
	v_lshl_add_u64 v[26:27], s[10:11], 0, v[2:3]
	s_add_u32 s18, s10, 0x90
	v_lshl_add_u64 v[84:85], v[10:11], 0, 16
	v_lshl_add_u64 v[10:11], v[8:9], 0, v[2:3]
	v_lshl_add_u64 v[2:3], v[4:5], 0, v[2:3]
	s_addc_u32 s19, s11, 0
	v_lshl_add_u64 v[2:3], v[2:3], 0, s[8:9]
	v_lshl_add_u64 v[94:95], v[2:3], 0, 16
	;; [unrolled: 1-line block ×3, first 2 shown]
	s_add_u32 s22, s8, s22
	v_lshl_add_u64 v[2:3], v[2:3], 0, s[8:9]
	s_addc_u32 s23, s9, s23
	v_lshl_add_u64 v[96:97], v[2:3], 0, 48
	v_mov_b64_e32 v[2:3], s[22:23]
	v_mad_u64_u32 v[98:99], s[22:23], v92, s21, v[2:3]
	v_mad_u64_u32 v[2:3], s[22:23], v100, s21, 0
	v_mov_b32_e32 v6, 0xb0
	v_lshl_add_u64 v[8:9], v[8:9], 0, v[22:23]
	v_mad_i64_i32 v[2:3], s[22:23], s14, v6, v[2:3]
	v_lshlrev_b32_e32 v22, 2, v93
	v_lshl_add_u64 v[4:5], v[2:3], 0, v[22:23]
	v_lshl_add_u64 v[4:5], v[4:5], 0, s[8:9]
	;; [unrolled: 1-line block ×3, first 2 shown]
	v_cndmask_b32_e64 v4, 0, 1, s[2:3]
	v_lshlrev_b32_e32 v7, 2, v4
	v_or_b32_e32 v2, v2, v7
	v_lshl_add_u64 v[2:3], v[2:3], 0, s[8:9]
	v_cndmask_b32_e64 v136, 0, v29, s[2:3]
	v_lshl_add_u64 v[102:103], v[2:3], 0, 4
	v_mad_u64_u32 v[2:3], s[2:3], v104, s21, 0
	v_mad_i64_i32 v[2:3], s[2:3], s14, v6, v[2:3]
	v_lshl_add_u64 v[4:5], v[2:3], 0, v[22:23]
	v_or_b32_e32 v2, v2, v7
	v_lshl_add_u64 v[10:11], v[10:11], 0, s[8:9]
	v_lshl_add_u64 v[8:9], v[8:9], 0, s[8:9]
	;; [unrolled: 1-line block ×4, first 2 shown]
	s_mov_b32 s21, s20
	v_or_b32_e32 v118, 1, v78
	v_add_u32_e32 v120, 0x820, v119
	v_add_u32_e32 v121, 0x1040, v119
	;; [unrolled: 1-line block ×15, first 2 shown]
	v_cmp_gt_u32_e32 vcc, 4, v24
	v_mul_u32_u24_e32 v146, 0x104, v24
	v_ashrrev_i32_e32 v29, 31, v28
	v_lshl_add_u64 v[88:89], v[10:11], 0, 16
	v_lshl_add_u64 v[90:91], v[8:9], 0, 48
	;; [unrolled: 1-line block ×4, first 2 shown]
	s_movk_i32 s14, 0x80
	v_mov_b64_e32 v[92:93], s[20:21]
	s_mov_b32 s22, 0x10101010
	s_mov_b32 s23, 0x30303030
	s_mov_b64 s[8:9], 0xb0
	v_mov_b32_e32 v79, v23
	s_branch .LBB233_6
.LBB233_4:                              ;   in Loop: Header=BB233_6 Depth=1
	s_or_b64 exec, exec, s[20:21]
	s_waitcnt lgkmcnt(0)
	s_barrier
	ds_read_b128 v[18:21], v143
	ds_read_b128 v[14:17], v143 offset:16
	ds_read_b128 v[2:5], v144 offset:36944
	ds_read2_b32 v[108:109], v146 offset0:32 offset1:33
	ds_read_b128 v[10:13], v143 offset:32
	ds_read_b128 v[6:9], v143 offset:48
	ds_read_b32 v22, v147
	ds_read2_b32 v[110:111], v146 offset0:34 offset1:35
	v_mov_b32_e32 v25, 0
	s_waitcnt lgkmcnt(4)
	v_dot4c_i32_i8_e32 v25, v108, v18
	v_dot4c_i32_i8_e32 v25, v109, v19
	ds_read2_b32 v[112:113], v146 offset0:36 offset1:37
	ds_read2_b32 v[114:115], v146 offset0:38 offset1:39
	;; [unrolled: 1-line block ×3, first 2 shown]
	s_waitcnt lgkmcnt(3)
	v_dot4c_i32_i8_e32 v25, v110, v20
	v_dot4c_i32_i8_e32 v25, v111, v21
	ds_read2_b32 v[110:111], v146 offset0:42 offset1:43
	v_mov_b32_e32 v163, 0
	s_waitcnt lgkmcnt(3)
	v_dot4c_i32_i8_e32 v25, v112, v14
	s_waitcnt lgkmcnt(1)
	v_dot4c_i32_i8_e32 v163, v116, v10
	v_dot4c_i32_i8_e32 v25, v113, v15
	v_dot4c_i32_i8_e32 v163, v117, v11
	v_dot4c_i32_i8_e32 v25, v114, v16
	s_waitcnt lgkmcnt(0)
	v_dot4c_i32_i8_e32 v163, v110, v12
	v_cvt_f32_f16_e32 v162, v22
	v_cvt_f32_f16_sdwa v164, v22 dst_sel:DWORD dst_unused:UNUSED_PAD src0_sel:WORD_1
	v_add_u32_e32 v22, 0x2100, v146
	ds_read2_b32 v[108:109], v145 offset0:1 offset1:3
	v_dot4c_i32_i8_e32 v25, v115, v17
	ds_read2_b32 v[112:113], v146 offset0:44 offset1:45
	ds_read2_b32 v[114:115], v146 offset0:46 offset1:47
	;; [unrolled: 1-line block ×3, first 2 shown]
	v_dot4c_i32_i8_e32 v163, v111, v13
	ds_read2_b32 v[156:157], v146 offset0:58 offset1:59
	ds_read2_b32 v[158:159], v146 offset0:60 offset1:61
	;; [unrolled: 1-line block ×3, first 2 shown]
	ds_read2_b32 v[110:111], v22 offset1:1
	v_mov_b32_e32 v165, 0
	ds_read_b32 v174, v150 offset:128
	ds_read_b32 v175, v152 offset:256
	;; [unrolled: 1-line block ×3, first 2 shown]
	s_waitcnt lgkmcnt(9)
	v_dot4c_i32_i8_e32 v163, v112, v6
	v_dot4c_i32_i8_e32 v163, v113, v7
	s_waitcnt lgkmcnt(3)
	v_dot4c_i32_i8_e32 v165, v110, v18
	v_add_u32_e32 v110, 0x2108, v146
	v_dot4c_i32_i8_e32 v165, v111, v19
	ds_read2_b32 v[110:111], v110 offset1:1
	v_dot4c_i32_i8_e32 v163, v114, v8
	v_add_u32_e32 v112, 0x2110, v146
	v_dot4c_i32_i8_e32 v163, v115, v9
	v_add_u32_e32 v114, 0x2118, v146
	v_add_u32_e32 v115, 0x2120, v146
	ds_read2_b32 v[112:113], v112 offset1:1
	ds_read2_b32 v[166:167], v114 offset1:1
	;; [unrolled: 1-line block ×3, first 2 shown]
	s_waitcnt lgkmcnt(3)
	v_dot4c_i32_i8_e32 v165, v110, v20
	ds_read2_b32 v[114:115], v149 offset0:1 offset1:3
	v_dot4c_i32_i8_e32 v165, v111, v21
	s_waitcnt lgkmcnt(3)
	v_dot4c_i32_i8_e32 v165, v112, v14
	v_dot4c_i32_i8_e32 v165, v113, v15
	s_waitcnt lgkmcnt(2)
	v_dot4c_i32_i8_e32 v165, v166, v16
	v_dot4c_i32_i8_e32 v165, v167, v17
	s_waitcnt lgkmcnt(0)
	v_and_b32_e32 v110, 0xff, v114
	v_mov_b32_e32 v170, 0
	v_dot4c_i32_i8_e32 v170, v168, v10
	v_mul_lo_u32 v110, v165, v110
	v_cvt_f32_i32_e32 v165, v110
	v_add_u32_e32 v110, 0x2128, v146
	ds_read2_b32 v[110:111], v110 offset1:1
	v_add_u32_e32 v112, 0x2130, v146
	v_add_u32_e32 v166, 0x2138, v146
	;; [unrolled: 1-line block ×3, first 2 shown]
	v_dot4c_i32_i8_e32 v170, v169, v11
	ds_read2_b32 v[112:113], v112 offset1:1
	ds_read2_b32 v[166:167], v166 offset1:1
	;; [unrolled: 1-line block ×3, first 2 shown]
	s_waitcnt lgkmcnt(3)
	v_dot4c_i32_i8_e32 v170, v110, v12
	v_dot4c_i32_i8_e32 v170, v111, v13
	s_waitcnt lgkmcnt(2)
	v_dot4c_i32_i8_e32 v170, v112, v6
	v_dot4c_i32_i8_e32 v170, v113, v7
	;; [unrolled: 3-line block ×3, first 2 shown]
	v_bfe_u32 v110, v114, 8, 8
	v_mov_b32_e32 v172, 0
	s_waitcnt lgkmcnt(0)
	v_dot4c_i32_i8_e32 v172, v168, v18
	v_mul_lo_u32 v110, v170, v110
	v_cvt_f32_i32_e32 v178, v110
	v_add_u32_e32 v110, 0x4188, v146
	ds_read2_b32 v[110:111], v110 offset1:1
	v_add_u32_e32 v112, 0x4190, v146
	v_add_u32_e32 v170, 0x41a0, v146
	v_dot4c_i32_i8_e32 v172, v169, v19
	v_add_u32_e32 v113, 0x4198, v146
	ds_read2_b32 v[166:167], v112 offset1:1
	ds_read2_b32 v[168:169], v113 offset1:1
	;; [unrolled: 1-line block ×3, first 2 shown]
	s_waitcnt lgkmcnt(3)
	v_dot4c_i32_i8_e32 v172, v110, v20
	ds_read2_b32 v[112:113], v151 offset0:1 offset1:3
	v_dot4c_i32_i8_e32 v172, v111, v21
	s_waitcnt lgkmcnt(3)
	v_dot4c_i32_i8_e32 v172, v166, v14
	v_dot4c_i32_i8_e32 v172, v167, v15
	s_waitcnt lgkmcnt(2)
	v_dot4c_i32_i8_e32 v172, v168, v16
	v_dot4c_i32_i8_e32 v172, v169, v17
	s_waitcnt lgkmcnt(0)
	v_and_b32_e32 v110, 0xff, v112
	v_add_u32_e32 v166, 0x41b0, v146
	v_add_u32_e32 v168, 0x41b8, v146
	v_mul_lo_u32 v110, v172, v110
	v_cvt_f32_i32_e32 v181, v110
	v_add_u32_e32 v110, 0x41a8, v146
	ds_read2_b32 v[110:111], v110 offset1:1
	v_mov_b32_e32 v172, 0
	v_dot4c_i32_i8_e32 v172, v170, v10
	v_add_u32_e32 v170, 0x6200, v146
	v_dot4c_i32_i8_e32 v172, v171, v11
	ds_read2_b32 v[166:167], v166 offset1:1
	ds_read2_b32 v[168:169], v168 offset1:1
	;; [unrolled: 1-line block ×3, first 2 shown]
	s_waitcnt lgkmcnt(3)
	v_dot4c_i32_i8_e32 v172, v110, v12
	v_dot4c_i32_i8_e32 v172, v111, v13
	s_waitcnt lgkmcnt(2)
	v_dot4c_i32_i8_e32 v172, v166, v6
	v_dot4c_i32_i8_e32 v172, v167, v7
	;; [unrolled: 3-line block ×3, first 2 shown]
	v_bfe_u32 v110, v112, 8, 8
	v_add_u32_e32 v111, 0x6218, v146
	v_mov_b32_e32 v190, 0
	v_mul_lo_u32 v110, v172, v110
	v_mov_b32_e32 v172, 0
	s_waitcnt lgkmcnt(0)
	v_dot4c_i32_i8_e32 v172, v170, v18
	v_add_u32_e32 v18, 0x6208, v146
	v_dot4c_i32_i8_e32 v172, v171, v19
	ds_read2_b32 v[18:19], v18 offset1:1
	v_cvt_f32_i32_e32 v183, v110
	v_add_u32_e32 v110, 0x6210, v146
	v_add_u32_e32 v170, 0x6220, v146
	ds_read2_b32 v[166:167], v110 offset1:1
	ds_read2_b32 v[168:169], v111 offset1:1
	;; [unrolled: 1-line block ×3, first 2 shown]
	s_waitcnt lgkmcnt(3)
	v_dot4c_i32_i8_e32 v172, v18, v20
	ds_read2_b32 v[110:111], v153 offset0:1 offset1:3
	v_dot4c_i32_i8_e32 v172, v19, v21
	s_waitcnt lgkmcnt(3)
	v_dot4c_i32_i8_e32 v172, v166, v14
	v_mov_b32_e32 v18, 0
	v_dot4c_i32_i8_e32 v172, v167, v15
	s_waitcnt lgkmcnt(1)
	v_dot4c_i32_i8_e32 v18, v170, v10
	v_add_u32_e32 v10, 0x6228, v146
	v_dot4c_i32_i8_e32 v172, v168, v16
	v_dot4c_i32_i8_e32 v18, v171, v11
	ds_read2_b32 v[10:11], v10 offset1:1
	v_dot4c_i32_i8_e32 v172, v169, v17
	s_waitcnt lgkmcnt(1)
	v_and_b32_e32 v14, 0xff, v110
	v_add_u32_e32 v16, 0x6238, v146
	v_add_u32_e32 v19, 0x2140, v146
	v_mul_lo_u32 v14, v172, v14
	v_cvt_f32_i32_e32 v186, v14
	v_add_u32_e32 v14, 0x6230, v146
	ds_read2_b32 v[14:15], v14 offset1:1
	ds_read2_b32 v[16:17], v16 offset1:1
	;; [unrolled: 1-line block ×3, first 2 shown]
	s_waitcnt lgkmcnt(3)
	v_dot4c_i32_i8_e32 v18, v10, v12
	v_dot4c_i32_i8_e32 v18, v11, v13
	s_waitcnt lgkmcnt(2)
	v_dot4c_i32_i8_e32 v18, v14, v6
	v_dot4c_i32_i8_e32 v18, v15, v7
	;; [unrolled: 3-line block ×3, first 2 shown]
	v_bfe_u32 v6, v110, 8, 8
	v_lshrrev_b32_e32 v155, 24, v108
	v_cvt_f32_ubyte0_e32 v177, v115
	v_mul_lo_u32 v6, v18, v6
	v_cvt_f32_i32_e32 v188, v6
	ds_read_b128 v[18:21], v143 offset:64
	ds_read_b128 v[14:17], v143 offset:80
	;; [unrolled: 1-line block ×4, first 2 shown]
	ds_read2_b32 v[168:169], v146 offset0:50 offset1:51
	s_waitcnt lgkmcnt(4)
	v_dot4c_i32_i8_e32 v190, v116, v18
	v_dot4c_i32_i8_e32 v190, v117, v19
	ds_read2_b32 v[116:117], v146 offset0:52 offset1:53
	ds_read2_b32 v[170:171], v146 offset0:54 offset1:55
	;; [unrolled: 1-line block ×3, first 2 shown]
	v_cvt_f32_ubyte0_e32 v182, v113
	s_waitcnt lgkmcnt(3)
	v_dot4c_i32_i8_e32 v190, v168, v20
	v_mov_b32_e32 v168, 0
	v_dot4c_i32_i8_e32 v190, v169, v21
	s_waitcnt lgkmcnt(0)
	v_dot4c_i32_i8_e32 v168, v172, v10
	v_dot4c_i32_i8_e32 v168, v173, v11
	;; [unrolled: 1-line block ×10, first 2 shown]
	v_cvt_f32_f16_e32 v157, v4
	v_cvt_f32_f16_sdwa v117, v4 dst_sel:DWORD dst_unused:UNUSED_PAD src0_sel:WORD_1
	v_and_b32_e32 v4, 0xff, v108
	v_bfe_u32 v158, v108, 16, 8
	v_dot4c_i32_i8_e32 v168, v160, v8
	v_mul_lo_u32 v4, v25, v4
	v_mul_lo_u32 v25, v190, v158
	v_dot4c_i32_i8_e32 v168, v161, v9
	v_cvt_f32_i32_e32 v161, v25
	v_bfe_u32 v25, v108, 8, 8
	v_cvt_f32_f16_e32 v156, v2
	v_cvt_f32_i32_e32 v160, v4
	v_mul_lo_u32 v25, v163, v25
	v_mul_lo_u32 v108, v168, v155
	v_cvt_f32_f16_sdwa v116, v2 dst_sel:DWORD dst_unused:UNUSED_PAD src0_sel:WORD_1
	v_cvt_f32_f16_e32 v159, v5
	v_cvt_f32_f16_e32 v158, v3
	v_cvt_f32_i32_e32 v169, v108
	v_cvt_f32_i32_e32 v168, v25
	v_cvt_f32_f16_sdwa v5, v5 dst_sel:DWORD dst_unused:UNUSED_PAD src0_sel:WORD_1
	v_cvt_f32_f16_sdwa v4, v3 dst_sel:DWORD dst_unused:UNUSED_PAD src0_sel:WORD_1
	v_pk_fma_f32 v[160:161], v[156:157], v[160:161], 0 op_sel_hi:[1,1,0]
	v_cvt_f32_ubyte2_e32 v171, v109
	v_cvt_f32_ubyte0_e32 v170, v109
	v_cvt_f32_ubyte0_e32 v187, v111
	v_pk_fma_f32 v[170:171], v[116:117], v[170:171], 0 op_sel_hi:[1,1,0]
	v_pk_fma_f32 v[160:161], v[158:159], v[168:169], v[160:161]
	v_cvt_f32_ubyte3_e32 v169, v109
	v_cvt_f32_ubyte1_e32 v168, v109
	v_fma_mix_f32 v116, v2, v181, 0 op_sel_hi:[1,0,0]
	v_cvt_f32_ubyte1_e32 v189, v111
	v_pk_fma_f32 v[108:109], v[4:5], v[168:169], v[170:171]
	v_fma_mix_f32 v4, v2, v165, 0 op_sel_hi:[1,0,0]
	v_fma_mix_f32 v25, v2, v177, 0 op_sel:[1,0,0] op_sel_hi:[1,0,0]
	v_fma_mix_f32 v155, v2, v182, 0 op_sel:[1,0,0] op_sel_hi:[1,0,0]
	v_fma_mix_f32 v168, v3, v183, v116 op_sel_hi:[1,0,0]
	v_fma_mix_f32 v116, v2, v186, 0 op_sel_hi:[1,0,0]
	v_fma_mix_f32 v2, v2, v187, 0 op_sel:[1,0,0] op_sel_hi:[1,0,0]
	v_cvt_f32_ubyte1_e32 v179, v115
	v_cvt_f32_ubyte1_e32 v184, v113
	v_fma_mix_f32 v170, v3, v189, v2 op_sel:[1,0,0] op_sel_hi:[1,0,0]
	v_add_u32_e32 v2, 0x2148, v146
	v_fma_mix_f32 v4, v3, v178, v4 op_sel_hi:[1,0,0]
	v_fma_mix_f32 v25, v3, v179, v25 op_sel:[1,0,0] op_sel_hi:[1,0,0]
	v_fma_mix_f32 v155, v3, v184, v155 op_sel:[1,0,0] op_sel_hi:[1,0,0]
	v_fma_mix_f32 v169, v3, v188, v116 op_sel_hi:[1,0,0]
	ds_read2_b32 v[2:3], v2 offset1:1
	v_mov_b32_e32 v116, 0
	v_pk_mul_f32 v[108:109], v[108:109], v[164:165] op_sel_hi:[1,0]
	v_dot4c_i32_i8_e32 v116, v166, v18
	v_add_u32_e32 v156, 0x2150, v146
	v_add_u32_e32 v164, 0x2160, v146
	v_pk_fma_f32 v[108:109], v[160:161], v[162:163], v[108:109] op_sel_hi:[1,0,1] neg_lo:[0,0,1] neg_hi:[0,0,1]
	v_dot4c_i32_i8_e32 v116, v167, v19
	v_add_u32_e32 v158, 0x2158, v146
	ds_read2_b32 v[160:161], v156 offset1:1
	ds_read2_b32 v[162:163], v158 offset1:1
	;; [unrolled: 1-line block ×3, first 2 shown]
	s_waitcnt lgkmcnt(3)
	v_dot4c_i32_i8_e32 v116, v2, v20
	v_dot4c_i32_i8_e32 v116, v3, v21
	s_waitcnt lgkmcnt(2)
	v_dot4c_i32_i8_e32 v116, v160, v14
	v_dot4c_i32_i8_e32 v116, v161, v15
	;; [unrolled: 3-line block ×3, first 2 shown]
	v_bfe_u32 v2, v114, 16, 8
	v_lshrrev_b32_e32 v176, 24, v114
	v_mov_b32_e32 v114, 0
	v_mul_lo_u32 v2, v116, v2
	v_add_u32_e32 v116, 0x2168, v146
	ds_read2_b32 v[160:161], v116 offset1:1
	s_waitcnt lgkmcnt(1)
	v_dot4c_i32_i8_e32 v114, v164, v10
	v_add_u32_e32 v156, 0x2170, v146
	v_dot4c_i32_i8_e32 v114, v165, v11
	v_add_u32_e32 v158, 0x2178, v146
	v_add_u32_e32 v116, 0x41c0, v146
	ds_read2_b32 v[162:163], v156 offset1:1
	ds_read2_b32 v[164:165], v158 offset1:1
	;; [unrolled: 1-line block ×3, first 2 shown]
	s_waitcnt lgkmcnt(3)
	v_dot4c_i32_i8_e32 v114, v160, v12
	v_dot4c_i32_i8_e32 v114, v161, v13
	s_waitcnt lgkmcnt(2)
	v_dot4c_i32_i8_e32 v114, v162, v6
	v_dot4c_i32_i8_e32 v114, v163, v7
	;; [unrolled: 3-line block ×3, first 2 shown]
	v_cvt_f32_f16_sdwa v161, v174 dst_sel:DWORD dst_unused:UNUSED_PAD src0_sel:WORD_1
	v_cvt_f32_i32_e32 v2, v2
	v_cvt_f32_f16_e32 v160, v174
	v_mul_lo_u32 v114, v114, v176
	v_cvt_f32_i32_e32 v114, v114
	v_cvt_f32_ubyte2_e32 v3, v115
	v_mul_f32_e32 v25, v25, v161
	v_mov_b32_e32 v116, v157
	v_cvt_f32_ubyte3_e32 v115, v115
	v_fma_mix_f32 v163, v4, v174, -v25 op_sel_hi:[0,1,0]
	v_pk_fma_f32 v[2:3], v[116:117], v[2:3], 0 op_sel_hi:[1,1,0]
	v_mov_b32_e32 v4, v159
	v_pk_fma_f32 v[2:3], v[4:5], v[114:115], v[2:3]
	v_mov_b32_e32 v162, v108
	v_pk_mul_f32 v[114:115], v[2:3], v[160:161]
	v_pk_add_f32 v[92:93], v[92:93], v[162:163]
	v_mov_b32_e32 v25, v114
	v_pk_fma_f32 v[2:3], v[2:3], v[160:161], v[24:25] neg_lo:[1,0,0] neg_hi:[1,0,0]
	v_mov_b32_e32 v25, 0
	v_mov_b32_e32 v2, v109
	v_pk_add_f32 v[92:93], v[92:93], v[2:3]
	v_add_u32_e32 v2, 0x41c8, v146
	ds_read2_b32 v[2:3], v2 offset1:1
	s_waitcnt lgkmcnt(1)
	v_dot4c_i32_i8_e32 v25, v166, v18
	v_add_u32_e32 v108, 0x41d0, v146
	v_add_u32_e32 v114, 0x41d8, v146
	;; [unrolled: 1-line block ×3, first 2 shown]
	v_dot4c_i32_i8_e32 v25, v167, v19
	ds_read2_b32 v[108:109], v108 offset1:1
	ds_read2_b32 v[114:115], v114 offset1:1
	;; [unrolled: 1-line block ×3, first 2 shown]
	s_waitcnt lgkmcnt(3)
	v_dot4c_i32_i8_e32 v25, v2, v20
	v_dot4c_i32_i8_e32 v25, v3, v21
	s_waitcnt lgkmcnt(2)
	v_dot4c_i32_i8_e32 v25, v108, v14
	v_dot4c_i32_i8_e32 v25, v109, v15
	v_add_u32_e32 v108, 0x41e8, v146
	s_waitcnt lgkmcnt(1)
	v_dot4c_i32_i8_e32 v25, v114, v16
	ds_read2_b32 v[108:109], v108 offset1:1
	v_dot4c_i32_i8_e32 v25, v115, v17
	v_bfe_u32 v2, v112, 16, 8
	v_lshrrev_b32_e32 v180, 24, v112
	v_add_u32_e32 v112, 0x41f0, v146
	v_mul_lo_u32 v2, v25, v2
	v_mov_b32_e32 v25, 0
	s_waitcnt lgkmcnt(1)
	v_dot4c_i32_i8_e32 v25, v156, v10
	v_add_u32_e32 v156, 0x41f8, v146
	v_add_u32_e32 v158, 0x6240, v146
	v_dot4c_i32_i8_e32 v25, v157, v11
	ds_read2_b32 v[114:115], v112 offset1:1
	ds_read2_b32 v[156:157], v156 offset1:1
	;; [unrolled: 1-line block ×3, first 2 shown]
	s_waitcnt lgkmcnt(3)
	v_dot4c_i32_i8_e32 v25, v108, v12
	v_dot4c_i32_i8_e32 v25, v109, v13
	s_waitcnt lgkmcnt(2)
	v_dot4c_i32_i8_e32 v25, v114, v6
	v_dot4c_i32_i8_e32 v25, v115, v7
	;; [unrolled: 3-line block ×3, first 2 shown]
	v_cvt_f32_i32_e32 v2, v2
	v_cvt_f32_f16_sdwa v109, v175 dst_sel:DWORD dst_unused:UNUSED_PAD src0_sel:WORD_1
	v_cvt_f32_f16_e32 v108, v175
	v_mul_lo_u32 v25, v25, v180
	v_cvt_f32_i32_e32 v112, v25
	v_cvt_f32_ubyte2_e32 v3, v113
	v_cvt_f32_ubyte3_e32 v113, v113
	v_pk_fma_f32 v[2:3], v[116:117], v[2:3], 0 op_sel_hi:[1,1,0]
	v_mul_f32_e32 v25, v155, v109
	v_pk_fma_f32 v[2:3], v[4:5], v[112:113], v[2:3]
	v_fma_mix_f32 v25, v168, v175, -v25 op_sel_hi:[0,1,0]
	v_pk_mul_f32 v[2:3], v[2:3], v[108:109]
	v_add_f32_e32 v23, v23, v25
	v_sub_f32_e32 v2, v2, v3
	v_add_f32_e32 v23, v23, v2
	v_add_u32_e32 v2, 0x6248, v146
	ds_read2_b32 v[2:3], v2 offset1:1
	v_mov_b32_e32 v25, 0
	s_waitcnt lgkmcnt(1)
	v_dot4c_i32_i8_e32 v25, v158, v18
	v_add_u32_e32 v18, 0x6250, v146
	v_add_u32_e32 v108, 0x6258, v146
	;; [unrolled: 1-line block ×3, first 2 shown]
	v_dot4c_i32_i8_e32 v25, v159, v19
	ds_read2_b32 v[18:19], v18 offset1:1
	ds_read2_b32 v[108:109], v108 offset1:1
	;; [unrolled: 1-line block ×3, first 2 shown]
	s_waitcnt lgkmcnt(3)
	v_dot4c_i32_i8_e32 v25, v2, v20
	v_dot4c_i32_i8_e32 v25, v3, v21
	s_waitcnt lgkmcnt(2)
	v_dot4c_i32_i8_e32 v25, v18, v14
	v_mov_b32_e32 v18, 0
	s_waitcnt lgkmcnt(0)
	v_dot4c_i32_i8_e32 v18, v112, v10
	v_add_u32_e32 v10, 0x6268, v146
	v_dot4c_i32_i8_e32 v18, v113, v11
	ds_read2_b32 v[10:11], v10 offset1:1
	v_add_u32_e32 v14, 0x6270, v146
	v_dot4c_i32_i8_e32 v25, v19, v15
	ds_read2_b32 v[14:15], v14 offset1:1
	v_dot4c_i32_i8_e32 v25, v108, v16
	v_add_u32_e32 v16, 0x6278, v146
	v_dot4c_i32_i8_e32 v25, v109, v17
	ds_read2_b32 v[16:17], v16 offset1:1
	s_waitcnt lgkmcnt(2)
	v_dot4c_i32_i8_e32 v18, v10, v12
	v_dot4c_i32_i8_e32 v18, v11, v13
	s_waitcnt lgkmcnt(1)
	v_dot4c_i32_i8_e32 v18, v14, v6
	v_dot4c_i32_i8_e32 v18, v15, v7
	v_bfe_u32 v2, v110, 16, 8
	s_waitcnt lgkmcnt(0)
	v_dot4c_i32_i8_e32 v18, v16, v8
	v_lshrrev_b32_e32 v185, 24, v110
	v_mul_lo_u32 v2, v25, v2
	v_dot4c_i32_i8_e32 v18, v17, v9
	v_cvt_f32_i32_e32 v2, v2
	v_cvt_f32_f16_sdwa v7, v22 dst_sel:DWORD dst_unused:UNUSED_PAD src0_sel:WORD_1
	v_cvt_f32_ubyte2_e32 v3, v111
	v_mul_lo_u32 v6, v18, v185
	v_cvt_f32_i32_e32 v8, v6
	v_cvt_f32_f16_e32 v6, v22
	v_cvt_f32_ubyte3_e32 v9, v111
	v_pk_fma_f32 v[2:3], v[116:117], v[2:3], 0 op_sel_hi:[1,1,0]
	v_mul_f32_e32 v10, v170, v7
	v_pk_fma_f32 v[2:3], v[4:5], v[8:9], v[2:3]
	v_fma_mix_f32 v10, v169, v22, -v10 op_sel_hi:[0,1,0]
	v_pk_mul_f32 v[2:3], v[2:3], v[6:7]
	v_add_f32_e32 v10, v79, v10
	v_sub_f32_e32 v2, v2, v3
	v_add_f32_e32 v79, v10, v2
	s_barrier
.LBB233_5:                              ;   in Loop: Header=BB233_6 Depth=1
	s_add_i32 s25, s25, -1
	s_addk_i32 s14, 0x100
	v_add_u32_e32 v24, 8, v24
	v_add_u32_e32 v148, 8, v148
	;; [unrolled: 1-line block ×3, first 2 shown]
	v_lshl_add_u64 v[30:31], v[30:31], 0, s[8:9]
	v_lshl_add_u64 v[32:33], v[32:33], 0, s[8:9]
	v_lshl_add_u64 v[34:35], v[34:35], 0, s[8:9]
	v_lshl_add_u64 v[36:37], v[36:37], 0, s[8:9]
	v_lshl_add_u64 v[38:39], v[38:39], 0, s[8:9]
	v_lshl_add_u64 v[40:41], v[40:41], 0, s[8:9]
	v_lshl_add_u64 v[42:43], v[42:43], 0, s[8:9]
	v_lshl_add_u64 v[44:45], v[44:45], 0, s[8:9]
	v_lshl_add_u64 v[46:47], v[46:47], 0, s[8:9]
	v_lshl_add_u64 v[48:49], v[48:49], 0, s[8:9]
	v_lshl_add_u64 v[50:51], v[50:51], 0, s[8:9]
	v_lshl_add_u64 v[52:53], v[52:53], 0, s[8:9]
	v_lshl_add_u64 v[54:55], v[54:55], 0, s[8:9]
	v_lshl_add_u64 v[56:57], v[56:57], 0, s[8:9]
	v_lshl_add_u64 v[58:59], v[58:59], 0, s[8:9]
	v_lshl_add_u64 v[60:61], v[60:61], 0, s[8:9]
	v_lshl_add_u64 v[62:63], v[62:63], 0, s[8:9]
	v_lshl_add_u64 v[64:65], v[64:65], 0, s[8:9]
	v_lshl_add_u64 v[66:67], v[66:67], 0, s[8:9]
	v_lshl_add_u64 v[68:69], v[68:69], 0, s[8:9]
	v_lshl_add_u64 v[70:71], v[70:71], 0, s[8:9]
	v_lshl_add_u64 v[72:73], v[72:73], 0, s[8:9]
	v_lshl_add_u64 v[74:75], v[74:75], 0, s[8:9]
	v_lshl_add_u64 v[76:77], v[76:77], 0, s[8:9]
	v_lshl_add_u64 v[80:81], v[80:81], 0, s[8:9]
	v_lshl_add_u64 v[82:83], v[82:83], 0, s[8:9]
	v_lshl_add_u64 v[84:85], v[84:85], 0, s[8:9]
	v_lshl_add_u64 v[86:87], v[86:87], 0, s[8:9]
	v_lshl_add_u64 v[88:89], v[88:89], 0, s[8:9]
	v_lshl_add_u64 v[90:91], v[90:91], 0, s[8:9]
	v_lshl_add_u64 v[94:95], v[94:95], 0, s[8:9]
	v_lshl_add_u64 v[96:97], v[96:97], 0, s[8:9]
	v_lshl_add_u64 v[98:99], v[98:99], 0, s[8:9]
	v_lshl_add_u64 v[100:101], v[100:101], 0, s[8:9]
	v_lshl_add_u64 v[102:103], v[102:103], 0, s[8:9]
	v_lshl_add_u64 v[104:105], v[104:105], 0, s[8:9]
	s_cmp_eq_u32 s25, 0
	v_lshl_add_u64 v[106:107], v[106:107], 0, s[8:9]
	s_cbranch_scc1 .LBB233_19
.LBB233_6:                              ; =>This Inner Loop Header: Depth=1
	v_lshl_add_u64 v[2:3], v[32:33], 0, s[16:17]
	global_load_dword v12, v[2:3], off
	v_lshl_add_u64 v[2:3], v[30:31], 0, s[16:17]
	global_load_dword v13, v[2:3], off
	v_lshl_add_u64 v[2:3], v[36:37], 0, s[16:17]
	global_load_dword v14, v[2:3], off
	v_lshl_add_u64 v[2:3], v[34:35], 0, s[16:17]
	global_load_dword v15, v[2:3], off
	v_lshl_add_u64 v[2:3], v[40:41], 0, s[16:17]
	global_load_dword v16, v[2:3], off
	v_lshl_add_u64 v[2:3], v[38:39], 0, s[16:17]
	global_load_dword v17, v[2:3], off
	v_lshl_add_u64 v[2:3], v[44:45], 0, s[16:17]
	global_load_dword v18, v[2:3], off
	v_lshl_add_u64 v[2:3], v[42:43], 0, s[16:17]
	global_load_dword v19, v[2:3], off
	v_lshl_add_u64 v[2:3], v[48:49], 0, s[16:17]
	global_load_dword v20, v[2:3], off
	v_lshl_add_u64 v[2:3], v[46:47], 0, s[16:17]
	global_load_dword v21, v[2:3], off
	v_lshl_add_u64 v[2:3], v[52:53], 0, s[16:17]
	global_load_dword v22, v[2:3], off
	v_lshl_add_u64 v[2:3], v[50:51], 0, s[16:17]
	global_load_dword v25, v[2:3], off
	v_lshl_add_u64 v[2:3], v[56:57], 0, s[16:17]
	v_lshl_add_u64 v[4:5], v[54:55], 0, s[16:17]
	global_load_dword v108, v[2:3], off
	global_load_dword v109, v[4:5], off
	v_lshl_add_u64 v[6:7], v[60:61], 0, s[16:17]
	v_lshl_add_u64 v[8:9], v[58:59], 0, s[16:17]
	;; [unrolled: 1-line block ×5, first 2 shown]
	global_load_dword v6, v[6:7], off
	s_nop 0
	global_load_dword v7, v[8:9], off
	s_nop 0
	global_load_dword v8, v[2:3], off
	global_load_dword v9, v[10:11], off
	s_nop 0
	global_load_dword v4, v[4:5], off
	s_add_i32 s2, s14, 0xffffff80
	s_cmp_lt_i32 s2, s15
	s_waitcnt vmcnt(18)
	v_lshrrev_b32_e32 v3, 4, v12
	v_and_b32_e32 v2, 0xf0f0f0f, v12
	s_waitcnt vmcnt(17)
	v_ashrrev_i32_e32 v5, v78, v13
	v_ashrrev_i32_e32 v10, v118, v13
	s_waitcnt vmcnt(16)
	v_and_b32_e32 v11, 0xf0f0f0f, v14
	v_lshrrev_b32_e32 v12, 4, v14
	s_waitcnt vmcnt(15)
	v_ashrrev_i32_e32 v13, v78, v15
	v_ashrrev_i32_e32 v14, v118, v15
	s_waitcnt vmcnt(14)
	v_and_b32_e32 v15, 0xf0f0f0f, v16
	v_lshrrev_b32_e32 v16, 4, v16
	;; [unrolled: 6-line block ×3, first 2 shown]
	s_waitcnt vmcnt(11)
	v_ashrrev_i32_e32 v112, v78, v19
	v_ashrrev_i32_e32 v19, v118, v19
	v_and_b32_e32 v3, 0xf0f0f0f, v3
	v_lshlrev_b32_e32 v5, 4, v5
	v_lshlrev_b32_e32 v10, 4, v10
	s_waitcnt vmcnt(10)
	v_and_b32_e32 v113, 0xf0f0f0f, v20
	v_lshrrev_b32_e32 v20, 4, v20
	s_waitcnt vmcnt(9)
	v_ashrrev_i32_e32 v114, v78, v21
	v_ashrrev_i32_e32 v21, v118, v21
	v_and_b32_e32 v12, 0xf0f0f0f, v12
	v_lshlrev_b32_e32 v13, 4, v13
	v_lshlrev_b32_e32 v14, 4, v14
	v_and_b32_e32 v16, 0xf0f0f0f, v16
	v_lshlrev_b32_e32 v110, 4, v110
	v_lshlrev_b32_e32 v17, 4, v17
	;; [unrolled: 3-line block ×3, first 2 shown]
	v_and_or_b32 v2, v5, s22, v2
	v_and_or_b32 v3, v10, s22, v3
	v_and_b32_e32 v20, 0xf0f0f0f, v20
	v_lshlrev_b32_e32 v114, 4, v114
	v_lshlrev_b32_e32 v21, 4, v21
	v_and_or_b32 v5, v13, s22, v11
	v_and_or_b32 v10, v14, s22, v12
	;; [unrolled: 1-line block ×6, first 2 shown]
	ds_write2_b32 v119, v2, v3 offset1:8
	ds_write2_b32 v120, v5, v10 offset1:8
	;; [unrolled: 1-line block ×4, first 2 shown]
	v_lshl_add_u64 v[2:3], v[66:67], 0, s[16:17]
	v_and_or_b32 v5, v114, s22, v113
	global_load_dword v10, v[2:3], off
	v_and_or_b32 v2, v21, s22, v20
	ds_write2_b32 v123, v5, v2 offset1:8
	s_waitcnt vmcnt(9)
	v_lshrrev_b32_e32 v2, 4, v22
	v_and_b32_e32 v11, 0xf0f0f0f, v2
	v_lshl_add_u64 v[2:3], v[72:73], 0, s[16:17]
	global_load_dword v12, v[2:3], off
	v_lshl_add_u64 v[2:3], v[70:71], 0, s[16:17]
	s_waitcnt vmcnt(9)
	v_ashrrev_i32_e32 v13, v78, v25
	global_load_dword v14, v[2:3], off
	v_ashrrev_i32_e32 v3, v118, v25
	v_and_b32_e32 v5, 0xf0f0f0f, v22
	v_lshlrev_b32_e32 v2, 4, v13
	v_lshlrev_b32_e32 v3, 4, v3
	v_and_or_b32 v5, v2, s22, v5
	v_and_or_b32 v11, v3, s22, v11
	v_lshl_add_u64 v[2:3], v[76:77], 0, s[16:17]
	global_load_dword v13, v[2:3], off
	v_lshl_add_u64 v[2:3], v[74:75], 0, s[16:17]
	ds_write2_b32 v124, v5, v11 offset1:8
	global_load_dword v5, v[2:3], off
	s_waitcnt vmcnt(11)
	v_lshrrev_b32_e32 v2, 4, v108
	v_and_b32_e32 v15, 0xf0f0f0f, v2
	s_waitcnt vmcnt(10)
	v_ashrrev_i32_e32 v2, v78, v109
	v_lshlrev_b32_e32 v16, 4, v2
	v_lshl_add_u64 v[2:3], v[82:83], 0, s[16:17]
	global_load_dword v17, v[2:3], off
	v_ashrrev_i32_e32 v18, v118, v109
	v_lshl_add_u64 v[2:3], v[80:81], 0, s[16:17]
	v_and_b32_e32 v11, 0xf0f0f0f, v108
	global_load_dword v19, v[2:3], off
	v_lshlrev_b32_e32 v2, 4, v18
	v_and_or_b32 v3, v16, s22, v11
	v_and_or_b32 v2, v2, s22, v15
	ds_write2_b32 v125, v3, v2 offset1:8
	v_lshl_add_u64 v[2:3], v[86:87], 0, s[16:17]
	global_load_dword v15, v[2:3], off
	v_lshl_add_u64 v[2:3], v[84:85], 0, s[16:17]
	global_load_dword v16, v[2:3], off
	s_waitcnt vmcnt(12)
	v_ashrrev_i32_e32 v2, v78, v7
	v_lshlrev_b32_e32 v18, 4, v2
	v_ashrrev_i32_e32 v2, v118, v7
	v_and_b32_e32 v11, 0xf0f0f0f, v6
	v_lshrrev_b32_e32 v6, 4, v6
	v_lshlrev_b32_e32 v7, 4, v2
	v_lshl_add_u64 v[2:3], v[90:91], 0, s[16:17]
	v_and_b32_e32 v6, 0xf0f0f0f, v6
	global_load_dword v20, v[2:3], off
	v_lshl_add_u64 v[2:3], v[88:89], 0, s[16:17]
	v_and_or_b32 v11, v18, s22, v11
	global_load_dword v18, v[2:3], off
	v_and_or_b32 v2, v7, s22, v6
	ds_write2_b32 v126, v11, v2 offset1:8
	s_waitcnt vmcnt(13)
	v_lshrrev_b32_e32 v2, 4, v8
	v_and_b32_e32 v7, 0xf0f0f0f, v2
	v_lshl_add_u64 v[2:3], v[96:97], 0, s[16:17]
	v_and_b32_e32 v6, 0xf0f0f0f, v8
	global_load_dword v8, v[2:3], off
	s_waitcnt vmcnt(13)
	v_ashrrev_i32_e32 v11, v78, v9
	v_lshl_add_u64 v[2:3], v[94:95], 0, s[16:17]
	global_load_dword v21, v[2:3], off
	v_lshlrev_b32_e32 v2, 4, v11
	v_ashrrev_i32_e32 v3, v118, v9
	v_lshlrev_b32_e32 v9, 4, v3
	v_and_or_b32 v6, v2, s22, v6
	v_lshl_add_u64 v[2:3], v[98:99], 0, s[16:17]
	global_load_dword v11, v[2:3], off
	v_lshl_add_u64 v[2:3], v[100:101], 0, s[16:17]
	global_load_dword v22, v[2:3], off
	;; [unrolled: 2-line block ×3, first 2 shown]
	v_lshl_add_u64 v[2:3], v[104:105], 0, s[16:17]
	v_and_or_b32 v7, v9, s22, v7
	global_load_dword v9, v[2:3], off
	v_lshl_add_u64 v[2:3], v[106:107], 0, s[16:17]
	global_load_dword v2, v[2:3], off
	ds_write2_b32 v127, v6, v7 offset1:8
	s_waitcnt vmcnt(18)
	v_and_b32_e32 v3, 0xf0f0f0f, v4
	v_lshrrev_b32_e32 v4, 4, v4
	v_and_b32_e32 v4, 0xf0f0f0f, v4
	s_waitcnt vmcnt(17)
	v_ashrrev_i32_e32 v6, v78, v10
	v_ashrrev_i32_e32 v7, v118, v10
	v_lshlrev_b32_e32 v6, 4, v6
	v_lshlrev_b32_e32 v7, 4, v7
	v_and_or_b32 v3, v6, s22, v3
	v_and_or_b32 v4, v7, s22, v4
	ds_write2_b32 v128, v3, v4 offset1:8
	s_waitcnt vmcnt(16)
	v_lshrrev_b32_e32 v4, 4, v12
	v_and_b32_e32 v3, 0xf0f0f0f, v12
	s_waitcnt vmcnt(15)
	v_ashrrev_i32_e32 v6, v78, v14
	v_ashrrev_i32_e32 v7, v118, v14
	v_and_b32_e32 v4, 0xf0f0f0f, v4
	v_lshlrev_b32_e32 v6, 4, v6
	v_lshlrev_b32_e32 v7, 4, v7
	v_and_or_b32 v3, v6, s22, v3
	v_and_or_b32 v4, v7, s22, v4
	ds_write2_b32 v129, v3, v4 offset1:8
	s_waitcnt vmcnt(14)
	v_lshrrev_b32_e32 v4, 4, v13
	v_and_b32_e32 v3, 0xf0f0f0f, v13
	v_and_b32_e32 v4, 0xf0f0f0f, v4
	s_waitcnt vmcnt(13)
	v_ashrrev_i32_e32 v6, v78, v5
	v_ashrrev_i32_e32 v5, v118, v5
	v_lshlrev_b32_e32 v6, 4, v6
	v_lshlrev_b32_e32 v5, 4, v5
	v_and_or_b32 v3, v6, s22, v3
	v_and_or_b32 v4, v5, s22, v4
	ds_write2_b32 v130, v3, v4 offset1:8
	s_waitcnt vmcnt(12)
	v_lshrrev_b32_e32 v4, 4, v17
	v_and_b32_e32 v3, 0xf0f0f0f, v17
	v_and_b32_e32 v4, 0xf0f0f0f, v4
	s_waitcnt vmcnt(11)
	v_ashrrev_i32_e32 v5, v78, v19
	v_ashrrev_i32_e32 v6, v118, v19
	v_lshlrev_b32_e32 v5, 4, v5
	v_lshlrev_b32_e32 v6, 4, v6
	v_and_or_b32 v3, v5, s22, v3
	v_and_or_b32 v4, v6, s22, v4
	ds_write2_b32 v131, v3, v4 offset1:8
	s_waitcnt vmcnt(10)
	v_lshrrev_b32_e32 v4, 4, v15
	s_waitcnt vmcnt(9)
	v_ashrrev_i32_e32 v5, v78, v16
	v_ashrrev_i32_e32 v6, v118, v16
	v_and_b32_e32 v3, 0xf0f0f0f, v15
	v_and_b32_e32 v4, 0xf0f0f0f, v4
	v_lshlrev_b32_e32 v5, 4, v5
	v_lshlrev_b32_e32 v6, 4, v6
	v_and_or_b32 v3, v5, s22, v3
	v_and_or_b32 v4, v6, s22, v4
	ds_write2_b32 v132, v3, v4 offset1:8
	s_waitcnt vmcnt(8)
	v_lshrrev_b32_e32 v4, 4, v20
	v_and_b32_e32 v3, 0xf0f0f0f, v20
	v_and_b32_e32 v4, 0xf0f0f0f, v4
	s_waitcnt vmcnt(7)
	v_ashrrev_i32_e32 v5, v78, v18
	v_ashrrev_i32_e32 v6, v118, v18
	v_lshlrev_b32_e32 v5, 4, v5
	v_lshlrev_b32_e32 v6, 4, v6
	v_and_or_b32 v3, v5, s22, v3
	v_and_or_b32 v4, v6, s22, v4
	ds_write2_b32 v133, v3, v4 offset1:8
	s_waitcnt vmcnt(6)
	v_lshrrev_b32_e32 v4, 4, v8
	v_and_b32_e32 v3, 0xf0f0f0f, v8
	v_and_b32_e32 v4, 0xf0f0f0f, v4
	s_waitcnt vmcnt(5)
	v_ashrrev_i32_e32 v5, v78, v21
	v_ashrrev_i32_e32 v6, v118, v21
	v_lshlrev_b32_e32 v5, 4, v5
	v_lshlrev_b32_e32 v6, 4, v6
	v_and_or_b32 v3, v5, s22, v3
	v_and_or_b32 v4, v6, s22, v4
	ds_write2_b32 v134, v3, v4 offset1:8
	s_waitcnt vmcnt(4)
	ds_write_b32 v135, v11
	s_waitcnt vmcnt(3)
	v_ashrrev_i32_e32 v3, v136, v22
	v_and_b32_e32 v3, 0xf0f0f0f, v3
	s_waitcnt vmcnt(2)
	v_ashrrev_i32_e32 v4, v137, v25
	v_and_or_b32 v3, v4, s23, v3
	ds_write_b32 v138, v3
	s_waitcnt vmcnt(1)
	v_ashrrev_i32_e32 v3, v136, v9
	v_and_b32_e32 v3, 0xf0f0f0f, v3
	s_waitcnt vmcnt(0)
	v_ashrrev_i32_e32 v2, v137, v2
	v_and_or_b32 v2, v2, s23, v3
	ds_write_b32 v139, v2
	s_cbranch_scc0 .LBB233_5
; %bb.7:                                ;   in Loop: Header=BB233_6 Depth=1
	v_cmp_gt_i32_e64 s[2:3], s5, v142
	s_and_b64 s[20:21], s[0:1], s[2:3]
	s_and_saveexec_b64 s[2:3], s[20:21]
	s_cbranch_execz .LBB233_9
; %bb.8:                                ;   in Loop: Header=BB233_6 Depth=1
	v_add_u32_e32 v2, v28, v142
	v_mad_i64_i32 v[2:3], s[20:21], v2, 36, v[26:27]
	global_load_dword v2, v[2:3], off offset:4
	s_waitcnt vmcnt(0)
	ds_write_b32 v140, v2
.LBB233_9:                              ;   in Loop: Header=BB233_6 Depth=1
	s_or_b64 exec, exec, s[2:3]
	s_and_saveexec_b64 s[20:21], vcc
	s_cbranch_execz .LBB233_12
; %bb.10:                               ;   in Loop: Header=BB233_6 Depth=1
	v_cmp_gt_i32_e64 s[2:3], s5, v24
	s_and_b64 s[2:3], s[0:1], s[2:3]
	s_and_b64 exec, exec, s[2:3]
	s_cbranch_execz .LBB233_12
; %bb.11:                               ;   in Loop: Header=BB233_6 Depth=1
	v_add_u32_e32 v2, v28, v24
	v_mad_i64_i32 v[2:3], s[2:3], v2, 36, s[10:11]
	global_load_dword v2, v[2:3], off
	s_waitcnt vmcnt(0)
	ds_write_b32 v141, v2
.LBB233_12:                             ;   in Loop: Header=BB233_6 Depth=1
	s_or_b64 exec, exec, s[20:21]
	s_waitcnt lgkmcnt(0)
	s_barrier
	ds_read_b128 v[18:21], v143
	ds_read_b128 v[14:17], v143 offset:16
	ds_read_b128 v[2:5], v144 offset:36944
	ds_read2_b32 v[108:109], v146 offset1:1
	ds_read_b128 v[10:13], v143 offset:32
	ds_read_b128 v[6:9], v143 offset:48
	ds_read_b32 v22, v147
	ds_read2_b32 v[110:111], v146 offset0:2 offset1:3
	v_mov_b32_e32 v25, 0
	s_waitcnt lgkmcnt(4)
	v_dot4c_i32_i8_e32 v25, v108, v18
	v_dot4c_i32_i8_e32 v25, v109, v19
	ds_read2_b32 v[112:113], v146 offset0:4 offset1:5
	ds_read2_b32 v[114:115], v146 offset0:6 offset1:7
	;; [unrolled: 1-line block ×3, first 2 shown]
	s_waitcnt lgkmcnt(3)
	v_dot4c_i32_i8_e32 v25, v110, v20
	v_dot4c_i32_i8_e32 v25, v111, v21
	ds_read2_b32 v[110:111], v146 offset0:10 offset1:11
	v_mov_b32_e32 v163, 0
	s_waitcnt lgkmcnt(3)
	v_dot4c_i32_i8_e32 v25, v112, v14
	s_waitcnt lgkmcnt(1)
	v_dot4c_i32_i8_e32 v163, v116, v10
	v_dot4c_i32_i8_e32 v25, v113, v15
	;; [unrolled: 1-line block ×4, first 2 shown]
	s_waitcnt lgkmcnt(0)
	v_dot4c_i32_i8_e32 v163, v110, v12
	v_cvt_f32_f16_e32 v162, v22
	v_cvt_f32_f16_sdwa v164, v22 dst_sel:DWORD dst_unused:UNUSED_PAD src0_sel:WORD_1
	v_add_u32_e32 v22, 0x2080, v146
	ds_read2_b32 v[108:109], v145 offset1:2
	v_dot4c_i32_i8_e32 v25, v115, v17
	ds_read2_b32 v[112:113], v146 offset0:12 offset1:13
	ds_read2_b32 v[114:115], v146 offset0:14 offset1:15
	ds_read2_b32 v[116:117], v146 offset0:16 offset1:17
	v_dot4c_i32_i8_e32 v163, v111, v13
	ds_read2_b32 v[156:157], v146 offset0:26 offset1:27
	ds_read2_b32 v[158:159], v146 offset0:28 offset1:29
	;; [unrolled: 1-line block ×3, first 2 shown]
	ds_read2_b32 v[110:111], v22 offset1:1
	v_mov_b32_e32 v165, 0
	ds_read_b32 v174, v150 offset:128
	ds_read_b32 v175, v152 offset:256
	ds_read_b32 v22, v154 offset:384
	s_waitcnt lgkmcnt(9)
	v_dot4c_i32_i8_e32 v163, v112, v6
	v_dot4c_i32_i8_e32 v163, v113, v7
	s_waitcnt lgkmcnt(3)
	v_dot4c_i32_i8_e32 v165, v110, v18
	v_add_u32_e32 v110, 0x2088, v146
	v_dot4c_i32_i8_e32 v165, v111, v19
	ds_read2_b32 v[110:111], v110 offset1:1
	v_dot4c_i32_i8_e32 v163, v114, v8
	v_add_u32_e32 v112, 0x2090, v146
	v_dot4c_i32_i8_e32 v163, v115, v9
	v_add_u32_e32 v114, 0x2098, v146
	v_add_u32_e32 v115, 0x20a0, v146
	ds_read2_b32 v[112:113], v112 offset1:1
	ds_read2_b32 v[166:167], v114 offset1:1
	;; [unrolled: 1-line block ×3, first 2 shown]
	s_waitcnt lgkmcnt(3)
	v_dot4c_i32_i8_e32 v165, v110, v20
	ds_read2_b32 v[114:115], v149 offset1:2
	v_dot4c_i32_i8_e32 v165, v111, v21
	s_waitcnt lgkmcnt(3)
	v_dot4c_i32_i8_e32 v165, v112, v14
	v_dot4c_i32_i8_e32 v165, v113, v15
	s_waitcnt lgkmcnt(2)
	v_dot4c_i32_i8_e32 v165, v166, v16
	v_dot4c_i32_i8_e32 v165, v167, v17
	s_waitcnt lgkmcnt(0)
	v_and_b32_e32 v110, 0xff, v114
	v_mov_b32_e32 v170, 0
	v_dot4c_i32_i8_e32 v170, v168, v10
	v_mul_lo_u32 v110, v165, v110
	v_cvt_f32_i32_e32 v165, v110
	v_add_u32_e32 v110, 0x20a8, v146
	ds_read2_b32 v[110:111], v110 offset1:1
	v_add_u32_e32 v112, 0x20b0, v146
	v_add_u32_e32 v166, 0x20b8, v146
	;; [unrolled: 1-line block ×3, first 2 shown]
	v_dot4c_i32_i8_e32 v170, v169, v11
	ds_read2_b32 v[112:113], v112 offset1:1
	ds_read2_b32 v[166:167], v166 offset1:1
	ds_read2_b32 v[168:169], v168 offset1:1
	s_waitcnt lgkmcnt(3)
	v_dot4c_i32_i8_e32 v170, v110, v12
	v_dot4c_i32_i8_e32 v170, v111, v13
	s_waitcnt lgkmcnt(2)
	v_dot4c_i32_i8_e32 v170, v112, v6
	v_dot4c_i32_i8_e32 v170, v113, v7
	;; [unrolled: 3-line block ×3, first 2 shown]
	v_bfe_u32 v110, v114, 8, 8
	v_mov_b32_e32 v172, 0
	s_waitcnt lgkmcnt(0)
	v_dot4c_i32_i8_e32 v172, v168, v18
	v_mul_lo_u32 v110, v170, v110
	v_cvt_f32_i32_e32 v178, v110
	v_add_u32_e32 v110, 0x4108, v146
	ds_read2_b32 v[110:111], v110 offset1:1
	v_add_u32_e32 v112, 0x4110, v146
	v_add_u32_e32 v170, 0x4120, v146
	v_dot4c_i32_i8_e32 v172, v169, v19
	v_add_u32_e32 v113, 0x4118, v146
	ds_read2_b32 v[166:167], v112 offset1:1
	ds_read2_b32 v[168:169], v113 offset1:1
	;; [unrolled: 1-line block ×3, first 2 shown]
	s_waitcnt lgkmcnt(3)
	v_dot4c_i32_i8_e32 v172, v110, v20
	ds_read2_b32 v[112:113], v151 offset1:2
	v_dot4c_i32_i8_e32 v172, v111, v21
	s_waitcnt lgkmcnt(3)
	v_dot4c_i32_i8_e32 v172, v166, v14
	v_dot4c_i32_i8_e32 v172, v167, v15
	s_waitcnt lgkmcnt(2)
	v_dot4c_i32_i8_e32 v172, v168, v16
	v_dot4c_i32_i8_e32 v172, v169, v17
	s_waitcnt lgkmcnt(0)
	v_and_b32_e32 v110, 0xff, v112
	v_add_u32_e32 v166, 0x4130, v146
	v_add_u32_e32 v168, 0x4138, v146
	v_mul_lo_u32 v110, v172, v110
	v_cvt_f32_i32_e32 v181, v110
	v_add_u32_e32 v110, 0x4128, v146
	ds_read2_b32 v[110:111], v110 offset1:1
	v_mov_b32_e32 v172, 0
	v_dot4c_i32_i8_e32 v172, v170, v10
	v_add_u32_e32 v170, 0x6180, v146
	v_dot4c_i32_i8_e32 v172, v171, v11
	ds_read2_b32 v[166:167], v166 offset1:1
	ds_read2_b32 v[168:169], v168 offset1:1
	ds_read2_b32 v[170:171], v170 offset1:1
	s_waitcnt lgkmcnt(3)
	v_dot4c_i32_i8_e32 v172, v110, v12
	v_dot4c_i32_i8_e32 v172, v111, v13
	s_waitcnt lgkmcnt(2)
	v_dot4c_i32_i8_e32 v172, v166, v6
	v_dot4c_i32_i8_e32 v172, v167, v7
	;; [unrolled: 3-line block ×3, first 2 shown]
	v_bfe_u32 v110, v112, 8, 8
	v_add_u32_e32 v111, 0x6198, v146
	v_mov_b32_e32 v190, 0
	v_mul_lo_u32 v110, v172, v110
	v_mov_b32_e32 v172, 0
	s_waitcnt lgkmcnt(0)
	v_dot4c_i32_i8_e32 v172, v170, v18
	v_add_u32_e32 v18, 0x6188, v146
	v_dot4c_i32_i8_e32 v172, v171, v19
	ds_read2_b32 v[18:19], v18 offset1:1
	v_cvt_f32_i32_e32 v183, v110
	v_add_u32_e32 v110, 0x6190, v146
	v_add_u32_e32 v170, 0x61a0, v146
	ds_read2_b32 v[166:167], v110 offset1:1
	ds_read2_b32 v[168:169], v111 offset1:1
	;; [unrolled: 1-line block ×3, first 2 shown]
	s_waitcnt lgkmcnt(3)
	v_dot4c_i32_i8_e32 v172, v18, v20
	ds_read2_b32 v[110:111], v153 offset1:2
	v_dot4c_i32_i8_e32 v172, v19, v21
	s_waitcnt lgkmcnt(3)
	v_dot4c_i32_i8_e32 v172, v166, v14
	v_mov_b32_e32 v18, 0
	v_dot4c_i32_i8_e32 v172, v167, v15
	s_waitcnt lgkmcnt(1)
	v_dot4c_i32_i8_e32 v18, v170, v10
	v_add_u32_e32 v10, 0x61a8, v146
	v_dot4c_i32_i8_e32 v172, v168, v16
	v_dot4c_i32_i8_e32 v18, v171, v11
	ds_read2_b32 v[10:11], v10 offset1:1
	v_dot4c_i32_i8_e32 v172, v169, v17
	s_waitcnt lgkmcnt(1)
	v_and_b32_e32 v14, 0xff, v110
	v_add_u32_e32 v16, 0x61b8, v146
	v_add_u32_e32 v19, 0x20c0, v146
	v_mul_lo_u32 v14, v172, v14
	v_cvt_f32_i32_e32 v186, v14
	v_add_u32_e32 v14, 0x61b0, v146
	ds_read2_b32 v[14:15], v14 offset1:1
	ds_read2_b32 v[16:17], v16 offset1:1
	;; [unrolled: 1-line block ×3, first 2 shown]
	s_waitcnt lgkmcnt(3)
	v_dot4c_i32_i8_e32 v18, v10, v12
	v_dot4c_i32_i8_e32 v18, v11, v13
	s_waitcnt lgkmcnt(2)
	v_dot4c_i32_i8_e32 v18, v14, v6
	v_dot4c_i32_i8_e32 v18, v15, v7
	;; [unrolled: 3-line block ×3, first 2 shown]
	v_bfe_u32 v6, v110, 8, 8
	v_lshrrev_b32_e32 v155, 24, v108
	v_cvt_f32_ubyte0_e32 v177, v115
	v_mul_lo_u32 v6, v18, v6
	v_cvt_f32_i32_e32 v188, v6
	ds_read_b128 v[18:21], v143 offset:64
	ds_read_b128 v[14:17], v143 offset:80
	;; [unrolled: 1-line block ×4, first 2 shown]
	ds_read2_b32 v[168:169], v146 offset0:18 offset1:19
	s_waitcnt lgkmcnt(4)
	v_dot4c_i32_i8_e32 v190, v116, v18
	v_dot4c_i32_i8_e32 v190, v117, v19
	ds_read2_b32 v[116:117], v146 offset0:20 offset1:21
	ds_read2_b32 v[170:171], v146 offset0:22 offset1:23
	;; [unrolled: 1-line block ×3, first 2 shown]
	v_cvt_f32_ubyte0_e32 v182, v113
	s_waitcnt lgkmcnt(3)
	v_dot4c_i32_i8_e32 v190, v168, v20
	v_mov_b32_e32 v168, 0
	v_dot4c_i32_i8_e32 v190, v169, v21
	s_waitcnt lgkmcnt(0)
	v_dot4c_i32_i8_e32 v168, v172, v10
	v_dot4c_i32_i8_e32 v168, v173, v11
	;; [unrolled: 1-line block ×10, first 2 shown]
	v_cvt_f32_f16_e32 v157, v4
	v_cvt_f32_f16_sdwa v117, v4 dst_sel:DWORD dst_unused:UNUSED_PAD src0_sel:WORD_1
	v_and_b32_e32 v4, 0xff, v108
	v_bfe_u32 v158, v108, 16, 8
	v_dot4c_i32_i8_e32 v168, v160, v8
	v_mul_lo_u32 v4, v25, v4
	v_mul_lo_u32 v25, v190, v158
	v_dot4c_i32_i8_e32 v168, v161, v9
	v_cvt_f32_i32_e32 v161, v25
	v_bfe_u32 v25, v108, 8, 8
	v_cvt_f32_f16_e32 v156, v2
	v_cvt_f32_i32_e32 v160, v4
	v_mul_lo_u32 v25, v163, v25
	v_mul_lo_u32 v108, v168, v155
	v_cvt_f32_f16_sdwa v116, v2 dst_sel:DWORD dst_unused:UNUSED_PAD src0_sel:WORD_1
	v_cvt_f32_f16_e32 v159, v5
	v_cvt_f32_f16_e32 v158, v3
	v_cvt_f32_i32_e32 v169, v108
	v_cvt_f32_i32_e32 v168, v25
	v_cvt_f32_f16_sdwa v5, v5 dst_sel:DWORD dst_unused:UNUSED_PAD src0_sel:WORD_1
	v_cvt_f32_f16_sdwa v4, v3 dst_sel:DWORD dst_unused:UNUSED_PAD src0_sel:WORD_1
	v_pk_fma_f32 v[160:161], v[156:157], v[160:161], 0 op_sel_hi:[1,1,0]
	v_cvt_f32_ubyte2_e32 v171, v109
	v_cvt_f32_ubyte0_e32 v170, v109
	v_cvt_f32_ubyte0_e32 v187, v111
	v_pk_fma_f32 v[170:171], v[116:117], v[170:171], 0 op_sel_hi:[1,1,0]
	v_pk_fma_f32 v[160:161], v[158:159], v[168:169], v[160:161]
	v_cvt_f32_ubyte3_e32 v169, v109
	v_cvt_f32_ubyte1_e32 v168, v109
	v_fma_mix_f32 v116, v2, v181, 0 op_sel_hi:[1,0,0]
	v_cvt_f32_ubyte1_e32 v189, v111
	v_pk_fma_f32 v[108:109], v[4:5], v[168:169], v[170:171]
	v_fma_mix_f32 v4, v2, v165, 0 op_sel_hi:[1,0,0]
	v_fma_mix_f32 v25, v2, v177, 0 op_sel:[1,0,0] op_sel_hi:[1,0,0]
	v_fma_mix_f32 v155, v2, v182, 0 op_sel:[1,0,0] op_sel_hi:[1,0,0]
	v_fma_mix_f32 v168, v3, v183, v116 op_sel_hi:[1,0,0]
	v_fma_mix_f32 v116, v2, v186, 0 op_sel_hi:[1,0,0]
	v_fma_mix_f32 v2, v2, v187, 0 op_sel:[1,0,0] op_sel_hi:[1,0,0]
	v_cvt_f32_ubyte1_e32 v179, v115
	v_cvt_f32_ubyte1_e32 v184, v113
	v_fma_mix_f32 v170, v3, v189, v2 op_sel:[1,0,0] op_sel_hi:[1,0,0]
	v_add_u32_e32 v2, 0x20c8, v146
	v_fma_mix_f32 v4, v3, v178, v4 op_sel_hi:[1,0,0]
	v_fma_mix_f32 v25, v3, v179, v25 op_sel:[1,0,0] op_sel_hi:[1,0,0]
	v_fma_mix_f32 v155, v3, v184, v155 op_sel:[1,0,0] op_sel_hi:[1,0,0]
	v_fma_mix_f32 v169, v3, v188, v116 op_sel_hi:[1,0,0]
	ds_read2_b32 v[2:3], v2 offset1:1
	v_mov_b32_e32 v116, 0
	v_pk_mul_f32 v[108:109], v[108:109], v[164:165] op_sel_hi:[1,0]
	v_dot4c_i32_i8_e32 v116, v166, v18
	v_add_u32_e32 v156, 0x20d0, v146
	v_add_u32_e32 v164, 0x20e0, v146
	v_pk_fma_f32 v[108:109], v[160:161], v[162:163], v[108:109] op_sel_hi:[1,0,1] neg_lo:[0,0,1] neg_hi:[0,0,1]
	v_dot4c_i32_i8_e32 v116, v167, v19
	v_add_u32_e32 v158, 0x20d8, v146
	ds_read2_b32 v[160:161], v156 offset1:1
	ds_read2_b32 v[162:163], v158 offset1:1
	;; [unrolled: 1-line block ×3, first 2 shown]
	s_waitcnt lgkmcnt(3)
	v_dot4c_i32_i8_e32 v116, v2, v20
	v_dot4c_i32_i8_e32 v116, v3, v21
	s_waitcnt lgkmcnt(2)
	v_dot4c_i32_i8_e32 v116, v160, v14
	v_dot4c_i32_i8_e32 v116, v161, v15
	;; [unrolled: 3-line block ×3, first 2 shown]
	v_bfe_u32 v2, v114, 16, 8
	v_lshrrev_b32_e32 v176, 24, v114
	v_mov_b32_e32 v114, 0
	v_mul_lo_u32 v2, v116, v2
	v_add_u32_e32 v116, 0x20e8, v146
	ds_read2_b32 v[160:161], v116 offset1:1
	s_waitcnt lgkmcnt(1)
	v_dot4c_i32_i8_e32 v114, v164, v10
	v_add_u32_e32 v156, 0x20f0, v146
	v_dot4c_i32_i8_e32 v114, v165, v11
	v_add_u32_e32 v158, 0x20f8, v146
	v_add_u32_e32 v116, 0x4140, v146
	ds_read2_b32 v[162:163], v156 offset1:1
	ds_read2_b32 v[164:165], v158 offset1:1
	;; [unrolled: 1-line block ×3, first 2 shown]
	s_waitcnt lgkmcnt(3)
	v_dot4c_i32_i8_e32 v114, v160, v12
	v_dot4c_i32_i8_e32 v114, v161, v13
	s_waitcnt lgkmcnt(2)
	v_dot4c_i32_i8_e32 v114, v162, v6
	v_dot4c_i32_i8_e32 v114, v163, v7
	;; [unrolled: 3-line block ×3, first 2 shown]
	v_cvt_f32_f16_sdwa v161, v174 dst_sel:DWORD dst_unused:UNUSED_PAD src0_sel:WORD_1
	v_cvt_f32_i32_e32 v2, v2
	v_cvt_f32_f16_e32 v160, v174
	v_mul_lo_u32 v114, v114, v176
	v_cvt_f32_i32_e32 v114, v114
	v_cvt_f32_ubyte2_e32 v3, v115
	v_mul_f32_e32 v25, v25, v161
	v_mov_b32_e32 v116, v157
	v_cvt_f32_ubyte3_e32 v115, v115
	v_fma_mix_f32 v163, v4, v174, -v25 op_sel_hi:[0,1,0]
	v_pk_fma_f32 v[2:3], v[116:117], v[2:3], 0 op_sel_hi:[1,1,0]
	v_mov_b32_e32 v4, v159
	v_pk_fma_f32 v[2:3], v[4:5], v[114:115], v[2:3]
	v_mov_b32_e32 v162, v108
	v_pk_mul_f32 v[114:115], v[2:3], v[160:161]
	v_pk_add_f32 v[92:93], v[92:93], v[162:163]
	v_mov_b32_e32 v25, v114
	v_pk_fma_f32 v[2:3], v[2:3], v[160:161], v[24:25] neg_lo:[1,0,0] neg_hi:[1,0,0]
	v_mov_b32_e32 v25, 0
	v_mov_b32_e32 v2, v109
	v_pk_add_f32 v[92:93], v[92:93], v[2:3]
	v_add_u32_e32 v2, 0x4148, v146
	ds_read2_b32 v[2:3], v2 offset1:1
	s_waitcnt lgkmcnt(1)
	v_dot4c_i32_i8_e32 v25, v166, v18
	v_add_u32_e32 v108, 0x4150, v146
	v_add_u32_e32 v114, 0x4158, v146
	;; [unrolled: 1-line block ×3, first 2 shown]
	v_dot4c_i32_i8_e32 v25, v167, v19
	ds_read2_b32 v[108:109], v108 offset1:1
	ds_read2_b32 v[114:115], v114 offset1:1
	;; [unrolled: 1-line block ×3, first 2 shown]
	s_waitcnt lgkmcnt(3)
	v_dot4c_i32_i8_e32 v25, v2, v20
	v_dot4c_i32_i8_e32 v25, v3, v21
	s_waitcnt lgkmcnt(2)
	v_dot4c_i32_i8_e32 v25, v108, v14
	v_dot4c_i32_i8_e32 v25, v109, v15
	v_add_u32_e32 v108, 0x4168, v146
	s_waitcnt lgkmcnt(1)
	v_dot4c_i32_i8_e32 v25, v114, v16
	ds_read2_b32 v[108:109], v108 offset1:1
	v_dot4c_i32_i8_e32 v25, v115, v17
	v_bfe_u32 v2, v112, 16, 8
	v_lshrrev_b32_e32 v180, 24, v112
	v_add_u32_e32 v112, 0x4170, v146
	v_mul_lo_u32 v2, v25, v2
	v_mov_b32_e32 v25, 0
	s_waitcnt lgkmcnt(1)
	v_dot4c_i32_i8_e32 v25, v156, v10
	v_add_u32_e32 v156, 0x4178, v146
	v_add_u32_e32 v158, 0x61c0, v146
	v_dot4c_i32_i8_e32 v25, v157, v11
	ds_read2_b32 v[114:115], v112 offset1:1
	ds_read2_b32 v[156:157], v156 offset1:1
	;; [unrolled: 1-line block ×3, first 2 shown]
	s_waitcnt lgkmcnt(3)
	v_dot4c_i32_i8_e32 v25, v108, v12
	v_dot4c_i32_i8_e32 v25, v109, v13
	s_waitcnt lgkmcnt(2)
	v_dot4c_i32_i8_e32 v25, v114, v6
	v_dot4c_i32_i8_e32 v25, v115, v7
	;; [unrolled: 3-line block ×3, first 2 shown]
	v_cvt_f32_i32_e32 v2, v2
	v_cvt_f32_f16_sdwa v109, v175 dst_sel:DWORD dst_unused:UNUSED_PAD src0_sel:WORD_1
	v_cvt_f32_f16_e32 v108, v175
	v_mul_lo_u32 v25, v25, v180
	v_cvt_f32_i32_e32 v112, v25
	v_cvt_f32_ubyte2_e32 v3, v113
	v_cvt_f32_ubyte3_e32 v113, v113
	v_pk_fma_f32 v[2:3], v[116:117], v[2:3], 0 op_sel_hi:[1,1,0]
	v_mul_f32_e32 v25, v155, v109
	v_pk_fma_f32 v[2:3], v[4:5], v[112:113], v[2:3]
	v_fma_mix_f32 v25, v168, v175, -v25 op_sel_hi:[0,1,0]
	v_pk_mul_f32 v[2:3], v[2:3], v[108:109]
	v_add_f32_e32 v23, v23, v25
	v_sub_f32_e32 v2, v2, v3
	v_add_f32_e32 v23, v23, v2
	v_add_u32_e32 v2, 0x61c8, v146
	ds_read2_b32 v[2:3], v2 offset1:1
	v_mov_b32_e32 v25, 0
	s_waitcnt lgkmcnt(1)
	v_dot4c_i32_i8_e32 v25, v158, v18
	v_add_u32_e32 v18, 0x61d0, v146
	v_add_u32_e32 v108, 0x61d8, v146
	;; [unrolled: 1-line block ×3, first 2 shown]
	v_dot4c_i32_i8_e32 v25, v159, v19
	ds_read2_b32 v[18:19], v18 offset1:1
	ds_read2_b32 v[108:109], v108 offset1:1
	;; [unrolled: 1-line block ×3, first 2 shown]
	s_waitcnt lgkmcnt(3)
	v_dot4c_i32_i8_e32 v25, v2, v20
	v_dot4c_i32_i8_e32 v25, v3, v21
	s_waitcnt lgkmcnt(2)
	v_dot4c_i32_i8_e32 v25, v18, v14
	v_mov_b32_e32 v18, 0
	s_waitcnt lgkmcnt(0)
	v_dot4c_i32_i8_e32 v18, v112, v10
	v_add_u32_e32 v10, 0x61e8, v146
	v_dot4c_i32_i8_e32 v18, v113, v11
	ds_read2_b32 v[10:11], v10 offset1:1
	v_add_u32_e32 v14, 0x61f0, v146
	v_dot4c_i32_i8_e32 v25, v19, v15
	ds_read2_b32 v[14:15], v14 offset1:1
	v_dot4c_i32_i8_e32 v25, v108, v16
	v_add_u32_e32 v16, 0x61f8, v146
	v_dot4c_i32_i8_e32 v25, v109, v17
	ds_read2_b32 v[16:17], v16 offset1:1
	s_waitcnt lgkmcnt(2)
	v_dot4c_i32_i8_e32 v18, v10, v12
	v_dot4c_i32_i8_e32 v18, v11, v13
	s_waitcnt lgkmcnt(1)
	v_dot4c_i32_i8_e32 v18, v14, v6
	v_dot4c_i32_i8_e32 v18, v15, v7
	v_bfe_u32 v2, v110, 16, 8
	s_waitcnt lgkmcnt(0)
	v_dot4c_i32_i8_e32 v18, v16, v8
	v_lshrrev_b32_e32 v185, 24, v110
	v_mul_lo_u32 v2, v25, v2
	v_dot4c_i32_i8_e32 v18, v17, v9
	v_cvt_f32_i32_e32 v2, v2
	v_cvt_f32_f16_sdwa v7, v22 dst_sel:DWORD dst_unused:UNUSED_PAD src0_sel:WORD_1
	v_cvt_f32_ubyte2_e32 v3, v111
	v_mul_lo_u32 v6, v18, v185
	v_cvt_f32_i32_e32 v8, v6
	v_cvt_f32_f16_e32 v6, v22
	v_cvt_f32_ubyte3_e32 v9, v111
	v_pk_fma_f32 v[2:3], v[116:117], v[2:3], 0 op_sel_hi:[1,1,0]
	v_mul_f32_e32 v10, v170, v7
	v_pk_fma_f32 v[2:3], v[4:5], v[8:9], v[2:3]
	v_fma_mix_f32 v10, v169, v22, -v10 op_sel_hi:[0,1,0]
	v_pk_mul_f32 v[2:3], v[2:3], v[6:7]
	v_add_f32_e32 v10, v79, v10
	v_sub_f32_e32 v2, v2, v3
	v_add_f32_e32 v79, v10, v2
	s_cmp_ge_i32 s14, s15
	s_barrier
	s_cbranch_scc1 .LBB233_5
; %bb.13:                               ;   in Loop: Header=BB233_6 Depth=1
	v_cmp_gt_i32_e64 s[2:3], s5, v148
	s_and_b64 s[20:21], s[0:1], s[2:3]
	s_and_saveexec_b64 s[2:3], s[20:21]
	s_cbranch_execz .LBB233_15
; %bb.14:                               ;   in Loop: Header=BB233_6 Depth=1
	v_add_u32_e32 v2, v28, v148
	v_mad_i64_i32 v[2:3], s[20:21], v2, 36, v[26:27]
	global_load_dword v2, v[2:3], off offset:4
	s_waitcnt vmcnt(0)
	ds_write_b32 v140, v2
.LBB233_15:                             ;   in Loop: Header=BB233_6 Depth=1
	s_or_b64 exec, exec, s[2:3]
	s_and_saveexec_b64 s[20:21], vcc
	s_cbranch_execz .LBB233_4
; %bb.16:                               ;   in Loop: Header=BB233_6 Depth=1
	v_add_u32_e32 v2, 4, v24
	v_cmp_gt_i32_e64 s[2:3], s5, v2
	s_and_b64 s[2:3], s[0:1], s[2:3]
	s_and_b64 exec, exec, s[2:3]
	s_cbranch_execz .LBB233_4
; %bb.17:                               ;   in Loop: Header=BB233_6 Depth=1
	v_ashrrev_i32_e32 v25, 31, v24
	v_lshl_add_u64 v[2:3], v[28:29], 0, v[24:25]
	v_mad_u64_u32 v[4:5], s[2:3], v2, 36, s[18:19]
	v_mad_i32_i24 v5, v3, 36, v5
	global_load_dword v2, v[4:5], off
	s_waitcnt vmcnt(0)
	ds_write_b32 v141, v2
	s_branch .LBB233_4
.LBB233_18:
	v_mov_b32_e32 v23, 0
	v_mov_b32_e32 v93, 0
	;; [unrolled: 1-line block ×3, first 2 shown]
.LBB233_19:
	s_mul_i32 s0, s7, s4
	s_waitcnt vmcnt(0)
	v_cmp_gt_i32_e32 vcc, s0, v1
	s_and_saveexec_b64 s[0:1], vcc
	s_cbranch_execz .LBB233_28
; %bb.20:
	v_and_b32_e32 v0, 0x3ff, v0
	v_add_u32_e32 v2, s24, v0
	v_mul_lo_u32 v0, v1, s6
	v_cmp_gt_u32_e32 vcc, s6, v2
	s_and_saveexec_b64 s[0:1], vcc
	s_cbranch_execz .LBB233_22
; %bb.21:
	v_bfe_u32 v1, v92, 16, 1
	s_movk_i32 s2, 0x7fff
	v_add3_u32 v1, v92, v1, s2
	v_lshrrev_b32_e32 v1, 16, v1
	v_mov_b32_e32 v3, 0x7fc0
	v_cmp_o_f32_e32 vcc, v92, v92
	v_add_u32_e32 v4, v0, v2
	v_mov_b32_e32 v5, 0
	v_cndmask_b32_e32 v1, v3, v1, vcc
	v_lshl_add_u64 v[4:5], v[4:5], 1, s[12:13]
	global_store_short v[4:5], v1, off
.LBB233_22:
	s_or_b64 exec, exec, s[0:1]
	v_add_u32_e32 v1, 32, v2
	v_cmp_gt_u32_e32 vcc, s6, v1
	s_and_saveexec_b64 s[0:1], vcc
	s_cbranch_execz .LBB233_24
; %bb.23:
	v_bfe_u32 v3, v93, 16, 1
	s_movk_i32 s2, 0x7fff
	v_add3_u32 v3, v93, v3, s2
	v_lshrrev_b32_e32 v3, 16, v3
	v_mov_b32_e32 v4, 0x7fc0
	v_cmp_o_f32_e32 vcc, v93, v93
	v_mov_b32_e32 v5, 0
	s_nop 0
	v_cndmask_b32_e32 v3, v4, v3, vcc
	v_add_u32_e32 v4, v0, v1
	v_lshl_add_u64 v[4:5], v[4:5], 1, s[12:13]
	global_store_short v[4:5], v3, off
.LBB233_24:
	s_or_b64 exec, exec, s[0:1]
	v_add_u32_e32 v1, 64, v2
	v_cmp_gt_u32_e32 vcc, s6, v1
	s_and_saveexec_b64 s[0:1], vcc
	s_cbranch_execz .LBB233_26
; %bb.25:
	v_bfe_u32 v3, v23, 16, 1
	s_movk_i32 s2, 0x7fff
	v_add3_u32 v3, v23, v3, s2
	v_lshrrev_b32_e32 v3, 16, v3
	v_mov_b32_e32 v4, 0x7fc0
	v_cmp_o_f32_e32 vcc, v23, v23
	v_mov_b32_e32 v5, 0
	s_nop 0
	v_cndmask_b32_e32 v3, v4, v3, vcc
	v_add_u32_e32 v4, v0, v1
	v_lshl_add_u64 v[4:5], v[4:5], 1, s[12:13]
	global_store_short v[4:5], v3, off
.LBB233_26:
	s_or_b64 exec, exec, s[0:1]
	v_add_u32_e32 v1, 0x60, v2
	v_cmp_gt_u32_e32 vcc, s6, v1
	s_and_b64 exec, exec, vcc
	s_cbranch_execz .LBB233_28
; %bb.27:
	v_bfe_u32 v2, v79, 16, 1
	s_movk_i32 s0, 0x7fff
	v_add3_u32 v2, v79, v2, s0
	v_lshrrev_b32_e32 v2, 16, v2
	v_mov_b32_e32 v3, 0x7fc0
	v_cmp_o_f32_e32 vcc, v79, v79
	v_add_u32_e32 v0, v0, v1
	v_mov_b32_e32 v1, 0
	v_cndmask_b32_e32 v2, v3, v2, vcc
	v_lshl_add_u64 v[0:1], v[0:1], 1, s[12:13]
	global_store_short v[0:1], v2, off
.LBB233_28:
	s_endpgm
	.section	.rodata,"a",@progbits
	.p2align	6, 0x0
	.amdhsa_kernel _ZL8moe_q5_KIN3c108BFloat16ELb0EEvPKvS3_PT_PKiS7_S7_iiiiiii
		.amdhsa_group_segment_fixed_size 37072
		.amdhsa_private_segment_fixed_size 0
		.amdhsa_kernarg_size 76
		.amdhsa_user_sgpr_count 2
		.amdhsa_user_sgpr_dispatch_ptr 0
		.amdhsa_user_sgpr_queue_ptr 0
		.amdhsa_user_sgpr_kernarg_segment_ptr 1
		.amdhsa_user_sgpr_dispatch_id 0
		.amdhsa_user_sgpr_kernarg_preload_length 0
		.amdhsa_user_sgpr_kernarg_preload_offset 0
		.amdhsa_user_sgpr_private_segment_size 0
		.amdhsa_uses_dynamic_stack 0
		.amdhsa_enable_private_segment 0
		.amdhsa_system_sgpr_workgroup_id_x 1
		.amdhsa_system_sgpr_workgroup_id_y 1
		.amdhsa_system_sgpr_workgroup_id_z 0
		.amdhsa_system_sgpr_workgroup_info 0
		.amdhsa_system_vgpr_workitem_id 1
		.amdhsa_next_free_vgpr 191
		.amdhsa_next_free_sgpr 28
		.amdhsa_accum_offset 192
		.amdhsa_reserve_vcc 1
		.amdhsa_float_round_mode_32 0
		.amdhsa_float_round_mode_16_64 0
		.amdhsa_float_denorm_mode_32 3
		.amdhsa_float_denorm_mode_16_64 3
		.amdhsa_dx10_clamp 1
		.amdhsa_ieee_mode 1
		.amdhsa_fp16_overflow 0
		.amdhsa_tg_split 0
		.amdhsa_exception_fp_ieee_invalid_op 0
		.amdhsa_exception_fp_denorm_src 0
		.amdhsa_exception_fp_ieee_div_zero 0
		.amdhsa_exception_fp_ieee_overflow 0
		.amdhsa_exception_fp_ieee_underflow 0
		.amdhsa_exception_fp_ieee_inexact 0
		.amdhsa_exception_int_div_zero 0
	.end_amdhsa_kernel
	.section	.text._ZL8moe_q5_KIN3c108BFloat16ELb0EEvPKvS3_PT_PKiS7_S7_iiiiiii,"axG",@progbits,_ZL8moe_q5_KIN3c108BFloat16ELb0EEvPKvS3_PT_PKiS7_S7_iiiiiii,comdat
.Lfunc_end233:
	.size	_ZL8moe_q5_KIN3c108BFloat16ELb0EEvPKvS3_PT_PKiS7_S7_iiiiiii, .Lfunc_end233-_ZL8moe_q5_KIN3c108BFloat16ELb0EEvPKvS3_PT_PKiS7_S7_iiiiiii
                                        ; -- End function
	.section	.AMDGPU.csdata,"",@progbits
; Kernel info:
; codeLenInByte = 10308
; NumSgprs: 34
; NumVgprs: 191
; NumAgprs: 0
; TotalNumVgprs: 191
; ScratchSize: 0
; MemoryBound: 0
; FloatMode: 240
; IeeeMode: 1
; LDSByteSize: 37072 bytes/workgroup (compile time only)
; SGPRBlocks: 4
; VGPRBlocks: 23
; NumSGPRsForWavesPerEU: 34
; NumVGPRsForWavesPerEU: 191
; AccumOffset: 192
; Occupancy: 1
; WaveLimiterHint : 1
; COMPUTE_PGM_RSRC2:SCRATCH_EN: 0
; COMPUTE_PGM_RSRC2:USER_SGPR: 2
; COMPUTE_PGM_RSRC2:TRAP_HANDLER: 0
; COMPUTE_PGM_RSRC2:TGID_X_EN: 1
; COMPUTE_PGM_RSRC2:TGID_Y_EN: 1
; COMPUTE_PGM_RSRC2:TGID_Z_EN: 0
; COMPUTE_PGM_RSRC2:TIDIG_COMP_CNT: 1
; COMPUTE_PGM_RSRC3_GFX90A:ACCUM_OFFSET: 47
; COMPUTE_PGM_RSRC3_GFX90A:TG_SPLIT: 0
	.section	.text._ZL8moe_q5_KIN3c108BFloat16ELb1EEvPKvS3_PT_PKiS7_S7_iiiiiii,"axG",@progbits,_ZL8moe_q5_KIN3c108BFloat16ELb1EEvPKvS3_PT_PKiS7_S7_iiiiiii,comdat
	.globl	_ZL8moe_q5_KIN3c108BFloat16ELb1EEvPKvS3_PT_PKiS7_S7_iiiiiii ; -- Begin function _ZL8moe_q5_KIN3c108BFloat16ELb1EEvPKvS3_PT_PKiS7_S7_iiiiiii
	.p2align	8
	.type	_ZL8moe_q5_KIN3c108BFloat16ELb1EEvPKvS3_PT_PKiS7_S7_iiiiiii,@function
_ZL8moe_q5_KIN3c108BFloat16ELb1EEvPKvS3_PT_PKiS7_S7_iiiiiii: ; @_ZL8moe_q5_KIN3c108BFloat16ELb1EEvPKvS3_PT_PKiS7_S7_iiiiiii
; %bb.0:
	s_load_dwordx4 s[4:7], s[0:1], 0x18
	s_mov_b32 s8, s3
	s_mov_b32 s9, 0
	s_lshl_b64 s[10:11], s[8:9], 2
	s_waitcnt lgkmcnt(0)
	s_add_u32 s6, s6, s10
	s_addc_u32 s7, s7, s11
	s_load_dword s3, s[6:7], 0x0
	s_waitcnt lgkmcnt(0)
	s_cmpk_gt_u32 s3, 0xff
	s_cbranch_scc1 .LBB234_28
; %bb.1:
	s_load_dwordx2 s[6:7], s[0:1], 0x28
	s_waitcnt lgkmcnt(0)
	s_load_dword s7, s[6:7], 0x0
	s_lshl_b32 s6, s8, 3
	s_waitcnt lgkmcnt(0)
	s_cmp_gt_u32 s6, s7
	s_cbranch_scc1 .LBB234_28
; %bb.2:
	v_bfe_u32 v4, v0, 10, 10
	v_mov_b32_e32 v2, s4
	v_mov_b32_e32 v3, s5
	v_add_u32_e32 v26, s6, v4
	v_mov_b32_e32 v27, 0
	v_lshl_add_u64 v[2:3], v[26:27], 2, v[2:3]
	global_load_dword v1, v[2:3], off
	s_load_dwordx8 s[4:11], s[0:1], 0x30
	s_load_dwordx2 s[16:17], s[0:1], 0x10
	s_waitcnt lgkmcnt(0)
	s_lshl_b32 s11, s2, 7
	s_mov_b32 s22, 0
	s_cmpk_lt_i32 s5, 0x100
	s_cbranch_scc1 .LBB234_18
; %bb.3:
	s_load_dwordx4 s[12:15], s[0:1], 0x0
	s_ashr_i32 s0, s5, 31
	s_lshr_b32 s0, s0, 24
	s_add_i32 s0, s5, s0
	s_ashr_i32 s26, s0, 8
	s_ashr_i32 s0, s8, 31
	s_lshr_b32 s0, s0, 27
	v_and_b32_e32 v24, 0x3ff, v0
	s_add_i32 s0, s8, s0
	v_lshlrev_b32_e32 v5, 1, v24
	v_and_b32_e32 v6, 7, v24
	s_ashr_i32 s8, s0, 5
	s_not_b32 s0, s11
	v_and_or_b32 v5, v5, 48, v6
	s_add_i32 s6, s0, s6
	v_lshlrev_b32_e32 v6, 2, v5
	v_add_u32_e32 v5, 8, v4
	v_lshrrev_b32_e32 v7, 5, v24
	v_min_i32_e32 v10, s6, v4
	s_movk_i32 s2, 0x104
	v_min_i32_e32 v5, s6, v5
	v_mul_lo_u32 v11, v10, s26
	v_mad_u64_u32 v[26:27], s[0:1], v10, s2, v[6:7]
	v_mul_lo_u32 v10, v5, s26
	v_mad_u64_u32 v[28:29], s[0:1], v5, s2, v[6:7]
	v_add_u32_e32 v5, 16, v4
	v_min_i32_e32 v5, s6, v5
	v_mul_lo_u32 v12, v5, s26
	v_mad_u64_u32 v[30:31], s[0:1], v5, s2, v[6:7]
	v_add_u32_e32 v5, 24, v4
	v_min_i32_e32 v5, s6, v5
	;; [unrolled: 4-line block ×14, first 2 shown]
	v_lshrrev_b32_e32 v9, 2, v24
	v_mul_lo_u32 v120, v5, s26
	v_mad_u64_u32 v[56:57], s[0:1], v5, s2, v[6:7]
	v_lshlrev_b32_e32 v5, 5, v4
	v_and_b32_e32 v148, 6, v9
	v_add_u32_e32 v6, v5, v24
	v_lshl_add_u32 v9, v4, 3, v9
	v_and_b32_e32 v29, 0x7f, v6
	v_and_b32_e32 v9, 0x7f, v9
	v_min_i32_e32 v29, s6, v29
	v_min_i32_e32 v37, s6, v9
	v_ashrrev_i32_e32 v31, 31, v29
	v_ashrrev_i32_e32 v39, 31, v37
	v_xor_b32_e32 v9, 64, v9
	v_lshrrev_b32_e32 v31, 27, v31
	v_lshrrev_b32_e32 v39, 29, v39
	v_min_i32_e32 v9, s6, v9
	v_add_u32_e32 v31, v29, v31
	v_mul_lo_u32 v131, v37, s26
	v_add_u32_e32 v39, v37, v39
	v_lshlrev_b32_e32 v139, 4, v37
	v_ashrrev_i32_e32 v37, 31, v9
	v_ashrrev_i32_e32 v31, 5, v31
	v_lshrrev_b32_e32 v37, 29, v37
	v_mul_lo_u32 v121, v29, s26
	v_lshlrev_b32_e32 v31, 2, v31
	v_lshlrev_b32_e32 v29, 2, v29
	s_mov_b32 s0, 0x8e40
	v_and_b32_e32 v35, 3, v24
	v_add_u32_e32 v37, v9, v37
	v_add3_u32 v29, v31, v29, s0
	v_add_u32_e32 v31, 0xfe, v35
	v_cmp_gt_u32_e32 vcc, 2, v35
	v_ashrrev_i32_e32 v39, 3, v39
	v_ashrrev_i32_e32 v37, 3, v37
	s_mul_i32 s18, s3, s4
	v_cndmask_b32_e32 v31, v31, v35, vcc
	v_cmp_ne_u32_e32 vcc, 0, v35
	v_cmp_lt_u32_e64 s[2:3], 1, v35
	v_lshlrev_b32_e32 v39, 2, v39
	v_lshlrev_b32_e32 v35, 2, v35
	s_mov_b32 s1, 0x8200
	v_lshlrev_b32_e32 v37, 2, v37
	v_add3_u32 v138, v39, v35, s1
	v_mul_lo_u32 v134, v9, s26
	v_add3_u32 v140, v37, v35, s1
	v_lshlrev_b32_e32 v141, 4, v9
	v_and_or_b32 v5, v24, 31, v5
	v_mov_b32_e32 v9, 0x8a40
	s_movk_i32 s1, 0xffe4
	v_lshlrev_b32_e32 v8, 2, v24
	v_lshl_add_u32 v35, v5, 2, v9
	v_mad_i32_i24 v5, v4, s1, v6
	v_mov_b32_e32 v6, 0x9050
	v_lshrrev_b32_e32 v39, 3, v24
	v_lshl_add_u32 v37, v5, 2, v6
	v_lshl_add_u32 v41, v4, 7, v9
	v_lshlrev_b32_e32 v43, 4, v4
	v_add_u32_e32 v4, v39, v8
	v_mov_b32_e32 v5, 0x8200
	v_lshl_add_u32 v45, v4, 2, v5
	v_lshlrev_b32_e32 v4, 2, v7
	v_add3_u32 v49, v4, v8, s0
	v_add_u32_e32 v4, 32, v24
	v_lshrrev_b32_e32 v51, 3, v4
	v_lshl_add_u32 v4, v4, 2, v51
	v_lshl_add_u32 v53, v4, 2, v5
	v_and_b32_e32 v4, 60, v51
	v_add3_u32 v55, v8, v4, s0
	v_add_u32_e32 v4, 64, v24
	v_lshrrev_b32_e32 v6, 3, v4
	v_lshl_add_u32 v4, v4, 2, v6
	s_abs_i32 s6, s10
	v_lshl_add_u32 v57, v4, 2, v5
	v_and_b32_e32 v4, 60, v6
	v_cvt_f32_u32_e32 v9, s6
	v_add3_u32 v150, v8, v4, s0
	v_add_u32_e32 v4, 0x60, v24
	v_lshrrev_b32_e32 v6, 3, v4
	v_lshl_add_u32 v4, v4, 2, v6
	v_lshl_add_u32 v151, v4, 2, v5
	v_rcp_iflag_f32_e32 v5, v9
	v_and_b32_e32 v4, 60, v6
	v_add3_u32 v152, v8, v4, s0
	s_sub_i32 s0, 0, s6
	v_mul_f32_e32 v5, 0x4f7ffffe, v5
	v_cvt_u32_f32_e32 v5, v5
	v_and_b32_e32 v22, 0x7c, v8
	v_and_b32_e32 v2, 28, v8
	v_and_b32_e32 v33, 0xff, v31
	v_and_b32_e32 v31, 4, v8
	v_mul_lo_u32 v8, s0, v5
	s_waitcnt vmcnt(0)
	v_sub_u32_e32 v6, 0, v1
	v_mul_hi_u32 v8, v5, v8
	v_max_i32_e32 v6, v1, v6
	v_add_u32_e32 v5, v5, v8
	v_mul_hi_u32 v5, v6, v5
	v_mul_lo_u32 v8, v5, s6
	v_sub_u32_e32 v6, v6, v8
	v_add_u32_e32 v8, 1, v5
	v_cmp_le_u32_e64 s[0:1], s6, v6
	v_xor_b32_e32 v4, s10, v1
	v_ashrrev_i32_e32 v4, 31, v4
	v_cndmask_b32_e64 v5, v5, v8, s[0:1]
	v_subrev_u32_e32 v8, s6, v6
	v_cndmask_b32_e64 v6, v6, v8, s[0:1]
	v_add_u32_e32 v8, 1, v5
	v_cmp_le_u32_e64 s[0:1], s6, v6
	s_mul_i32 s4, s26, s11
	s_mul_hi_i32 s25, s4, 0xb0
	v_cndmask_b32_e64 v5, v5, v8, s[0:1]
	v_xor_b32_e32 v5, v5, v4
	v_sub_u32_e32 v4, v5, v4
	s_mul_i32 s24, s4, 0xb0
	v_cmp_gt_i32_e64 s[0:1], s7, v4
	v_mul_lo_u32 v60, v4, s8
	s_movk_i32 s6, 0xb0
	v_mov_b64_e32 v[4:5], s[24:25]
	v_mov_b32_e32 v23, 0
	v_mad_u64_u32 v[4:5], s[28:29], v7, s6, v[4:5]
	v_mov_b32_e32 v3, v23
	v_mad_i64_i32 v[6:7], s[28:29], v11, s6, v[4:5]
	v_lshl_add_u64 v[8:9], v[6:7], 0, v[2:3]
	v_lshl_add_u64 v[6:7], v[6:7], 0, v[22:23]
	s_waitcnt lgkmcnt(0)
	v_lshl_add_u64 v[6:7], v[6:7], 0, s[12:13]
	v_lshl_add_u64 v[8:9], v[8:9], 0, s[12:13]
	v_lshl_add_u64 v[64:65], v[6:7], 0, 48
	v_mad_i64_i32 v[6:7], s[28:29], v10, s6, v[4:5]
	v_lshl_add_u64 v[62:63], v[8:9], 0, 16
	v_lshl_add_u64 v[8:9], v[6:7], 0, v[2:3]
	v_lshl_add_u64 v[6:7], v[6:7], 0, v[22:23]
	v_lshl_add_u64 v[6:7], v[6:7], 0, s[12:13]
	v_lshl_add_u64 v[8:9], v[8:9], 0, s[12:13]
	v_lshl_add_u64 v[68:69], v[6:7], 0, 48
	v_mad_i64_i32 v[6:7], s[28:29], v12, s6, v[4:5]
	v_lshl_add_u64 v[66:67], v[8:9], 0, 16
	v_lshl_add_u64 v[8:9], v[6:7], 0, v[2:3]
	v_lshl_add_u64 v[6:7], v[6:7], 0, v[22:23]
	;; [unrolled: 7-line block ×13, first 2 shown]
	v_lshl_add_u64 v[6:7], v[6:7], 0, s[12:13]
	s_ashr_i32 s19, s18, 31
	v_lshl_add_u64 v[8:9], v[8:9], 0, s[12:13]
	v_lshl_add_u64 v[116:117], v[6:7], 0, 48
	v_mad_i64_i32 v[6:7], s[28:29], v118, s6, v[4:5]
	v_mad_i64_i32 v[4:5], s[28:29], v120, s6, v[4:5]
	v_lshl_add_u64 v[58:59], s[14:15], 0, v[2:3]
	s_add_u32 s20, s14, 0x90
	v_lshl_add_u64 v[114:115], v[8:9], 0, 16
	v_lshl_add_u64 v[8:9], v[6:7], 0, v[2:3]
	;; [unrolled: 1-line block ×3, first 2 shown]
	s_addc_u32 s21, s15, 0
	v_lshl_add_u64 v[2:3], v[2:3], 0, s[12:13]
	v_lshl_add_u64 v[124:125], v[2:3], 0, 16
	v_lshl_add_u64 v[2:3], v[4:5], 0, v[22:23]
	s_add_u32 s24, s12, s24
	v_lshl_add_u64 v[6:7], v[6:7], 0, v[22:23]
	v_lshl_add_u64 v[2:3], v[2:3], 0, s[12:13]
	s_addc_u32 s25, s13, s25
	v_lshl_add_u64 v[6:7], v[6:7], 0, s[12:13]
	v_lshl_add_u64 v[126:127], v[2:3], 0, 48
	v_mov_b64_e32 v[2:3], s[24:25]
	v_addc_co_u32_e32 v130, vcc, 0, v33, vcc
	v_lshl_add_u64 v[122:123], v[6:7], 0, 48
	v_mad_i64_i32 v[128:129], s[24:25], v121, s6, v[2:3]
	v_mad_i64_i32 v[2:3], s[24:25], v131, s6, 0
	v_mov_b32_e32 v6, 0xb0
	v_mad_i64_i32 v[2:3], s[24:25], s4, v6, v[2:3]
	v_lshlrev_b32_e32 v22, 2, v130
	v_lshl_add_u64 v[4:5], v[2:3], 0, v[22:23]
	v_lshl_add_u64 v[4:5], v[4:5], 0, s[12:13]
	;; [unrolled: 1-line block ×3, first 2 shown]
	v_cndmask_b32_e64 v4, 0, 1, s[2:3]
	v_lshlrev_b32_e32 v7, 2, v4
	v_or_b32_e32 v2, v2, v7
	v_lshl_add_u64 v[2:3], v[2:3], 0, s[12:13]
	v_cndmask_b32_e64 v31, 0, v31, s[2:3]
	v_lshl_add_u64 v[132:133], v[2:3], 0, 4
	v_mad_i64_i32 v[2:3], s[2:3], v134, s6, 0
	v_mad_i64_i32 v[2:3], s[2:3], s4, v6, v[2:3]
	v_lshl_add_u64 v[4:5], v[2:3], 0, v[22:23]
	v_or_b32_e32 v2, v2, v7
	v_lshl_add_u64 v[8:9], v[8:9], 0, s[12:13]
	v_lshl_add_u64 v[4:5], v[4:5], 0, s[12:13]
	;; [unrolled: 1-line block ×3, first 2 shown]
	s_mov_b32 s23, s22
	v_or_b32_e32 v149, 1, v148
	v_lshlrev_b32_e32 v33, 1, v33
	v_cmp_gt_u32_e32 vcc, 4, v24
	v_mul_u32_u24_e32 v47, 0x104, v24
	v_ashrrev_i32_e32 v61, 31, v60
	v_lshl_add_u64 v[118:119], v[8:9], 0, 16
	v_lshl_add_u64 v[134:135], v[4:5], 0, 4
	;; [unrolled: 1-line block ×3, first 2 shown]
	s_movk_i32 s4, 0x80
	v_mov_b64_e32 v[120:121], s[22:23]
	s_mov_b32 s6, 0x10101010
	s_mov_b32 s24, 0x30303030
	v_add_u32_e32 v22, v138, v139
	v_add_u32_e32 v153, v140, v141
	s_mov_b64 s[12:13], 0xb0
	v_mov_b32_e32 v27, v23
	s_branch .LBB234_6
.LBB234_4:                              ;   in Loop: Header=BB234_6 Depth=1
	s_or_b64 exec, exec, s[22:23]
	s_waitcnt lgkmcnt(0)
	s_barrier
	ds_read_b128 v[18:21], v41
	ds_read_b128 v[14:17], v41 offset:16
	ds_read_b128 v[2:5], v43 offset:36944
	ds_read2_b32 v[138:139], v47 offset0:32 offset1:33
	ds_read_b128 v[10:13], v41 offset:32
	ds_read_b128 v[6:9], v41 offset:48
	ds_read_b32 v25, v49
	ds_read2_b32 v[140:141], v47 offset0:34 offset1:35
	v_mov_b32_e32 v161, 0
	s_waitcnt lgkmcnt(4)
	v_dot4c_i32_i8_e32 v161, v138, v18
	v_dot4c_i32_i8_e32 v161, v139, v19
	ds_read2_b32 v[142:143], v47 offset0:36 offset1:37
	ds_read2_b32 v[144:145], v47 offset0:38 offset1:39
	ds_read2_b32 v[146:147], v47 offset0:40 offset1:41
	s_waitcnt lgkmcnt(3)
	v_dot4c_i32_i8_e32 v161, v140, v20
	v_dot4c_i32_i8_e32 v161, v141, v21
	ds_read2_b32 v[140:141], v47 offset0:42 offset1:43
	v_mov_b32_e32 v172, 0
	s_waitcnt lgkmcnt(3)
	v_dot4c_i32_i8_e32 v161, v142, v14
	s_waitcnt lgkmcnt(1)
	v_dot4c_i32_i8_e32 v172, v146, v10
	v_dot4c_i32_i8_e32 v161, v143, v15
	v_dot4c_i32_i8_e32 v172, v147, v11
	v_dot4c_i32_i8_e32 v161, v144, v16
	s_waitcnt lgkmcnt(0)
	v_dot4c_i32_i8_e32 v172, v140, v12
	v_cvt_f32_f16_e32 v160, v25
	v_cvt_f32_f16_sdwa v162, v25 dst_sel:DWORD dst_unused:UNUSED_PAD src0_sel:WORD_1
	v_add_u32_e32 v25, 0x2100, v47
	ds_read2_b32 v[138:139], v45 offset0:1 offset1:3
	v_dot4c_i32_i8_e32 v161, v145, v17
	ds_read2_b32 v[142:143], v47 offset0:44 offset1:45
	ds_read2_b32 v[144:145], v47 offset0:46 offset1:47
	;; [unrolled: 1-line block ×3, first 2 shown]
	v_dot4c_i32_i8_e32 v172, v141, v13
	ds_read2_b32 v[154:155], v47 offset0:58 offset1:59
	ds_read2_b32 v[156:157], v47 offset0:60 offset1:61
	;; [unrolled: 1-line block ×3, first 2 shown]
	ds_read2_b32 v[140:141], v25 offset1:1
	v_mov_b32_e32 v168, 0
	ds_read_b32 v173, v55 offset:128
	ds_read_b32 v174, v150 offset:256
	;; [unrolled: 1-line block ×3, first 2 shown]
	s_waitcnt lgkmcnt(9)
	v_dot4c_i32_i8_e32 v172, v142, v6
	v_dot4c_i32_i8_e32 v172, v143, v7
	s_waitcnt lgkmcnt(3)
	v_dot4c_i32_i8_e32 v168, v140, v18
	v_add_u32_e32 v140, 0x2108, v47
	v_dot4c_i32_i8_e32 v168, v141, v19
	ds_read2_b32 v[140:141], v140 offset1:1
	v_dot4c_i32_i8_e32 v172, v144, v8
	v_add_u32_e32 v142, 0x2110, v47
	v_dot4c_i32_i8_e32 v172, v145, v9
	v_add_u32_e32 v144, 0x2118, v47
	v_add_u32_e32 v145, 0x2120, v47
	ds_read2_b32 v[142:143], v142 offset1:1
	ds_read2_b32 v[164:165], v144 offset1:1
	;; [unrolled: 1-line block ×3, first 2 shown]
	s_waitcnt lgkmcnt(3)
	v_dot4c_i32_i8_e32 v168, v140, v20
	ds_read2_b32 v[144:145], v53 offset0:1 offset1:3
	v_dot4c_i32_i8_e32 v168, v141, v21
	s_waitcnt lgkmcnt(3)
	v_dot4c_i32_i8_e32 v168, v142, v14
	v_dot4c_i32_i8_e32 v168, v143, v15
	s_waitcnt lgkmcnt(2)
	v_dot4c_i32_i8_e32 v168, v164, v16
	v_dot4c_i32_i8_e32 v168, v165, v17
	s_waitcnt lgkmcnt(0)
	v_and_b32_e32 v140, 0xff, v144
	v_add_u32_e32 v142, 0x2130, v47
	v_add_u32_e32 v164, 0x2138, v47
	v_mul_lo_u32 v140, v168, v140
	v_cvt_f32_i32_e32 v176, v140
	v_add_u32_e32 v140, 0x2128, v47
	ds_read2_b32 v[140:141], v140 offset1:1
	v_mov_b32_e32 v168, 0
	v_dot4c_i32_i8_e32 v168, v166, v10
	v_add_u32_e32 v166, 0x4180, v47
	v_dot4c_i32_i8_e32 v168, v167, v11
	ds_read2_b32 v[142:143], v142 offset1:1
	ds_read2_b32 v[164:165], v164 offset1:1
	;; [unrolled: 1-line block ×3, first 2 shown]
	s_waitcnt lgkmcnt(3)
	v_dot4c_i32_i8_e32 v168, v140, v12
	v_dot4c_i32_i8_e32 v168, v141, v13
	s_waitcnt lgkmcnt(2)
	v_dot4c_i32_i8_e32 v168, v142, v6
	v_dot4c_i32_i8_e32 v168, v143, v7
	s_waitcnt lgkmcnt(1)
	v_dot4c_i32_i8_e32 v168, v164, v8
	v_dot4c_i32_i8_e32 v168, v165, v9
	v_bfe_u32 v140, v144, 8, 8
	v_mov_b32_e32 v170, 0
	s_waitcnt lgkmcnt(0)
	v_dot4c_i32_i8_e32 v170, v166, v18
	v_mul_lo_u32 v140, v168, v140
	v_cvt_f32_i32_e32 v178, v140
	v_add_u32_e32 v140, 0x4188, v47
	ds_read2_b32 v[140:141], v140 offset1:1
	v_add_u32_e32 v142, 0x4190, v47
	v_add_u32_e32 v168, 0x41a0, v47
	v_dot4c_i32_i8_e32 v170, v167, v19
	v_add_u32_e32 v143, 0x4198, v47
	ds_read2_b32 v[164:165], v142 offset1:1
	ds_read2_b32 v[166:167], v143 offset1:1
	ds_read2_b32 v[168:169], v168 offset1:1
	s_waitcnt lgkmcnt(3)
	v_dot4c_i32_i8_e32 v170, v140, v20
	ds_read2_b32 v[142:143], v57 offset0:1 offset1:3
	v_dot4c_i32_i8_e32 v170, v141, v21
	s_waitcnt lgkmcnt(3)
	v_dot4c_i32_i8_e32 v170, v164, v14
	v_dot4c_i32_i8_e32 v170, v165, v15
	s_waitcnt lgkmcnt(2)
	v_dot4c_i32_i8_e32 v170, v166, v16
	v_dot4c_i32_i8_e32 v170, v167, v17
	s_waitcnt lgkmcnt(0)
	v_and_b32_e32 v140, 0xff, v142
	v_add_u32_e32 v164, 0x41b0, v47
	v_add_u32_e32 v166, 0x41b8, v47
	v_mul_lo_u32 v140, v170, v140
	v_cvt_f32_i32_e32 v181, v140
	v_add_u32_e32 v140, 0x41a8, v47
	ds_read2_b32 v[140:141], v140 offset1:1
	v_mov_b32_e32 v170, 0
	v_dot4c_i32_i8_e32 v170, v168, v10
	v_add_u32_e32 v168, 0x6200, v47
	v_dot4c_i32_i8_e32 v170, v169, v11
	ds_read2_b32 v[164:165], v164 offset1:1
	ds_read2_b32 v[166:167], v166 offset1:1
	;; [unrolled: 1-line block ×3, first 2 shown]
	s_waitcnt lgkmcnt(3)
	v_dot4c_i32_i8_e32 v170, v140, v12
	v_dot4c_i32_i8_e32 v170, v141, v13
	s_waitcnt lgkmcnt(2)
	v_dot4c_i32_i8_e32 v170, v164, v6
	v_dot4c_i32_i8_e32 v170, v165, v7
	;; [unrolled: 3-line block ×3, first 2 shown]
	v_bfe_u32 v140, v142, 8, 8
	v_add_u32_e32 v141, 0x6218, v47
	v_mov_b32_e32 v190, 0
	v_mul_lo_u32 v140, v170, v140
	v_mov_b32_e32 v170, 0
	s_waitcnt lgkmcnt(0)
	v_dot4c_i32_i8_e32 v170, v168, v18
	v_add_u32_e32 v18, 0x6208, v47
	v_dot4c_i32_i8_e32 v170, v169, v19
	ds_read2_b32 v[18:19], v18 offset1:1
	v_cvt_f32_i32_e32 v183, v140
	v_add_u32_e32 v140, 0x6210, v47
	v_add_u32_e32 v168, 0x6220, v47
	ds_read2_b32 v[164:165], v140 offset1:1
	ds_read2_b32 v[166:167], v141 offset1:1
	;; [unrolled: 1-line block ×3, first 2 shown]
	s_waitcnt lgkmcnt(3)
	v_dot4c_i32_i8_e32 v170, v18, v20
	ds_read2_b32 v[140:141], v151 offset0:1 offset1:3
	v_dot4c_i32_i8_e32 v170, v19, v21
	s_waitcnt lgkmcnt(3)
	v_dot4c_i32_i8_e32 v170, v164, v14
	v_mov_b32_e32 v18, 0
	v_dot4c_i32_i8_e32 v170, v165, v15
	s_waitcnt lgkmcnt(1)
	v_dot4c_i32_i8_e32 v18, v168, v10
	v_add_u32_e32 v10, 0x6228, v47
	v_dot4c_i32_i8_e32 v170, v166, v16
	v_dot4c_i32_i8_e32 v18, v169, v11
	ds_read2_b32 v[10:11], v10 offset1:1
	v_dot4c_i32_i8_e32 v170, v167, v17
	s_waitcnt lgkmcnt(1)
	v_and_b32_e32 v14, 0xff, v140
	v_add_u32_e32 v16, 0x6238, v47
	v_add_u32_e32 v19, 0x2140, v47
	v_mul_lo_u32 v14, v170, v14
	v_cvt_f32_i32_e32 v186, v14
	v_add_u32_e32 v14, 0x6230, v47
	ds_read2_b32 v[14:15], v14 offset1:1
	ds_read2_b32 v[16:17], v16 offset1:1
	;; [unrolled: 1-line block ×3, first 2 shown]
	s_waitcnt lgkmcnt(3)
	v_dot4c_i32_i8_e32 v18, v10, v12
	v_dot4c_i32_i8_e32 v18, v11, v13
	s_waitcnt lgkmcnt(2)
	v_dot4c_i32_i8_e32 v18, v14, v6
	v_dot4c_i32_i8_e32 v18, v15, v7
	;; [unrolled: 3-line block ×3, first 2 shown]
	v_bfe_u32 v6, v140, 8, 8
	v_lshrrev_b32_e32 v163, 24, v138
	v_cvt_f32_ubyte0_e32 v177, v145
	v_mul_lo_u32 v6, v18, v6
	v_cvt_f32_i32_e32 v188, v6
	ds_read_b128 v[18:21], v41 offset:64
	ds_read_b128 v[14:17], v41 offset:80
	;; [unrolled: 1-line block ×4, first 2 shown]
	ds_read2_b32 v[166:167], v47 offset0:50 offset1:51
	s_waitcnt lgkmcnt(4)
	v_dot4c_i32_i8_e32 v190, v146, v18
	v_dot4c_i32_i8_e32 v190, v147, v19
	ds_read2_b32 v[146:147], v47 offset0:52 offset1:53
	ds_read2_b32 v[168:169], v47 offset0:54 offset1:55
	;; [unrolled: 1-line block ×3, first 2 shown]
	v_cvt_f32_ubyte0_e32 v182, v143
	s_waitcnt lgkmcnt(3)
	v_dot4c_i32_i8_e32 v190, v166, v20
	v_mov_b32_e32 v166, 0
	v_dot4c_i32_i8_e32 v190, v167, v21
	s_waitcnt lgkmcnt(0)
	v_dot4c_i32_i8_e32 v166, v170, v10
	v_dot4c_i32_i8_e32 v166, v171, v11
	;; [unrolled: 1-line block ×10, first 2 shown]
	v_cvt_f32_f16_e32 v155, v4
	v_cvt_f32_f16_sdwa v147, v4 dst_sel:DWORD dst_unused:UNUSED_PAD src0_sel:WORD_1
	v_and_b32_e32 v4, 0xff, v138
	v_bfe_u32 v156, v138, 16, 8
	v_dot4c_i32_i8_e32 v166, v158, v8
	v_mul_lo_u32 v4, v161, v4
	v_mul_lo_u32 v156, v190, v156
	v_dot4c_i32_i8_e32 v166, v159, v9
	v_cvt_f32_f16_e32 v154, v2
	v_cvt_f32_i32_e32 v159, v156
	v_cvt_f32_i32_e32 v158, v4
	v_bfe_u32 v138, v138, 8, 8
	v_mul_lo_u32 v138, v172, v138
	v_cvt_f32_f16_sdwa v146, v2 dst_sel:DWORD dst_unused:UNUSED_PAD src0_sel:WORD_1
	v_pk_fma_f32 v[158:159], v[154:155], v[158:159], 0 op_sel_hi:[1,1,0]
	v_mul_lo_u32 v154, v166, v163
	v_cvt_f32_f16_e32 v157, v5
	v_cvt_f32_f16_e32 v156, v3
	v_cvt_f32_i32_e32 v167, v154
	v_cvt_f32_i32_e32 v166, v138
	v_cvt_f32_f16_sdwa v5, v5 dst_sel:DWORD dst_unused:UNUSED_PAD src0_sel:WORD_1
	v_cvt_f32_f16_sdwa v4, v3 dst_sel:DWORD dst_unused:UNUSED_PAD src0_sel:WORD_1
	v_cvt_f32_ubyte2_e32 v169, v139
	v_cvt_f32_ubyte0_e32 v168, v139
	v_cvt_f32_ubyte0_e32 v187, v141
	v_pk_fma_f32 v[168:169], v[146:147], v[168:169], 0 op_sel_hi:[1,1,0]
	v_pk_fma_f32 v[158:159], v[156:157], v[166:167], v[158:159]
	v_cvt_f32_ubyte3_e32 v167, v139
	v_cvt_f32_ubyte1_e32 v166, v139
	v_fma_mix_f32 v154, v2, v181, 0 op_sel_hi:[1,0,0]
	v_cvt_f32_ubyte1_e32 v189, v141
	v_pk_fma_f32 v[138:139], v[4:5], v[166:167], v[168:169]
	v_fma_mix_f32 v4, v2, v176, 0 op_sel_hi:[1,0,0]
	v_fma_mix_f32 v146, v2, v177, 0 op_sel:[1,0,0] op_sel_hi:[1,0,0]
	v_fma_mix_f32 v156, v2, v182, 0 op_sel:[1,0,0] op_sel_hi:[1,0,0]
	v_fma_mix_f32 v166, v3, v183, v154 op_sel_hi:[1,0,0]
	v_fma_mix_f32 v154, v2, v186, 0 op_sel_hi:[1,0,0]
	v_fma_mix_f32 v2, v2, v187, 0 op_sel:[1,0,0] op_sel_hi:[1,0,0]
	v_cvt_f32_ubyte1_e32 v179, v145
	v_cvt_f32_ubyte1_e32 v184, v143
	v_fma_mix_f32 v169, v3, v189, v2 op_sel:[1,0,0] op_sel_hi:[1,0,0]
	v_add_u32_e32 v2, 0x2148, v47
	v_fma_mix_f32 v4, v3, v178, v4 op_sel_hi:[1,0,0]
	v_fma_mix_f32 v146, v3, v179, v146 op_sel:[1,0,0] op_sel_hi:[1,0,0]
	v_fma_mix_f32 v167, v3, v184, v156 op_sel:[1,0,0] op_sel_hi:[1,0,0]
	v_fma_mix_f32 v168, v3, v188, v154 op_sel_hi:[1,0,0]
	ds_read2_b32 v[2:3], v2 offset1:1
	v_pk_mul_f32 v[138:139], v[138:139], v[162:163] op_sel_hi:[1,0]
	v_mov_b32_e32 v154, 0
	v_pk_fma_f32 v[138:139], v[158:159], v[160:161], v[138:139] op_sel_hi:[1,0,1] neg_lo:[0,0,1] neg_hi:[0,0,1]
	v_dot4c_i32_i8_e32 v154, v164, v18
	v_add_u32_e32 v156, 0x2150, v47
	v_add_u32_e32 v160, 0x2158, v47
	;; [unrolled: 1-line block ×3, first 2 shown]
	v_dot4c_i32_i8_e32 v154, v165, v19
	ds_read2_b32 v[158:159], v156 offset1:1
	ds_read2_b32 v[160:161], v160 offset1:1
	;; [unrolled: 1-line block ×3, first 2 shown]
	s_waitcnt lgkmcnt(3)
	v_dot4c_i32_i8_e32 v154, v2, v20
	v_dot4c_i32_i8_e32 v154, v3, v21
	s_waitcnt lgkmcnt(2)
	v_dot4c_i32_i8_e32 v154, v158, v14
	v_dot4c_i32_i8_e32 v154, v159, v15
	;; [unrolled: 3-line block ×3, first 2 shown]
	v_bfe_u32 v2, v144, 16, 8
	v_lshrrev_b32_e32 v175, 24, v144
	v_mov_b32_e32 v144, 0
	v_mul_lo_u32 v2, v154, v2
	v_add_u32_e32 v154, 0x2168, v47
	ds_read2_b32 v[158:159], v154 offset1:1
	s_waitcnt lgkmcnt(1)
	v_dot4c_i32_i8_e32 v144, v162, v10
	v_add_u32_e32 v156, 0x2170, v47
	v_add_u32_e32 v162, 0x2178, v47
	v_dot4c_i32_i8_e32 v144, v163, v11
	v_add_u32_e32 v154, 0x41c0, v47
	ds_read2_b32 v[160:161], v156 offset1:1
	ds_read2_b32 v[162:163], v162 offset1:1
	;; [unrolled: 1-line block ×3, first 2 shown]
	s_waitcnt lgkmcnt(3)
	v_dot4c_i32_i8_e32 v144, v158, v12
	v_dot4c_i32_i8_e32 v144, v159, v13
	s_waitcnt lgkmcnt(2)
	v_dot4c_i32_i8_e32 v144, v160, v6
	v_dot4c_i32_i8_e32 v144, v161, v7
	s_waitcnt lgkmcnt(1)
	v_dot4c_i32_i8_e32 v144, v162, v8
	v_cvt_f32_f16_sdwa v159, v173 dst_sel:DWORD dst_unused:UNUSED_PAD src0_sel:WORD_1
	v_dot4c_i32_i8_e32 v144, v163, v9
	v_cvt_f32_i32_e32 v2, v2
	v_cvt_f32_f16_e32 v158, v173
	v_mul_f32_e32 v146, v146, v159
	v_mul_lo_u32 v144, v144, v175
	v_cvt_f32_i32_e32 v144, v144
	v_cvt_f32_ubyte2_e32 v3, v145
	v_fma_mix_f32 v161, v4, v173, -v146 op_sel_hi:[0,1,0]
	v_mov_b32_e32 v146, v155
	v_cvt_f32_ubyte3_e32 v145, v145
	v_pk_fma_f32 v[2:3], v[146:147], v[2:3], 0 op_sel_hi:[1,1,0]
	v_mov_b32_e32 v4, v157
	v_pk_fma_f32 v[2:3], v[4:5], v[144:145], v[2:3]
	v_mov_b32_e32 v160, v138
	v_pk_mul_f32 v[144:145], v[2:3], v[158:159]
	v_pk_add_f32 v[120:121], v[120:121], v[160:161]
	v_mov_b32_e32 v145, v144
	v_pk_fma_f32 v[2:3], v[2:3], v[158:159], v[144:145] neg_lo:[1,0,0] neg_hi:[1,0,0]
	v_mov_b32_e32 v156, 0
	v_mov_b32_e32 v2, v139
	v_pk_add_f32 v[120:121], v[120:121], v[2:3]
	v_add_u32_e32 v2, 0x41c8, v47
	ds_read2_b32 v[2:3], v2 offset1:1
	s_waitcnt lgkmcnt(1)
	v_dot4c_i32_i8_e32 v156, v164, v18
	v_add_u32_e32 v138, 0x41d0, v47
	v_add_u32_e32 v144, 0x41d8, v47
	;; [unrolled: 1-line block ×3, first 2 shown]
	v_dot4c_i32_i8_e32 v156, v165, v19
	ds_read2_b32 v[138:139], v138 offset1:1
	ds_read2_b32 v[144:145], v144 offset1:1
	;; [unrolled: 1-line block ×3, first 2 shown]
	s_waitcnt lgkmcnt(3)
	v_dot4c_i32_i8_e32 v156, v2, v20
	v_dot4c_i32_i8_e32 v156, v3, v21
	s_waitcnt lgkmcnt(2)
	v_dot4c_i32_i8_e32 v156, v138, v14
	v_add_u32_e32 v138, 0x41e8, v47
	v_dot4c_i32_i8_e32 v156, v139, v15
	ds_read2_b32 v[138:139], v138 offset1:1
	s_waitcnt lgkmcnt(2)
	v_dot4c_i32_i8_e32 v156, v144, v16
	v_lshrrev_b32_e32 v180, 24, v142
	v_dot4c_i32_i8_e32 v156, v145, v17
	v_bfe_u32 v2, v142, 16, 8
	v_mov_b32_e32 v142, 0
	s_waitcnt lgkmcnt(1)
	v_dot4c_i32_i8_e32 v142, v154, v10
	v_mul_lo_u32 v2, v156, v2
	v_add_u32_e32 v144, 0x41f0, v47
	v_add_u32_e32 v154, 0x41f8, v47
	;; [unrolled: 1-line block ×3, first 2 shown]
	v_dot4c_i32_i8_e32 v142, v155, v11
	ds_read2_b32 v[144:145], v144 offset1:1
	ds_read2_b32 v[154:155], v154 offset1:1
	;; [unrolled: 1-line block ×3, first 2 shown]
	s_waitcnt lgkmcnt(3)
	v_dot4c_i32_i8_e32 v142, v138, v12
	v_dot4c_i32_i8_e32 v142, v139, v13
	s_waitcnt lgkmcnt(2)
	v_dot4c_i32_i8_e32 v142, v144, v6
	v_dot4c_i32_i8_e32 v142, v145, v7
	;; [unrolled: 3-line block ×3, first 2 shown]
	v_cvt_f32_i32_e32 v2, v2
	v_cvt_f32_f16_sdwa v139, v174 dst_sel:DWORD dst_unused:UNUSED_PAD src0_sel:WORD_1
	v_cvt_f32_ubyte2_e32 v3, v143
	v_mul_lo_u32 v138, v142, v180
	v_cvt_f32_i32_e32 v142, v138
	v_cvt_f32_f16_e32 v138, v174
	v_cvt_f32_ubyte3_e32 v143, v143
	v_pk_fma_f32 v[2:3], v[146:147], v[2:3], 0 op_sel_hi:[1,1,0]
	v_mul_f32_e32 v144, v167, v139
	v_pk_fma_f32 v[2:3], v[4:5], v[142:143], v[2:3]
	v_fma_mix_f32 v144, v166, v174, -v144 op_sel_hi:[0,1,0]
	v_pk_mul_f32 v[2:3], v[2:3], v[138:139]
	v_add_f32_e32 v23, v23, v144
	v_sub_f32_e32 v2, v2, v3
	v_add_f32_e32 v23, v23, v2
	v_add_u32_e32 v2, 0x6248, v47
	ds_read2_b32 v[2:3], v2 offset1:1
	v_mov_b32_e32 v144, 0
	s_waitcnt lgkmcnt(1)
	v_dot4c_i32_i8_e32 v144, v156, v18
	v_add_u32_e32 v18, 0x6250, v47
	v_add_u32_e32 v138, 0x6258, v47
	;; [unrolled: 1-line block ×3, first 2 shown]
	v_dot4c_i32_i8_e32 v144, v157, v19
	ds_read2_b32 v[18:19], v18 offset1:1
	ds_read2_b32 v[138:139], v138 offset1:1
	;; [unrolled: 1-line block ×3, first 2 shown]
	s_waitcnt lgkmcnt(3)
	v_dot4c_i32_i8_e32 v144, v2, v20
	v_dot4c_i32_i8_e32 v144, v3, v21
	s_waitcnt lgkmcnt(2)
	v_dot4c_i32_i8_e32 v144, v18, v14
	v_mov_b32_e32 v18, 0
	s_waitcnt lgkmcnt(0)
	v_dot4c_i32_i8_e32 v18, v142, v10
	v_add_u32_e32 v10, 0x6268, v47
	v_dot4c_i32_i8_e32 v18, v143, v11
	ds_read2_b32 v[10:11], v10 offset1:1
	v_add_u32_e32 v14, 0x6270, v47
	v_dot4c_i32_i8_e32 v144, v19, v15
	ds_read2_b32 v[14:15], v14 offset1:1
	v_dot4c_i32_i8_e32 v144, v138, v16
	v_add_u32_e32 v16, 0x6278, v47
	v_dot4c_i32_i8_e32 v144, v139, v17
	ds_read2_b32 v[16:17], v16 offset1:1
	s_waitcnt lgkmcnt(2)
	v_dot4c_i32_i8_e32 v18, v10, v12
	v_dot4c_i32_i8_e32 v18, v11, v13
	s_waitcnt lgkmcnt(1)
	v_dot4c_i32_i8_e32 v18, v14, v6
	v_dot4c_i32_i8_e32 v18, v15, v7
	v_bfe_u32 v2, v140, 16, 8
	s_waitcnt lgkmcnt(0)
	v_dot4c_i32_i8_e32 v18, v16, v8
	v_lshrrev_b32_e32 v185, 24, v140
	v_mul_lo_u32 v2, v144, v2
	v_dot4c_i32_i8_e32 v18, v17, v9
	v_cvt_f32_i32_e32 v2, v2
	v_cvt_f32_f16_sdwa v7, v25 dst_sel:DWORD dst_unused:UNUSED_PAD src0_sel:WORD_1
	v_cvt_f32_ubyte2_e32 v3, v141
	v_mul_lo_u32 v6, v18, v185
	v_cvt_f32_i32_e32 v8, v6
	v_cvt_f32_f16_e32 v6, v25
	v_cvt_f32_ubyte3_e32 v9, v141
	v_pk_fma_f32 v[2:3], v[146:147], v[2:3], 0 op_sel_hi:[1,1,0]
	v_mul_f32_e32 v10, v169, v7
	v_pk_fma_f32 v[2:3], v[4:5], v[8:9], v[2:3]
	v_fma_mix_f32 v10, v168, v25, -v10 op_sel_hi:[0,1,0]
	v_pk_mul_f32 v[2:3], v[2:3], v[6:7]
	v_add_f32_e32 v10, v27, v10
	v_sub_f32_e32 v2, v2, v3
	v_add_f32_e32 v27, v10, v2
	s_barrier
.LBB234_5:                              ;   in Loop: Header=BB234_6 Depth=1
	s_add_i32 s26, s26, -1
	s_addk_i32 s4, 0x100
	v_add_u32_e32 v24, 8, v24
	v_add_u32_e32 v51, 8, v51
	;; [unrolled: 1-line block ×3, first 2 shown]
	v_lshl_add_u64 v[62:63], v[62:63], 0, s[12:13]
	v_lshl_add_u64 v[64:65], v[64:65], 0, s[12:13]
	;; [unrolled: 1-line block ×36, first 2 shown]
	s_cmp_eq_u32 s26, 0
	v_lshl_add_u64 v[136:137], v[136:137], 0, s[12:13]
	s_cbranch_scc1 .LBB234_19
.LBB234_6:                              ; =>This Inner Loop Header: Depth=1
	v_lshl_add_u64 v[2:3], v[64:65], 0, s[18:19]
	global_load_dword v12, v[2:3], off
	v_lshl_add_u64 v[2:3], v[62:63], 0, s[18:19]
	global_load_dword v13, v[2:3], off
	;; [unrolled: 2-line block ×12, first 2 shown]
	v_lshl_add_u64 v[2:3], v[88:89], 0, s[18:19]
	v_lshl_add_u64 v[4:5], v[86:87], 0, s[18:19]
	global_load_dword v139, v[2:3], off
	global_load_dword v140, v[4:5], off
	v_lshl_add_u64 v[6:7], v[92:93], 0, s[18:19]
	v_lshl_add_u64 v[8:9], v[90:91], 0, s[18:19]
	;; [unrolled: 1-line block ×5, first 2 shown]
	global_load_dword v6, v[6:7], off
	s_nop 0
	global_load_dword v7, v[8:9], off
	s_nop 0
	global_load_dword v8, v[2:3], off
	global_load_dword v9, v[10:11], off
	s_nop 0
	global_load_dword v4, v[4:5], off
	s_add_i32 s2, s4, 0xffffff80
	s_cmp_lt_i32 s2, s5
	s_waitcnt vmcnt(18)
	v_lshrrev_b32_e32 v3, 4, v12
	v_and_b32_e32 v2, 0xf0f0f0f, v12
	s_waitcnt vmcnt(17)
	v_ashrrev_i32_e32 v5, v148, v13
	v_ashrrev_i32_e32 v10, v149, v13
	s_waitcnt vmcnt(16)
	v_and_b32_e32 v11, 0xf0f0f0f, v14
	v_lshrrev_b32_e32 v12, 4, v14
	s_waitcnt vmcnt(15)
	v_ashrrev_i32_e32 v13, v148, v15
	v_ashrrev_i32_e32 v14, v149, v15
	s_waitcnt vmcnt(14)
	v_and_b32_e32 v15, 0xf0f0f0f, v16
	v_lshrrev_b32_e32 v16, 4, v16
	;; [unrolled: 6-line block ×3, first 2 shown]
	s_waitcnt vmcnt(11)
	v_ashrrev_i32_e32 v143, v148, v19
	v_ashrrev_i32_e32 v19, v149, v19
	v_and_b32_e32 v3, 0xf0f0f0f, v3
	v_lshlrev_b32_e32 v5, 4, v5
	v_lshlrev_b32_e32 v10, 4, v10
	s_waitcnt vmcnt(10)
	v_and_b32_e32 v144, 0xf0f0f0f, v20
	v_lshrrev_b32_e32 v20, 4, v20
	s_waitcnt vmcnt(9)
	v_ashrrev_i32_e32 v145, v148, v21
	v_ashrrev_i32_e32 v21, v149, v21
	v_and_b32_e32 v12, 0xf0f0f0f, v12
	v_lshlrev_b32_e32 v13, 4, v13
	v_lshlrev_b32_e32 v14, 4, v14
	v_and_b32_e32 v16, 0xf0f0f0f, v16
	v_lshlrev_b32_e32 v141, 4, v141
	v_lshlrev_b32_e32 v17, 4, v17
	;; [unrolled: 3-line block ×3, first 2 shown]
	v_and_or_b32 v2, v5, s6, v2
	v_and_or_b32 v3, v10, s6, v3
	v_and_b32_e32 v20, 0xf0f0f0f, v20
	v_lshlrev_b32_e32 v145, 4, v145
	v_lshlrev_b32_e32 v21, 4, v21
	v_and_or_b32 v5, v13, s6, v11
	v_and_or_b32 v10, v14, s6, v12
	;; [unrolled: 1-line block ×6, first 2 shown]
	ds_write2_b32 v26, v2, v3 offset1:8
	ds_write2_b32 v28, v5, v10 offset1:8
	;; [unrolled: 1-line block ×4, first 2 shown]
	v_lshl_add_u64 v[2:3], v[98:99], 0, s[18:19]
	v_and_or_b32 v5, v145, s6, v144
	global_load_dword v10, v[2:3], off
	v_and_or_b32 v2, v21, s6, v20
	ds_write2_b32 v34, v5, v2 offset1:8
	s_waitcnt vmcnt(9)
	v_lshrrev_b32_e32 v2, 4, v25
	v_and_b32_e32 v11, 0xf0f0f0f, v2
	v_lshl_add_u64 v[2:3], v[104:105], 0, s[18:19]
	global_load_dword v12, v[2:3], off
	v_lshl_add_u64 v[2:3], v[102:103], 0, s[18:19]
	s_waitcnt vmcnt(9)
	v_ashrrev_i32_e32 v13, v148, v138
	global_load_dword v14, v[2:3], off
	v_ashrrev_i32_e32 v3, v149, v138
	v_and_b32_e32 v5, 0xf0f0f0f, v25
	v_lshlrev_b32_e32 v2, 4, v13
	v_lshlrev_b32_e32 v3, 4, v3
	v_and_or_b32 v5, v2, s6, v5
	v_and_or_b32 v11, v3, s6, v11
	v_lshl_add_u64 v[2:3], v[108:109], 0, s[18:19]
	global_load_dword v13, v[2:3], off
	v_lshl_add_u64 v[2:3], v[106:107], 0, s[18:19]
	ds_write2_b32 v36, v5, v11 offset1:8
	global_load_dword v5, v[2:3], off
	s_waitcnt vmcnt(11)
	v_lshrrev_b32_e32 v2, 4, v139
	v_and_b32_e32 v15, 0xf0f0f0f, v2
	s_waitcnt vmcnt(10)
	v_ashrrev_i32_e32 v2, v148, v140
	v_lshlrev_b32_e32 v16, 4, v2
	v_lshl_add_u64 v[2:3], v[112:113], 0, s[18:19]
	global_load_dword v17, v[2:3], off
	v_ashrrev_i32_e32 v18, v149, v140
	v_lshl_add_u64 v[2:3], v[110:111], 0, s[18:19]
	v_and_b32_e32 v11, 0xf0f0f0f, v139
	global_load_dword v19, v[2:3], off
	v_lshlrev_b32_e32 v2, 4, v18
	v_and_or_b32 v3, v16, s6, v11
	v_and_or_b32 v2, v2, s6, v15
	ds_write2_b32 v38, v3, v2 offset1:8
	v_lshl_add_u64 v[2:3], v[116:117], 0, s[18:19]
	global_load_dword v15, v[2:3], off
	v_lshl_add_u64 v[2:3], v[114:115], 0, s[18:19]
	global_load_dword v16, v[2:3], off
	s_waitcnt vmcnt(12)
	v_ashrrev_i32_e32 v2, v148, v7
	v_lshlrev_b32_e32 v18, 4, v2
	v_ashrrev_i32_e32 v2, v149, v7
	v_and_b32_e32 v11, 0xf0f0f0f, v6
	v_lshrrev_b32_e32 v6, 4, v6
	v_lshlrev_b32_e32 v7, 4, v2
	v_lshl_add_u64 v[2:3], v[122:123], 0, s[18:19]
	v_and_b32_e32 v6, 0xf0f0f0f, v6
	global_load_dword v20, v[2:3], off
	v_lshl_add_u64 v[2:3], v[118:119], 0, s[18:19]
	v_and_or_b32 v11, v18, s6, v11
	global_load_dword v18, v[2:3], off
	v_and_or_b32 v2, v7, s6, v6
	ds_write2_b32 v40, v11, v2 offset1:8
	s_waitcnt vmcnt(13)
	v_lshrrev_b32_e32 v2, 4, v8
	v_and_b32_e32 v7, 0xf0f0f0f, v2
	v_lshl_add_u64 v[2:3], v[126:127], 0, s[18:19]
	v_and_b32_e32 v6, 0xf0f0f0f, v8
	global_load_dword v8, v[2:3], off
	s_waitcnt vmcnt(13)
	v_ashrrev_i32_e32 v11, v148, v9
	v_lshl_add_u64 v[2:3], v[124:125], 0, s[18:19]
	global_load_dword v21, v[2:3], off
	v_lshlrev_b32_e32 v2, 4, v11
	v_ashrrev_i32_e32 v3, v149, v9
	v_lshlrev_b32_e32 v9, 4, v3
	v_and_or_b32 v6, v2, s6, v6
	v_lshl_add_u64 v[2:3], v[128:129], 0, s[18:19]
	global_load_dword v11, v[2:3], off
	v_lshl_add_u64 v[2:3], v[130:131], 0, s[18:19]
	global_load_dword v25, v[2:3], off
	;; [unrolled: 2-line block ×3, first 2 shown]
	v_lshl_add_u64 v[2:3], v[134:135], 0, s[18:19]
	v_and_or_b32 v7, v9, s6, v7
	global_load_dword v9, v[2:3], off
	v_lshl_add_u64 v[2:3], v[136:137], 0, s[18:19]
	global_load_dword v2, v[2:3], off
	ds_write2_b32 v42, v6, v7 offset1:8
	s_waitcnt vmcnt(18)
	v_and_b32_e32 v3, 0xf0f0f0f, v4
	v_lshrrev_b32_e32 v4, 4, v4
	v_and_b32_e32 v4, 0xf0f0f0f, v4
	s_waitcnt vmcnt(17)
	v_ashrrev_i32_e32 v6, v148, v10
	v_ashrrev_i32_e32 v7, v149, v10
	v_lshlrev_b32_e32 v6, 4, v6
	v_lshlrev_b32_e32 v7, 4, v7
	v_and_or_b32 v3, v6, s6, v3
	v_and_or_b32 v4, v7, s6, v4
	ds_write2_b32 v44, v3, v4 offset1:8
	s_waitcnt vmcnt(16)
	v_lshrrev_b32_e32 v4, 4, v12
	v_and_b32_e32 v3, 0xf0f0f0f, v12
	s_waitcnt vmcnt(15)
	v_ashrrev_i32_e32 v6, v148, v14
	v_ashrrev_i32_e32 v7, v149, v14
	v_and_b32_e32 v4, 0xf0f0f0f, v4
	v_lshlrev_b32_e32 v6, 4, v6
	v_lshlrev_b32_e32 v7, 4, v7
	v_and_or_b32 v3, v6, s6, v3
	v_and_or_b32 v4, v7, s6, v4
	ds_write2_b32 v46, v3, v4 offset1:8
	s_waitcnt vmcnt(14)
	v_lshrrev_b32_e32 v4, 4, v13
	v_and_b32_e32 v3, 0xf0f0f0f, v13
	v_and_b32_e32 v4, 0xf0f0f0f, v4
	s_waitcnt vmcnt(13)
	v_ashrrev_i32_e32 v6, v148, v5
	v_ashrrev_i32_e32 v5, v149, v5
	v_lshlrev_b32_e32 v6, 4, v6
	v_lshlrev_b32_e32 v5, 4, v5
	v_and_or_b32 v3, v6, s6, v3
	v_and_or_b32 v4, v5, s6, v4
	ds_write2_b32 v48, v3, v4 offset1:8
	s_waitcnt vmcnt(12)
	v_lshrrev_b32_e32 v4, 4, v17
	v_and_b32_e32 v3, 0xf0f0f0f, v17
	v_and_b32_e32 v4, 0xf0f0f0f, v4
	s_waitcnt vmcnt(11)
	v_ashrrev_i32_e32 v5, v148, v19
	v_ashrrev_i32_e32 v6, v149, v19
	v_lshlrev_b32_e32 v5, 4, v5
	v_lshlrev_b32_e32 v6, 4, v6
	v_and_or_b32 v3, v5, s6, v3
	v_and_or_b32 v4, v6, s6, v4
	ds_write2_b32 v50, v3, v4 offset1:8
	s_waitcnt vmcnt(10)
	v_lshrrev_b32_e32 v4, 4, v15
	s_waitcnt vmcnt(9)
	v_ashrrev_i32_e32 v5, v148, v16
	v_ashrrev_i32_e32 v6, v149, v16
	v_and_b32_e32 v3, 0xf0f0f0f, v15
	v_and_b32_e32 v4, 0xf0f0f0f, v4
	v_lshlrev_b32_e32 v5, 4, v5
	v_lshlrev_b32_e32 v6, 4, v6
	v_and_or_b32 v3, v5, s6, v3
	v_and_or_b32 v4, v6, s6, v4
	ds_write2_b32 v52, v3, v4 offset1:8
	s_waitcnt vmcnt(8)
	v_lshrrev_b32_e32 v4, 4, v20
	v_and_b32_e32 v3, 0xf0f0f0f, v20
	v_and_b32_e32 v4, 0xf0f0f0f, v4
	s_waitcnt vmcnt(7)
	v_ashrrev_i32_e32 v5, v148, v18
	v_ashrrev_i32_e32 v6, v149, v18
	v_lshlrev_b32_e32 v5, 4, v5
	v_lshlrev_b32_e32 v6, 4, v6
	v_and_or_b32 v3, v5, s6, v3
	v_and_or_b32 v4, v6, s6, v4
	ds_write2_b32 v54, v3, v4 offset1:8
	s_waitcnt vmcnt(6)
	v_lshrrev_b32_e32 v4, 4, v8
	v_and_b32_e32 v3, 0xf0f0f0f, v8
	v_and_b32_e32 v4, 0xf0f0f0f, v4
	s_waitcnt vmcnt(5)
	v_ashrrev_i32_e32 v5, v148, v21
	v_ashrrev_i32_e32 v6, v149, v21
	v_lshlrev_b32_e32 v5, 4, v5
	v_lshlrev_b32_e32 v6, 4, v6
	v_and_or_b32 v3, v5, s6, v3
	v_and_or_b32 v4, v6, s6, v4
	ds_write2_b32 v56, v3, v4 offset1:8
	s_waitcnt vmcnt(4)
	ds_write_b32 v29, v11
	s_waitcnt vmcnt(3)
	v_ashrrev_i32_e32 v3, v31, v25
	v_and_b32_e32 v3, 0xf0f0f0f, v3
	s_waitcnt vmcnt(2)
	v_ashrrev_i32_e32 v4, v33, v138
	v_and_or_b32 v3, v4, s24, v3
	ds_write_b32 v22, v3
	s_waitcnt vmcnt(1)
	v_ashrrev_i32_e32 v3, v31, v9
	v_and_b32_e32 v3, 0xf0f0f0f, v3
	s_waitcnt vmcnt(0)
	v_ashrrev_i32_e32 v2, v33, v2
	v_and_or_b32 v2, v2, s24, v3
	ds_write_b32 v153, v2
	s_cbranch_scc0 .LBB234_5
; %bb.7:                                ;   in Loop: Header=BB234_6 Depth=1
	v_cmp_gt_i32_e64 s[2:3], s8, v39
	s_and_b64 s[22:23], s[0:1], s[2:3]
	s_and_saveexec_b64 s[2:3], s[22:23]
	s_cbranch_execz .LBB234_9
; %bb.8:                                ;   in Loop: Header=BB234_6 Depth=1
	v_add_u32_e32 v2, v60, v39
	v_mad_i64_i32 v[2:3], s[22:23], v2, 36, v[58:59]
	global_load_dword v2, v[2:3], off offset:4
	s_waitcnt vmcnt(0)
	ds_write_b32 v35, v2
.LBB234_9:                              ;   in Loop: Header=BB234_6 Depth=1
	s_or_b64 exec, exec, s[2:3]
	s_and_saveexec_b64 s[22:23], vcc
	s_cbranch_execz .LBB234_12
; %bb.10:                               ;   in Loop: Header=BB234_6 Depth=1
	v_cmp_gt_i32_e64 s[2:3], s8, v24
	s_and_b64 s[2:3], s[0:1], s[2:3]
	s_and_b64 exec, exec, s[2:3]
	s_cbranch_execz .LBB234_12
; %bb.11:                               ;   in Loop: Header=BB234_6 Depth=1
	v_add_u32_e32 v2, v60, v24
	v_mad_i64_i32 v[2:3], s[2:3], v2, 36, s[14:15]
	global_load_dword v2, v[2:3], off
	s_waitcnt vmcnt(0)
	ds_write_b32 v37, v2
.LBB234_12:                             ;   in Loop: Header=BB234_6 Depth=1
	s_or_b64 exec, exec, s[22:23]
	s_waitcnt lgkmcnt(0)
	s_barrier
	ds_read_b128 v[18:21], v41
	ds_read_b128 v[14:17], v41 offset:16
	ds_read_b128 v[2:5], v43 offset:36944
	ds_read2_b32 v[138:139], v47 offset1:1
	ds_read_b128 v[10:13], v41 offset:32
	ds_read_b128 v[6:9], v41 offset:48
	ds_read_b32 v25, v49
	ds_read2_b32 v[140:141], v47 offset0:2 offset1:3
	v_mov_b32_e32 v161, 0
	s_waitcnt lgkmcnt(4)
	v_dot4c_i32_i8_e32 v161, v138, v18
	v_dot4c_i32_i8_e32 v161, v139, v19
	ds_read2_b32 v[142:143], v47 offset0:4 offset1:5
	ds_read2_b32 v[144:145], v47 offset0:6 offset1:7
	;; [unrolled: 1-line block ×3, first 2 shown]
	s_waitcnt lgkmcnt(3)
	v_dot4c_i32_i8_e32 v161, v140, v20
	v_dot4c_i32_i8_e32 v161, v141, v21
	ds_read2_b32 v[140:141], v47 offset0:10 offset1:11
	v_mov_b32_e32 v172, 0
	s_waitcnt lgkmcnt(3)
	v_dot4c_i32_i8_e32 v161, v142, v14
	s_waitcnt lgkmcnt(1)
	v_dot4c_i32_i8_e32 v172, v146, v10
	v_dot4c_i32_i8_e32 v161, v143, v15
	v_dot4c_i32_i8_e32 v172, v147, v11
	v_dot4c_i32_i8_e32 v161, v144, v16
	s_waitcnt lgkmcnt(0)
	v_dot4c_i32_i8_e32 v172, v140, v12
	v_cvt_f32_f16_e32 v160, v25
	v_cvt_f32_f16_sdwa v162, v25 dst_sel:DWORD dst_unused:UNUSED_PAD src0_sel:WORD_1
	v_add_u32_e32 v25, 0x2080, v47
	ds_read2_b32 v[138:139], v45 offset1:2
	v_dot4c_i32_i8_e32 v161, v145, v17
	ds_read2_b32 v[142:143], v47 offset0:12 offset1:13
	ds_read2_b32 v[144:145], v47 offset0:14 offset1:15
	;; [unrolled: 1-line block ×3, first 2 shown]
	v_dot4c_i32_i8_e32 v172, v141, v13
	ds_read2_b32 v[154:155], v47 offset0:26 offset1:27
	ds_read2_b32 v[156:157], v47 offset0:28 offset1:29
	;; [unrolled: 1-line block ×3, first 2 shown]
	ds_read2_b32 v[140:141], v25 offset1:1
	v_mov_b32_e32 v168, 0
	ds_read_b32 v173, v55 offset:128
	ds_read_b32 v174, v150 offset:256
	;; [unrolled: 1-line block ×3, first 2 shown]
	s_waitcnt lgkmcnt(9)
	v_dot4c_i32_i8_e32 v172, v142, v6
	v_dot4c_i32_i8_e32 v172, v143, v7
	s_waitcnt lgkmcnt(3)
	v_dot4c_i32_i8_e32 v168, v140, v18
	v_add_u32_e32 v140, 0x2088, v47
	v_dot4c_i32_i8_e32 v168, v141, v19
	ds_read2_b32 v[140:141], v140 offset1:1
	v_dot4c_i32_i8_e32 v172, v144, v8
	v_add_u32_e32 v142, 0x2090, v47
	v_dot4c_i32_i8_e32 v172, v145, v9
	v_add_u32_e32 v144, 0x2098, v47
	v_add_u32_e32 v145, 0x20a0, v47
	ds_read2_b32 v[142:143], v142 offset1:1
	ds_read2_b32 v[164:165], v144 offset1:1
	;; [unrolled: 1-line block ×3, first 2 shown]
	s_waitcnt lgkmcnt(3)
	v_dot4c_i32_i8_e32 v168, v140, v20
	ds_read2_b32 v[144:145], v53 offset1:2
	v_dot4c_i32_i8_e32 v168, v141, v21
	s_waitcnt lgkmcnt(3)
	v_dot4c_i32_i8_e32 v168, v142, v14
	v_dot4c_i32_i8_e32 v168, v143, v15
	s_waitcnt lgkmcnt(2)
	v_dot4c_i32_i8_e32 v168, v164, v16
	v_dot4c_i32_i8_e32 v168, v165, v17
	s_waitcnt lgkmcnt(0)
	v_and_b32_e32 v140, 0xff, v144
	v_add_u32_e32 v142, 0x20b0, v47
	v_add_u32_e32 v164, 0x20b8, v47
	v_mul_lo_u32 v140, v168, v140
	v_cvt_f32_i32_e32 v176, v140
	v_add_u32_e32 v140, 0x20a8, v47
	ds_read2_b32 v[140:141], v140 offset1:1
	v_mov_b32_e32 v168, 0
	v_dot4c_i32_i8_e32 v168, v166, v10
	v_add_u32_e32 v166, 0x4100, v47
	v_dot4c_i32_i8_e32 v168, v167, v11
	ds_read2_b32 v[142:143], v142 offset1:1
	ds_read2_b32 v[164:165], v164 offset1:1
	;; [unrolled: 1-line block ×3, first 2 shown]
	s_waitcnt lgkmcnt(3)
	v_dot4c_i32_i8_e32 v168, v140, v12
	v_dot4c_i32_i8_e32 v168, v141, v13
	s_waitcnt lgkmcnt(2)
	v_dot4c_i32_i8_e32 v168, v142, v6
	v_dot4c_i32_i8_e32 v168, v143, v7
	;; [unrolled: 3-line block ×3, first 2 shown]
	v_bfe_u32 v140, v144, 8, 8
	v_mov_b32_e32 v170, 0
	s_waitcnt lgkmcnt(0)
	v_dot4c_i32_i8_e32 v170, v166, v18
	v_mul_lo_u32 v140, v168, v140
	v_cvt_f32_i32_e32 v178, v140
	v_add_u32_e32 v140, 0x4108, v47
	ds_read2_b32 v[140:141], v140 offset1:1
	v_add_u32_e32 v142, 0x4110, v47
	v_add_u32_e32 v168, 0x4120, v47
	v_dot4c_i32_i8_e32 v170, v167, v19
	v_add_u32_e32 v143, 0x4118, v47
	ds_read2_b32 v[164:165], v142 offset1:1
	ds_read2_b32 v[166:167], v143 offset1:1
	;; [unrolled: 1-line block ×3, first 2 shown]
	s_waitcnt lgkmcnt(3)
	v_dot4c_i32_i8_e32 v170, v140, v20
	ds_read2_b32 v[142:143], v57 offset1:2
	v_dot4c_i32_i8_e32 v170, v141, v21
	s_waitcnt lgkmcnt(3)
	v_dot4c_i32_i8_e32 v170, v164, v14
	v_dot4c_i32_i8_e32 v170, v165, v15
	s_waitcnt lgkmcnt(2)
	v_dot4c_i32_i8_e32 v170, v166, v16
	v_dot4c_i32_i8_e32 v170, v167, v17
	s_waitcnt lgkmcnt(0)
	v_and_b32_e32 v140, 0xff, v142
	v_add_u32_e32 v164, 0x4130, v47
	v_add_u32_e32 v166, 0x4138, v47
	v_mul_lo_u32 v140, v170, v140
	v_cvt_f32_i32_e32 v181, v140
	v_add_u32_e32 v140, 0x4128, v47
	ds_read2_b32 v[140:141], v140 offset1:1
	v_mov_b32_e32 v170, 0
	v_dot4c_i32_i8_e32 v170, v168, v10
	v_add_u32_e32 v168, 0x6180, v47
	v_dot4c_i32_i8_e32 v170, v169, v11
	ds_read2_b32 v[164:165], v164 offset1:1
	ds_read2_b32 v[166:167], v166 offset1:1
	;; [unrolled: 1-line block ×3, first 2 shown]
	s_waitcnt lgkmcnt(3)
	v_dot4c_i32_i8_e32 v170, v140, v12
	v_dot4c_i32_i8_e32 v170, v141, v13
	s_waitcnt lgkmcnt(2)
	v_dot4c_i32_i8_e32 v170, v164, v6
	v_dot4c_i32_i8_e32 v170, v165, v7
	;; [unrolled: 3-line block ×3, first 2 shown]
	v_bfe_u32 v140, v142, 8, 8
	v_add_u32_e32 v141, 0x6198, v47
	v_mov_b32_e32 v190, 0
	v_mul_lo_u32 v140, v170, v140
	v_mov_b32_e32 v170, 0
	s_waitcnt lgkmcnt(0)
	v_dot4c_i32_i8_e32 v170, v168, v18
	v_add_u32_e32 v18, 0x6188, v47
	v_dot4c_i32_i8_e32 v170, v169, v19
	ds_read2_b32 v[18:19], v18 offset1:1
	v_cvt_f32_i32_e32 v183, v140
	v_add_u32_e32 v140, 0x6190, v47
	v_add_u32_e32 v168, 0x61a0, v47
	ds_read2_b32 v[164:165], v140 offset1:1
	ds_read2_b32 v[166:167], v141 offset1:1
	;; [unrolled: 1-line block ×3, first 2 shown]
	s_waitcnt lgkmcnt(3)
	v_dot4c_i32_i8_e32 v170, v18, v20
	ds_read2_b32 v[140:141], v151 offset1:2
	v_dot4c_i32_i8_e32 v170, v19, v21
	s_waitcnt lgkmcnt(3)
	v_dot4c_i32_i8_e32 v170, v164, v14
	v_mov_b32_e32 v18, 0
	v_dot4c_i32_i8_e32 v170, v165, v15
	s_waitcnt lgkmcnt(1)
	v_dot4c_i32_i8_e32 v18, v168, v10
	v_add_u32_e32 v10, 0x61a8, v47
	v_dot4c_i32_i8_e32 v170, v166, v16
	v_dot4c_i32_i8_e32 v18, v169, v11
	ds_read2_b32 v[10:11], v10 offset1:1
	v_dot4c_i32_i8_e32 v170, v167, v17
	s_waitcnt lgkmcnt(1)
	v_and_b32_e32 v14, 0xff, v140
	v_add_u32_e32 v16, 0x61b8, v47
	v_add_u32_e32 v19, 0x20c0, v47
	v_mul_lo_u32 v14, v170, v14
	v_cvt_f32_i32_e32 v186, v14
	v_add_u32_e32 v14, 0x61b0, v47
	ds_read2_b32 v[14:15], v14 offset1:1
	ds_read2_b32 v[16:17], v16 offset1:1
	;; [unrolled: 1-line block ×3, first 2 shown]
	s_waitcnt lgkmcnt(3)
	v_dot4c_i32_i8_e32 v18, v10, v12
	v_dot4c_i32_i8_e32 v18, v11, v13
	s_waitcnt lgkmcnt(2)
	v_dot4c_i32_i8_e32 v18, v14, v6
	v_dot4c_i32_i8_e32 v18, v15, v7
	s_waitcnt lgkmcnt(1)
	v_dot4c_i32_i8_e32 v18, v16, v8
	v_dot4c_i32_i8_e32 v18, v17, v9
	v_bfe_u32 v6, v140, 8, 8
	v_lshrrev_b32_e32 v163, 24, v138
	v_cvt_f32_ubyte0_e32 v177, v145
	v_mul_lo_u32 v6, v18, v6
	v_cvt_f32_i32_e32 v188, v6
	ds_read_b128 v[18:21], v41 offset:64
	ds_read_b128 v[14:17], v41 offset:80
	;; [unrolled: 1-line block ×4, first 2 shown]
	ds_read2_b32 v[166:167], v47 offset0:18 offset1:19
	s_waitcnt lgkmcnt(4)
	v_dot4c_i32_i8_e32 v190, v146, v18
	v_dot4c_i32_i8_e32 v190, v147, v19
	ds_read2_b32 v[146:147], v47 offset0:20 offset1:21
	ds_read2_b32 v[168:169], v47 offset0:22 offset1:23
	ds_read2_b32 v[170:171], v47 offset0:24 offset1:25
	v_cvt_f32_ubyte0_e32 v182, v143
	s_waitcnt lgkmcnt(3)
	v_dot4c_i32_i8_e32 v190, v166, v20
	v_mov_b32_e32 v166, 0
	v_dot4c_i32_i8_e32 v190, v167, v21
	s_waitcnt lgkmcnt(0)
	v_dot4c_i32_i8_e32 v166, v170, v10
	v_dot4c_i32_i8_e32 v166, v171, v11
	v_dot4c_i32_i8_e32 v190, v146, v14
	v_dot4c_i32_i8_e32 v166, v154, v12
	v_dot4c_i32_i8_e32 v190, v147, v15
	v_dot4c_i32_i8_e32 v166, v155, v13
	v_dot4c_i32_i8_e32 v190, v168, v16
	v_dot4c_i32_i8_e32 v166, v156, v6
	v_dot4c_i32_i8_e32 v190, v169, v17
	v_dot4c_i32_i8_e32 v166, v157, v7
	v_cvt_f32_f16_e32 v155, v4
	v_cvt_f32_f16_sdwa v147, v4 dst_sel:DWORD dst_unused:UNUSED_PAD src0_sel:WORD_1
	v_and_b32_e32 v4, 0xff, v138
	v_bfe_u32 v156, v138, 16, 8
	v_dot4c_i32_i8_e32 v166, v158, v8
	v_mul_lo_u32 v4, v161, v4
	v_mul_lo_u32 v156, v190, v156
	v_dot4c_i32_i8_e32 v166, v159, v9
	v_cvt_f32_f16_e32 v154, v2
	v_cvt_f32_i32_e32 v159, v156
	v_cvt_f32_i32_e32 v158, v4
	v_bfe_u32 v138, v138, 8, 8
	v_mul_lo_u32 v138, v172, v138
	v_cvt_f32_f16_sdwa v146, v2 dst_sel:DWORD dst_unused:UNUSED_PAD src0_sel:WORD_1
	v_pk_fma_f32 v[158:159], v[154:155], v[158:159], 0 op_sel_hi:[1,1,0]
	v_mul_lo_u32 v154, v166, v163
	v_cvt_f32_f16_e32 v157, v5
	v_cvt_f32_f16_e32 v156, v3
	v_cvt_f32_i32_e32 v167, v154
	v_cvt_f32_i32_e32 v166, v138
	v_cvt_f32_f16_sdwa v5, v5 dst_sel:DWORD dst_unused:UNUSED_PAD src0_sel:WORD_1
	v_cvt_f32_f16_sdwa v4, v3 dst_sel:DWORD dst_unused:UNUSED_PAD src0_sel:WORD_1
	v_cvt_f32_ubyte2_e32 v169, v139
	v_cvt_f32_ubyte0_e32 v168, v139
	v_cvt_f32_ubyte0_e32 v187, v141
	v_pk_fma_f32 v[168:169], v[146:147], v[168:169], 0 op_sel_hi:[1,1,0]
	v_pk_fma_f32 v[158:159], v[156:157], v[166:167], v[158:159]
	v_cvt_f32_ubyte3_e32 v167, v139
	v_cvt_f32_ubyte1_e32 v166, v139
	v_fma_mix_f32 v154, v2, v181, 0 op_sel_hi:[1,0,0]
	v_cvt_f32_ubyte1_e32 v189, v141
	v_pk_fma_f32 v[138:139], v[4:5], v[166:167], v[168:169]
	v_fma_mix_f32 v4, v2, v176, 0 op_sel_hi:[1,0,0]
	v_fma_mix_f32 v146, v2, v177, 0 op_sel:[1,0,0] op_sel_hi:[1,0,0]
	v_fma_mix_f32 v156, v2, v182, 0 op_sel:[1,0,0] op_sel_hi:[1,0,0]
	v_fma_mix_f32 v166, v3, v183, v154 op_sel_hi:[1,0,0]
	v_fma_mix_f32 v154, v2, v186, 0 op_sel_hi:[1,0,0]
	v_fma_mix_f32 v2, v2, v187, 0 op_sel:[1,0,0] op_sel_hi:[1,0,0]
	v_cvt_f32_ubyte1_e32 v179, v145
	v_cvt_f32_ubyte1_e32 v184, v143
	v_fma_mix_f32 v169, v3, v189, v2 op_sel:[1,0,0] op_sel_hi:[1,0,0]
	v_add_u32_e32 v2, 0x20c8, v47
	v_fma_mix_f32 v4, v3, v178, v4 op_sel_hi:[1,0,0]
	v_fma_mix_f32 v146, v3, v179, v146 op_sel:[1,0,0] op_sel_hi:[1,0,0]
	v_fma_mix_f32 v167, v3, v184, v156 op_sel:[1,0,0] op_sel_hi:[1,0,0]
	v_fma_mix_f32 v168, v3, v188, v154 op_sel_hi:[1,0,0]
	ds_read2_b32 v[2:3], v2 offset1:1
	v_pk_mul_f32 v[138:139], v[138:139], v[162:163] op_sel_hi:[1,0]
	v_mov_b32_e32 v154, 0
	v_pk_fma_f32 v[138:139], v[158:159], v[160:161], v[138:139] op_sel_hi:[1,0,1] neg_lo:[0,0,1] neg_hi:[0,0,1]
	v_dot4c_i32_i8_e32 v154, v164, v18
	v_add_u32_e32 v156, 0x20d0, v47
	v_add_u32_e32 v160, 0x20d8, v47
	;; [unrolled: 1-line block ×3, first 2 shown]
	v_dot4c_i32_i8_e32 v154, v165, v19
	ds_read2_b32 v[158:159], v156 offset1:1
	ds_read2_b32 v[160:161], v160 offset1:1
	;; [unrolled: 1-line block ×3, first 2 shown]
	s_waitcnt lgkmcnt(3)
	v_dot4c_i32_i8_e32 v154, v2, v20
	v_dot4c_i32_i8_e32 v154, v3, v21
	s_waitcnt lgkmcnt(2)
	v_dot4c_i32_i8_e32 v154, v158, v14
	v_dot4c_i32_i8_e32 v154, v159, v15
	;; [unrolled: 3-line block ×3, first 2 shown]
	v_bfe_u32 v2, v144, 16, 8
	v_lshrrev_b32_e32 v175, 24, v144
	v_mov_b32_e32 v144, 0
	v_mul_lo_u32 v2, v154, v2
	v_add_u32_e32 v154, 0x20e8, v47
	ds_read2_b32 v[158:159], v154 offset1:1
	s_waitcnt lgkmcnt(1)
	v_dot4c_i32_i8_e32 v144, v162, v10
	v_add_u32_e32 v156, 0x20f0, v47
	v_add_u32_e32 v162, 0x20f8, v47
	v_dot4c_i32_i8_e32 v144, v163, v11
	v_add_u32_e32 v154, 0x4140, v47
	ds_read2_b32 v[160:161], v156 offset1:1
	ds_read2_b32 v[162:163], v162 offset1:1
	;; [unrolled: 1-line block ×3, first 2 shown]
	s_waitcnt lgkmcnt(3)
	v_dot4c_i32_i8_e32 v144, v158, v12
	v_dot4c_i32_i8_e32 v144, v159, v13
	s_waitcnt lgkmcnt(2)
	v_dot4c_i32_i8_e32 v144, v160, v6
	v_dot4c_i32_i8_e32 v144, v161, v7
	s_waitcnt lgkmcnt(1)
	v_dot4c_i32_i8_e32 v144, v162, v8
	v_cvt_f32_f16_sdwa v159, v173 dst_sel:DWORD dst_unused:UNUSED_PAD src0_sel:WORD_1
	v_dot4c_i32_i8_e32 v144, v163, v9
	v_cvt_f32_i32_e32 v2, v2
	v_cvt_f32_f16_e32 v158, v173
	v_mul_f32_e32 v146, v146, v159
	v_mul_lo_u32 v144, v144, v175
	v_cvt_f32_i32_e32 v144, v144
	v_cvt_f32_ubyte2_e32 v3, v145
	v_fma_mix_f32 v161, v4, v173, -v146 op_sel_hi:[0,1,0]
	v_mov_b32_e32 v146, v155
	v_cvt_f32_ubyte3_e32 v145, v145
	v_pk_fma_f32 v[2:3], v[146:147], v[2:3], 0 op_sel_hi:[1,1,0]
	v_mov_b32_e32 v4, v157
	v_pk_fma_f32 v[2:3], v[4:5], v[144:145], v[2:3]
	v_mov_b32_e32 v160, v138
	v_pk_mul_f32 v[144:145], v[2:3], v[158:159]
	v_pk_add_f32 v[120:121], v[120:121], v[160:161]
	v_mov_b32_e32 v145, v144
	v_pk_fma_f32 v[2:3], v[2:3], v[158:159], v[144:145] neg_lo:[1,0,0] neg_hi:[1,0,0]
	v_mov_b32_e32 v156, 0
	v_mov_b32_e32 v2, v139
	v_pk_add_f32 v[120:121], v[120:121], v[2:3]
	v_add_u32_e32 v2, 0x4148, v47
	ds_read2_b32 v[2:3], v2 offset1:1
	s_waitcnt lgkmcnt(1)
	v_dot4c_i32_i8_e32 v156, v164, v18
	v_add_u32_e32 v138, 0x4150, v47
	v_add_u32_e32 v144, 0x4158, v47
	;; [unrolled: 1-line block ×3, first 2 shown]
	v_dot4c_i32_i8_e32 v156, v165, v19
	ds_read2_b32 v[138:139], v138 offset1:1
	ds_read2_b32 v[144:145], v144 offset1:1
	;; [unrolled: 1-line block ×3, first 2 shown]
	s_waitcnt lgkmcnt(3)
	v_dot4c_i32_i8_e32 v156, v2, v20
	v_dot4c_i32_i8_e32 v156, v3, v21
	s_waitcnt lgkmcnt(2)
	v_dot4c_i32_i8_e32 v156, v138, v14
	v_add_u32_e32 v138, 0x4168, v47
	v_dot4c_i32_i8_e32 v156, v139, v15
	ds_read2_b32 v[138:139], v138 offset1:1
	s_waitcnt lgkmcnt(2)
	v_dot4c_i32_i8_e32 v156, v144, v16
	v_lshrrev_b32_e32 v180, 24, v142
	v_dot4c_i32_i8_e32 v156, v145, v17
	v_bfe_u32 v2, v142, 16, 8
	v_mov_b32_e32 v142, 0
	s_waitcnt lgkmcnt(1)
	v_dot4c_i32_i8_e32 v142, v154, v10
	v_mul_lo_u32 v2, v156, v2
	v_add_u32_e32 v144, 0x4170, v47
	v_add_u32_e32 v154, 0x4178, v47
	;; [unrolled: 1-line block ×3, first 2 shown]
	v_dot4c_i32_i8_e32 v142, v155, v11
	ds_read2_b32 v[144:145], v144 offset1:1
	ds_read2_b32 v[154:155], v154 offset1:1
	;; [unrolled: 1-line block ×3, first 2 shown]
	s_waitcnt lgkmcnt(3)
	v_dot4c_i32_i8_e32 v142, v138, v12
	v_dot4c_i32_i8_e32 v142, v139, v13
	s_waitcnt lgkmcnt(2)
	v_dot4c_i32_i8_e32 v142, v144, v6
	v_dot4c_i32_i8_e32 v142, v145, v7
	;; [unrolled: 3-line block ×3, first 2 shown]
	v_cvt_f32_i32_e32 v2, v2
	v_cvt_f32_f16_sdwa v139, v174 dst_sel:DWORD dst_unused:UNUSED_PAD src0_sel:WORD_1
	v_cvt_f32_ubyte2_e32 v3, v143
	v_mul_lo_u32 v138, v142, v180
	v_cvt_f32_i32_e32 v142, v138
	v_cvt_f32_f16_e32 v138, v174
	v_cvt_f32_ubyte3_e32 v143, v143
	v_pk_fma_f32 v[2:3], v[146:147], v[2:3], 0 op_sel_hi:[1,1,0]
	v_mul_f32_e32 v144, v167, v139
	v_pk_fma_f32 v[2:3], v[4:5], v[142:143], v[2:3]
	v_fma_mix_f32 v144, v166, v174, -v144 op_sel_hi:[0,1,0]
	v_pk_mul_f32 v[2:3], v[2:3], v[138:139]
	v_add_f32_e32 v23, v23, v144
	v_sub_f32_e32 v2, v2, v3
	v_add_f32_e32 v23, v23, v2
	v_add_u32_e32 v2, 0x61c8, v47
	ds_read2_b32 v[2:3], v2 offset1:1
	v_mov_b32_e32 v144, 0
	s_waitcnt lgkmcnt(1)
	v_dot4c_i32_i8_e32 v144, v156, v18
	v_add_u32_e32 v18, 0x61d0, v47
	v_add_u32_e32 v138, 0x61d8, v47
	;; [unrolled: 1-line block ×3, first 2 shown]
	v_dot4c_i32_i8_e32 v144, v157, v19
	ds_read2_b32 v[18:19], v18 offset1:1
	ds_read2_b32 v[138:139], v138 offset1:1
	;; [unrolled: 1-line block ×3, first 2 shown]
	s_waitcnt lgkmcnt(3)
	v_dot4c_i32_i8_e32 v144, v2, v20
	v_dot4c_i32_i8_e32 v144, v3, v21
	s_waitcnt lgkmcnt(2)
	v_dot4c_i32_i8_e32 v144, v18, v14
	v_mov_b32_e32 v18, 0
	s_waitcnt lgkmcnt(0)
	v_dot4c_i32_i8_e32 v18, v142, v10
	v_add_u32_e32 v10, 0x61e8, v47
	v_dot4c_i32_i8_e32 v18, v143, v11
	ds_read2_b32 v[10:11], v10 offset1:1
	v_add_u32_e32 v14, 0x61f0, v47
	v_dot4c_i32_i8_e32 v144, v19, v15
	ds_read2_b32 v[14:15], v14 offset1:1
	v_dot4c_i32_i8_e32 v144, v138, v16
	v_add_u32_e32 v16, 0x61f8, v47
	v_dot4c_i32_i8_e32 v144, v139, v17
	ds_read2_b32 v[16:17], v16 offset1:1
	s_waitcnt lgkmcnt(2)
	v_dot4c_i32_i8_e32 v18, v10, v12
	v_dot4c_i32_i8_e32 v18, v11, v13
	s_waitcnt lgkmcnt(1)
	v_dot4c_i32_i8_e32 v18, v14, v6
	v_dot4c_i32_i8_e32 v18, v15, v7
	v_bfe_u32 v2, v140, 16, 8
	s_waitcnt lgkmcnt(0)
	v_dot4c_i32_i8_e32 v18, v16, v8
	v_lshrrev_b32_e32 v185, 24, v140
	v_mul_lo_u32 v2, v144, v2
	v_dot4c_i32_i8_e32 v18, v17, v9
	v_cvt_f32_i32_e32 v2, v2
	v_cvt_f32_f16_sdwa v7, v25 dst_sel:DWORD dst_unused:UNUSED_PAD src0_sel:WORD_1
	v_cvt_f32_ubyte2_e32 v3, v141
	v_mul_lo_u32 v6, v18, v185
	v_cvt_f32_i32_e32 v8, v6
	v_cvt_f32_f16_e32 v6, v25
	v_cvt_f32_ubyte3_e32 v9, v141
	v_pk_fma_f32 v[2:3], v[146:147], v[2:3], 0 op_sel_hi:[1,1,0]
	v_mul_f32_e32 v10, v169, v7
	v_pk_fma_f32 v[2:3], v[4:5], v[8:9], v[2:3]
	v_fma_mix_f32 v10, v168, v25, -v10 op_sel_hi:[0,1,0]
	v_pk_mul_f32 v[2:3], v[2:3], v[6:7]
	v_add_f32_e32 v10, v27, v10
	v_sub_f32_e32 v2, v2, v3
	v_add_f32_e32 v27, v10, v2
	s_cmp_ge_i32 s4, s5
	s_barrier
	s_cbranch_scc1 .LBB234_5
; %bb.13:                               ;   in Loop: Header=BB234_6 Depth=1
	v_cmp_gt_i32_e64 s[2:3], s8, v51
	s_and_b64 s[22:23], s[0:1], s[2:3]
	s_and_saveexec_b64 s[2:3], s[22:23]
	s_cbranch_execz .LBB234_15
; %bb.14:                               ;   in Loop: Header=BB234_6 Depth=1
	v_add_u32_e32 v2, v60, v51
	v_mad_i64_i32 v[2:3], s[22:23], v2, 36, v[58:59]
	global_load_dword v2, v[2:3], off offset:4
	s_waitcnt vmcnt(0)
	ds_write_b32 v35, v2
.LBB234_15:                             ;   in Loop: Header=BB234_6 Depth=1
	s_or_b64 exec, exec, s[2:3]
	s_and_saveexec_b64 s[22:23], vcc
	s_cbranch_execz .LBB234_4
; %bb.16:                               ;   in Loop: Header=BB234_6 Depth=1
	v_add_u32_e32 v2, 4, v24
	v_cmp_gt_i32_e64 s[2:3], s8, v2
	s_and_b64 s[2:3], s[0:1], s[2:3]
	s_and_b64 exec, exec, s[2:3]
	s_cbranch_execz .LBB234_4
; %bb.17:                               ;   in Loop: Header=BB234_6 Depth=1
	v_ashrrev_i32_e32 v25, 31, v24
	v_lshl_add_u64 v[2:3], v[60:61], 0, v[24:25]
	v_mad_u64_u32 v[4:5], s[2:3], v2, 36, s[20:21]
	v_mad_i32_i24 v5, v3, 36, v5
	global_load_dword v2, v[4:5], off
	s_waitcnt vmcnt(0)
	ds_write_b32 v37, v2
	s_branch .LBB234_4
.LBB234_18:
	v_mov_b32_e32 v23, 0
	v_mov_b32_e32 v121, 0
	;; [unrolled: 1-line block ×3, first 2 shown]
.LBB234_19:
	s_mul_i32 s0, s10, s7
	s_waitcnt vmcnt(0)
	v_cmp_gt_i32_e32 vcc, s0, v1
	s_and_saveexec_b64 s[0:1], vcc
	s_cbranch_execz .LBB234_28
; %bb.20:
	v_and_b32_e32 v0, 0x3ff, v0
	v_add_u32_e32 v2, s11, v0
	v_mul_lo_u32 v0, v1, s9
	v_cmp_gt_u32_e32 vcc, s9, v2
	s_and_saveexec_b64 s[0:1], vcc
	s_cbranch_execz .LBB234_22
; %bb.21:
	v_bfe_u32 v1, v120, 16, 1
	s_movk_i32 s2, 0x7fff
	v_add3_u32 v1, v120, v1, s2
	v_lshrrev_b32_e32 v1, 16, v1
	v_mov_b32_e32 v3, 0x7fc0
	v_cmp_o_f32_e32 vcc, v120, v120
	v_add_u32_e32 v4, v0, v2
	v_mov_b32_e32 v5, 0
	v_cndmask_b32_e32 v1, v3, v1, vcc
	v_lshl_add_u64 v[4:5], v[4:5], 1, s[16:17]
	global_store_short v[4:5], v1, off
.LBB234_22:
	s_or_b64 exec, exec, s[0:1]
	v_add_u32_e32 v1, 32, v2
	v_cmp_gt_u32_e32 vcc, s9, v1
	s_and_saveexec_b64 s[0:1], vcc
	s_cbranch_execz .LBB234_24
; %bb.23:
	v_bfe_u32 v3, v121, 16, 1
	s_movk_i32 s2, 0x7fff
	v_add3_u32 v3, v121, v3, s2
	v_lshrrev_b32_e32 v3, 16, v3
	v_mov_b32_e32 v4, 0x7fc0
	v_cmp_o_f32_e32 vcc, v121, v121
	v_mov_b32_e32 v5, 0
	s_nop 0
	v_cndmask_b32_e32 v3, v4, v3, vcc
	v_add_u32_e32 v4, v0, v1
	v_lshl_add_u64 v[4:5], v[4:5], 1, s[16:17]
	global_store_short v[4:5], v3, off
.LBB234_24:
	s_or_b64 exec, exec, s[0:1]
	v_add_u32_e32 v1, 64, v2
	v_cmp_gt_u32_e32 vcc, s9, v1
	s_and_saveexec_b64 s[0:1], vcc
	s_cbranch_execz .LBB234_26
; %bb.25:
	v_bfe_u32 v3, v23, 16, 1
	s_movk_i32 s2, 0x7fff
	v_add3_u32 v3, v23, v3, s2
	v_lshrrev_b32_e32 v3, 16, v3
	v_mov_b32_e32 v4, 0x7fc0
	v_cmp_o_f32_e32 vcc, v23, v23
	v_mov_b32_e32 v5, 0
	s_nop 0
	v_cndmask_b32_e32 v3, v4, v3, vcc
	v_add_u32_e32 v4, v0, v1
	v_lshl_add_u64 v[4:5], v[4:5], 1, s[16:17]
	global_store_short v[4:5], v3, off
.LBB234_26:
	s_or_b64 exec, exec, s[0:1]
	v_add_u32_e32 v1, 0x60, v2
	v_cmp_gt_u32_e32 vcc, s9, v1
	s_and_b64 exec, exec, vcc
	s_cbranch_execz .LBB234_28
; %bb.27:
	v_bfe_u32 v2, v27, 16, 1
	s_movk_i32 s0, 0x7fff
	v_add3_u32 v2, v27, v2, s0
	v_lshrrev_b32_e32 v2, 16, v2
	v_mov_b32_e32 v3, 0x7fc0
	v_cmp_o_f32_e32 vcc, v27, v27
	v_add_u32_e32 v0, v0, v1
	v_mov_b32_e32 v1, 0
	v_cndmask_b32_e32 v2, v3, v2, vcc
	v_lshl_add_u64 v[0:1], v[0:1], 1, s[16:17]
	global_store_short v[0:1], v2, off
.LBB234_28:
	s_endpgm
	.section	.rodata,"a",@progbits
	.p2align	6, 0x0
	.amdhsa_kernel _ZL8moe_q5_KIN3c108BFloat16ELb1EEvPKvS3_PT_PKiS7_S7_iiiiiii
		.amdhsa_group_segment_fixed_size 37072
		.amdhsa_private_segment_fixed_size 0
		.amdhsa_kernarg_size 76
		.amdhsa_user_sgpr_count 2
		.amdhsa_user_sgpr_dispatch_ptr 0
		.amdhsa_user_sgpr_queue_ptr 0
		.amdhsa_user_sgpr_kernarg_segment_ptr 1
		.amdhsa_user_sgpr_dispatch_id 0
		.amdhsa_user_sgpr_kernarg_preload_length 0
		.amdhsa_user_sgpr_kernarg_preload_offset 0
		.amdhsa_user_sgpr_private_segment_size 0
		.amdhsa_uses_dynamic_stack 0
		.amdhsa_enable_private_segment 0
		.amdhsa_system_sgpr_workgroup_id_x 1
		.amdhsa_system_sgpr_workgroup_id_y 1
		.amdhsa_system_sgpr_workgroup_id_z 0
		.amdhsa_system_sgpr_workgroup_info 0
		.amdhsa_system_vgpr_workitem_id 1
		.amdhsa_next_free_vgpr 191
		.amdhsa_next_free_sgpr 30
		.amdhsa_accum_offset 192
		.amdhsa_reserve_vcc 1
		.amdhsa_float_round_mode_32 0
		.amdhsa_float_round_mode_16_64 0
		.amdhsa_float_denorm_mode_32 3
		.amdhsa_float_denorm_mode_16_64 3
		.amdhsa_dx10_clamp 1
		.amdhsa_ieee_mode 1
		.amdhsa_fp16_overflow 0
		.amdhsa_tg_split 0
		.amdhsa_exception_fp_ieee_invalid_op 0
		.amdhsa_exception_fp_denorm_src 0
		.amdhsa_exception_fp_ieee_div_zero 0
		.amdhsa_exception_fp_ieee_overflow 0
		.amdhsa_exception_fp_ieee_underflow 0
		.amdhsa_exception_fp_ieee_inexact 0
		.amdhsa_exception_int_div_zero 0
	.end_amdhsa_kernel
	.section	.text._ZL8moe_q5_KIN3c108BFloat16ELb1EEvPKvS3_PT_PKiS7_S7_iiiiiii,"axG",@progbits,_ZL8moe_q5_KIN3c108BFloat16ELb1EEvPKvS3_PT_PKiS7_S7_iiiiiii,comdat
.Lfunc_end234:
	.size	_ZL8moe_q5_KIN3c108BFloat16ELb1EEvPKvS3_PT_PKiS7_S7_iiiiiii, .Lfunc_end234-_ZL8moe_q5_KIN3c108BFloat16ELb1EEvPKvS3_PT_PKiS7_S7_iiiiiii
                                        ; -- End function
	.section	.AMDGPU.csdata,"",@progbits
; Kernel info:
; codeLenInByte = 10548
; NumSgprs: 36
; NumVgprs: 191
; NumAgprs: 0
; TotalNumVgprs: 191
; ScratchSize: 0
; MemoryBound: 0
; FloatMode: 240
; IeeeMode: 1
; LDSByteSize: 37072 bytes/workgroup (compile time only)
; SGPRBlocks: 4
; VGPRBlocks: 23
; NumSGPRsForWavesPerEU: 36
; NumVGPRsForWavesPerEU: 191
; AccumOffset: 192
; Occupancy: 1
; WaveLimiterHint : 1
; COMPUTE_PGM_RSRC2:SCRATCH_EN: 0
; COMPUTE_PGM_RSRC2:USER_SGPR: 2
; COMPUTE_PGM_RSRC2:TRAP_HANDLER: 0
; COMPUTE_PGM_RSRC2:TGID_X_EN: 1
; COMPUTE_PGM_RSRC2:TGID_Y_EN: 1
; COMPUTE_PGM_RSRC2:TGID_Z_EN: 0
; COMPUTE_PGM_RSRC2:TIDIG_COMP_CNT: 1
; COMPUTE_PGM_RSRC3_GFX90A:ACCUM_OFFSET: 47
; COMPUTE_PGM_RSRC3_GFX90A:TG_SPLIT: 0
	.section	.text._ZL8moe_q6_KIN3c108BFloat16ELb0EEvPKvS3_PT_PKiS7_S7_iiiiiii,"axG",@progbits,_ZL8moe_q6_KIN3c108BFloat16ELb0EEvPKvS3_PT_PKiS7_S7_iiiiiii,comdat
	.globl	_ZL8moe_q6_KIN3c108BFloat16ELb0EEvPKvS3_PT_PKiS7_S7_iiiiiii ; -- Begin function _ZL8moe_q6_KIN3c108BFloat16ELb0EEvPKvS3_PT_PKiS7_S7_iiiiiii
	.p2align	8
	.type	_ZL8moe_q6_KIN3c108BFloat16ELb0EEvPKvS3_PT_PKiS7_S7_iiiiiii,@function
_ZL8moe_q6_KIN3c108BFloat16ELb0EEvPKvS3_PT_PKiS7_S7_iiiiiii: ; @_ZL8moe_q6_KIN3c108BFloat16ELb0EEvPKvS3_PT_PKiS7_S7_iiiiiii
; %bb.0:
	s_load_dwordx4 s[4:7], s[0:1], 0x18
	s_mov_b32 s8, s3
	s_mov_b32 s9, 0
	s_lshl_b64 s[10:11], s[8:9], 2
	s_waitcnt lgkmcnt(0)
	s_add_u32 s6, s6, s10
	s_addc_u32 s7, s7, s11
	s_load_dword s3, s[6:7], 0x0
	s_waitcnt lgkmcnt(0)
	s_cmpk_gt_u32 s3, 0xff
	s_cbranch_scc1 .LBB235_28
; %bb.1:
	s_load_dwordx2 s[6:7], s[0:1], 0x28
	s_waitcnt lgkmcnt(0)
	s_load_dword s7, s[6:7], 0x0
	s_lshl_b32 s6, s8, 3
	s_waitcnt lgkmcnt(0)
	s_cmp_gt_u32 s6, s7
	s_cbranch_scc1 .LBB235_28
; %bb.2:
	v_bfe_u32 v2, v0, 10, 10
	v_mov_b32_e32 v4, s4
	v_mov_b32_e32 v5, s5
	v_add_u32_e32 v52, s6, v2
	v_mov_b32_e32 v53, 0
	v_lshl_add_u64 v[4:5], v[52:53], 2, v[4:5]
	global_load_dword v1, v[4:5], off
	s_load_dwordx2 s[14:15], s[0:1], 0x30
	s_load_dwordx2 s[12:13], s[0:1], 0x10
	s_load_dwordx4 s[4:7], s[0:1], 0x3c
	s_lshl_b32 s22, s2, 7
	s_waitcnt lgkmcnt(0)
	s_cmpk_lt_i32 s15, 0x100
	s_cbranch_scc1 .LBB235_18
; %bb.3:
	v_and_b32_e32 v24, 0x3ff, v0
	v_and_b32_e32 v6, 31, v24
	s_load_dwordx4 s[8:11], s[0:1], 0x0
	s_ashr_i32 s0, s15, 31
	v_add_u16_e32 v4, -16, v6
	v_cmp_gt_u32_e32 vcc, 16, v6
	s_lshr_b32 s0, s0, 24
	s_add_i32 s0, s15, s0
	v_cndmask_b32_e32 v4, v4, v6, vcc
	v_cmp_lt_u16_e32 vcc, 7, v4
	s_ashr_i32 s23, s0, 8
	s_ashr_i32 s0, s5, 31
	v_cndmask_b32_e64 v4, 0, 1, vcc
	v_cmp_lt_u32_e32 vcc, 15, v6
	s_lshr_b32 s0, s0, 27
	v_lshlrev_b32_e32 v52, 1, v4
	v_cndmask_b32_e64 v4, 0, 1, vcc
	s_add_i32 s0, s5, s0
	v_lshlrev_b32_e32 v11, 5, v4
	s_ashr_i32 s5, s0, 5
	v_and_or_b32 v4, v24, 15, v11
	v_mul_u32_u24_e32 v5, 0x41, v2
	s_lshl_b32 s0, s23, 3
	v_add_lshl_u32 v110, v4, v5, 2
	v_mov_b32_e32 v4, s0
	v_mad_i32_i24 v14, s23, v2, v4
	v_add_u32_e32 v15, s0, v14
	v_add_u32_e32 v16, s0, v15
	;; [unrolled: 1-line block ×10, first 2 shown]
	v_lshlrev_b32_e32 v7, 5, v2
	v_add_u32_e32 v88, s0, v98
	v_add_u32_e32 v9, v7, v24
	v_add_u32_e32 v76, s0, v88
	v_and_b32_e32 v4, 0x7f, v9
	v_lshrrev_b32_e32 v5, 3, v9
	v_add_u32_e32 v64, s0, v76
	v_mul_i32_i24_e32 v44, s23, v4
	v_and_b32_e32 v5, 12, v5
	v_lshlrev_b32_e32 v4, 2, v4
	s_mov_b32 s0, 0x8e40
	v_lshlrev_b32_e32 v12, 3, v2
	v_lshrrev_b32_e32 v13, 2, v24
	v_add3_u32 v126, v4, v5, s0
	v_add_u32_e32 v26, v13, v12
	v_and_b32_e32 v4, 3, v24
	v_add_u16_e32 v12, v13, v12
	v_lshlrev_b32_e32 v4, 2, v4
	v_and_b32_e32 v26, 0x7f, v26
	v_lshrrev_b16_e32 v12, 1, v12
	v_lshl_or_b32 v27, v26, 4, v4
	v_and_b32_e32 v12, 60, v12
	s_mov_b32 s1, 0x8200
	v_add3_u32 v127, v27, v12, s1
	v_xor_b32_e32 v12, 64, v26
	v_mul_i32_i24_e32 v32, s23, v12
	v_lshl_or_b32 v13, v12, 4, v4
	v_lshrrev_b32_e32 v12, 1, v12
	v_and_b32_e32 v12, 60, v12
	v_mov_b32_e32 v23, 0
	v_add3_u32 v128, v13, v12, s1
	v_lshlrev_b32_e32 v13, 2, v24
	v_lshlrev_b32_e32 v22, 2, v6
	v_or_b32_e32 v12, v7, v6
	v_and_b32_e32 v6, 28, v13
	v_mov_b32_e32 v7, v23
	s_movk_i32 s2, 0xffe4
	v_mul_i32_i24_e32 v38, s23, v26
	s_waitcnt lgkmcnt(0)
	v_lshl_add_u64 v[26:27], s[10:11], 0, v[6:7]
	v_mov_b32_e32 v6, 0x8a40
	v_mad_i32_i24 v7, v2, s2, v9
	v_mov_b32_e32 v9, 0x9050
	v_lshrrev_b32_e32 v131, 3, v24
	v_lshrrev_b32_e32 v3, 5, v24
	v_lshl_add_u32 v129, v12, 2, v6
	v_lshl_add_u32 v130, v7, 2, v9
	v_lshl_add_u32 v132, v2, 7, v6
	v_lshlrev_b32_e32 v6, 2, v131
	v_lshlrev_b32_e32 v7, 4, v24
	v_add3_u32 v134, v7, v6, s1
	v_lshlrev_b32_e32 v6, 2, v3
	v_add3_u32 v136, v6, v13, s0
	v_add_u32_e32 v6, 32, v24
	v_lshrrev_b32_e32 v137, 3, v6
	v_lshlrev_b32_e32 v7, 2, v137
	v_lshlrev_b32_e32 v6, 4, v6
	v_add3_u32 v138, v7, v6, s1
	v_and_b32_e32 v6, 60, v137
	v_add3_u32 v139, v13, v6, s0
	v_add_u32_e32 v6, 64, v24
	v_lshrrev_b32_e32 v7, 3, v6
	v_lshlrev_b32_e32 v9, 2, v7
	v_lshlrev_b32_e32 v6, 4, v6
	s_abs_i32 s2, s7
	v_add3_u32 v140, v9, v6, s1
	v_and_b32_e32 v6, 60, v7
	v_cvt_f32_u32_e32 v12, s2
	v_add3_u32 v141, v13, v6, s0
	v_add_u32_e32 v6, 0x60, v24
	v_lshrrev_b32_e32 v7, 3, v6
	v_lshlrev_b32_e32 v9, 2, v7
	v_lshlrev_b32_e32 v6, 4, v6
	v_add3_u32 v142, v9, v6, s1
	v_and_b32_e32 v6, 60, v7
	v_rcp_iflag_f32_e32 v7, v12
	v_add3_u32 v143, v13, v6, s0
	s_sub_i32 s0, 0, s2
	s_waitcnt vmcnt(0)
	v_sub_u32_e32 v9, 0, v1
	v_mul_f32_e32 v7, 0x4f7ffffe, v7
	v_cvt_u32_f32_e32 v7, v7
	v_max_i32_e32 v9, v1, v9
	v_xor_b32_e32 v6, s7, v1
	v_ashrrev_i32_e32 v6, 31, v6
	v_mul_lo_u32 v12, s0, v7
	v_mul_hi_u32 v12, v7, v12
	v_add_u32_e32 v7, v7, v12
	v_mul_hi_u32 v7, v9, v7
	v_mul_lo_u32 v12, v7, s2
	v_sub_u32_e32 v9, v9, v12
	v_add_u32_e32 v12, 1, v7
	v_cmp_le_u32_e64 s[0:1], s2, v9
	s_mul_i32 s16, s3, s14
	s_mul_i32 s14, s23, s22
	v_cndmask_b32_e64 v7, v7, v12, s[0:1]
	v_subrev_u32_e32 v12, s2, v9
	v_cndmask_b32_e64 v9, v9, v12, s[0:1]
	v_add_u32_e32 v12, 1, v7
	v_cmp_le_u32_e64 s[0:1], s2, v9
	s_mul_hi_i32 s21, s14, 0xd2
	s_mul_i32 s20, s14, 0xd2
	v_cndmask_b32_e64 v7, v7, v12, s[0:1]
	v_xor_b32_e32 v7, v7, v6
	v_sub_u32_e32 v6, v7, v6
	v_cmp_gt_i32_e64 s[0:1], s4, v6
	v_mul_lo_u32 v28, v6, s5
	s_movk_i32 s28, 0xd2
	v_mov_b64_e32 v[6:7], s[20:21]
	v_and_b32_e32 v10, 7, v24
	v_mul_i32_i24_e32 v8, s23, v2
	v_mad_u64_u32 v[6:7], s[2:3], v3, s28, v[6:7]
	v_mad_u64_u32 v[8:9], s[2:3], v8, s28, v[6:7]
	v_lshl_or_b32 v10, v10, 2, v11
	v_mov_b32_e32 v11, v23
	v_lshl_add_u64 v[12:13], v[8:9], 0, v[10:11]
	v_lshl_add_u64 v[12:13], v[12:13], 0, s[8:9]
	s_mov_b64 s[2:3], 0x80
	v_lshl_add_u64 v[30:31], v[12:13], 0, s[2:3]
	v_mad_u64_u32 v[12:13], s[24:25], v32, s28, 0
	v_mov_b32_e32 v3, 0xd2
	v_mov_b32_e32 v5, v23
	v_mad_i64_i32 v[12:13], s[24:25], s14, v3, v[12:13]
	v_lshl_add_u64 v[8:9], v[8:9], 0, v[22:23]
	v_lshl_add_u64 v[12:13], v[12:13], 0, v[4:5]
	;; [unrolled: 1-line block ×4, first 2 shown]
	s_mov_b64 s[24:25], 0xc0
	v_lshl_add_u64 v[34:35], v[8:9], 0, 2
	v_mad_u64_u32 v[8:9], s[26:27], v14, s28, v[6:7]
	v_lshl_add_u64 v[32:33], v[12:13], 0, s[24:25]
	v_lshl_add_u64 v[12:13], v[8:9], 0, v[10:11]
	;; [unrolled: 1-line block ×4, first 2 shown]
	v_mad_u64_u32 v[12:13], s[26:27], v38, s28, 0
	v_mad_i64_i32 v[12:13], s[26:27], s14, v3, v[12:13]
	v_lshl_add_u64 v[4:5], v[12:13], 0, v[4:5]
	v_lshl_add_u64 v[4:5], v[4:5], 0, s[8:9]
	s_ashr_i32 s17, s16, 31
	v_lshl_add_u64 v[38:39], v[4:5], 0, s[24:25]
	v_lshl_add_u64 v[4:5], v[8:9], 0, v[22:23]
	s_add_u32 s18, s10, 0x90
	v_lshl_add_u64 v[4:5], v[4:5], 0, s[8:9]
	s_addc_u32 s19, s11, 0
	v_lshl_add_u64 v[40:41], v[4:5], 0, 2
	v_mad_u64_u32 v[4:5], s[24:25], v15, s28, v[6:7]
	v_lshl_add_u64 v[8:9], v[4:5], 0, v[10:11]
	s_add_u32 s20, s8, s20
	v_lshl_add_u64 v[8:9], v[8:9], 0, s[8:9]
	s_addc_u32 s21, s9, s21
	v_lshl_add_u64 v[42:43], v[8:9], 0, s[2:3]
	v_mov_b64_e32 v[8:9], s[20:21]
	v_mad_u64_u32 v[8:9], s[20:21], v44, s28, v[8:9]
	v_lshl_add_u64 v[4:5], v[4:5], 0, v[22:23]
	s_mov_b64 s[20:21], 0xd0
	v_lshl_add_u64 v[4:5], v[4:5], 0, s[8:9]
	s_mul_i32 s14, s23, 0x78
	v_lshl_add_u64 v[44:45], v[8:9], 0, s[20:21]
	v_lshl_add_u64 v[46:47], v[4:5], 0, 2
	v_mad_u64_u32 v[4:5], s[20:21], v16, s28, v[6:7]
	v_mov_b32_e32 v3, s14
	v_lshlrev_b32_e32 v133, 4, v2
	v_lshl_add_u64 v[8:9], v[4:5], 0, v[10:11]
	v_mad_i32_i24 v2, s23, v2, v3
	v_lshl_add_u64 v[8:9], v[8:9], 0, s[8:9]
	v_mad_u64_u32 v[2:3], s[20:21], v2, s28, v[6:7]
	v_lshl_add_u64 v[4:5], v[4:5], 0, v[22:23]
	v_lshl_add_u64 v[48:49], v[8:9], 0, s[2:3]
	;; [unrolled: 1-line block ×6, first 2 shown]
	v_mad_u64_u32 v[4:5], s[20:21], v17, s28, v[6:7]
	v_lshl_add_u64 v[2:3], v[2:3], 0, s[8:9]
	v_lshl_add_u64 v[58:59], v[2:3], 0, s[2:3]
	;; [unrolled: 1-line block ×5, first 2 shown]
	v_mad_u64_u32 v[2:3], s[20:21], v18, s28, v[6:7]
	v_lshl_add_u64 v[50:51], s[8:9], 0, v[8:9]
	v_lshl_add_u64 v[8:9], v[4:5], 0, v[10:11]
	;; [unrolled: 1-line block ×7, first 2 shown]
	v_mad_u64_u32 v[4:5], s[20:21], v64, s28, v[6:7]
	v_lshl_add_u64 v[2:3], v[2:3], 0, s[8:9]
	v_lshl_add_u64 v[56:57], v[8:9], 0, s[2:3]
	v_lshl_add_u64 v[8:9], v[4:5], 0, v[22:23]
	v_lshl_add_u64 v[66:67], v[2:3], 0, 2
	v_mad_u64_u32 v[2:3], s[20:21], v19, s28, v[6:7]
	v_lshl_add_u64 v[64:65], s[8:9], 0, v[8:9]
	v_lshl_add_u64 v[8:9], v[2:3], 0, v[10:11]
	v_lshl_add_u64 v[2:3], v[2:3], 0, v[22:23]
	v_lshl_add_u64 v[4:5], v[4:5], 0, v[10:11]
	v_lshl_add_u64 v[2:3], v[2:3], 0, s[8:9]
	v_lshl_add_u64 v[4:5], v[4:5], 0, s[8:9]
	v_lshl_add_u64 v[72:73], v[2:3], 0, 2
	v_mad_u64_u32 v[2:3], s[20:21], v20, s28, v[6:7]
	v_lshl_add_u64 v[70:71], v[4:5], 0, s[2:3]
	v_lshl_add_u64 v[4:5], v[2:3], 0, v[10:11]
	v_lshl_add_u64 v[4:5], v[4:5], 0, s[8:9]
	v_lshl_add_u64 v[2:3], v[2:3], 0, v[22:23]
	v_lshl_add_u64 v[8:9], v[8:9], 0, s[8:9]
	v_lshl_add_u64 v[74:75], v[4:5], 0, s[2:3]
	v_mad_u64_u32 v[4:5], s[20:21], v76, s28, v[6:7]
	v_lshl_add_u64 v[2:3], v[2:3], 0, s[8:9]
	v_lshl_add_u64 v[68:69], v[8:9], 0, s[2:3]
	v_lshl_add_u64 v[8:9], v[4:5], 0, v[22:23]
	v_lshl_add_u64 v[78:79], v[2:3], 0, 2
	v_mad_u64_u32 v[2:3], s[20:21], v21, s28, v[6:7]
	v_lshl_add_u64 v[76:77], s[8:9], 0, v[8:9]
	v_lshl_add_u64 v[8:9], v[2:3], 0, v[10:11]
	v_lshl_add_u64 v[2:3], v[2:3], 0, v[22:23]
	v_lshl_add_u64 v[4:5], v[4:5], 0, v[10:11]
	v_lshl_add_u64 v[2:3], v[2:3], 0, s[8:9]
	v_lshl_add_u64 v[4:5], v[4:5], 0, s[8:9]
	v_lshl_add_u64 v[84:85], v[2:3], 0, 2
	v_mad_u64_u32 v[2:3], s[20:21], v25, s28, v[6:7]
	v_lshl_add_u64 v[82:83], v[4:5], 0, s[2:3]
	v_lshl_add_u64 v[4:5], v[2:3], 0, v[10:11]
	v_lshl_add_u64 v[4:5], v[4:5], 0, s[8:9]
	v_lshl_add_u64 v[2:3], v[2:3], 0, v[22:23]
	v_lshl_add_u64 v[8:9], v[8:9], 0, s[8:9]
	v_lshl_add_u64 v[86:87], v[4:5], 0, s[2:3]
	;; [unrolled: 20-line block ×3, first 2 shown]
	v_add_u32_e32 v111, 0x820, v110
	v_add_u32_e32 v112, 0x1040, v110
	;; [unrolled: 1-line block ×15, first 2 shown]
	v_cmp_gt_u32_e32 vcc, 4, v24
	v_mul_u32_u24_e32 v135, 0x104, v24
	v_ashrrev_i32_e32 v29, 31, v28
	v_lshl_add_u64 v[92:93], v[8:9], 0, s[2:3]
	v_lshl_add_u64 v[98:99], v[4:5], 0, s[2:3]
	;; [unrolled: 1-line block ×3, first 2 shown]
	s_movk_i32 s14, 0x80
	s_mov_b32 s24, 0xf0f0f0f
	s_mov_b32 s25, 0x30303030
	s_movk_i32 s26, 0x3f00
	s_movk_i32 s27, 0xe000
	s_mov_b64 s[8:9], 0xd2
	v_mov_b32_e32 v145, 8
	v_mov_b32_e32 v144, v23
	;; [unrolled: 1-line block ×4, first 2 shown]
	s_branch .LBB235_6
.LBB235_4:                              ;   in Loop: Header=BB235_6 Depth=1
	s_or_b64 exec, exec, s[20:21]
	s_waitcnt lgkmcnt(0)
	s_barrier
	ds_read_b128 v[6:9], v132
	ds_read_b128 v[10:13], v132 offset:16
	ds_read_b128 v[14:17], v132 offset:32
	;; [unrolled: 1-line block ×3, first 2 shown]
	ds_read_b32 v25, v136
	ds_read2_b32 v[102:103], v135 offset0:38 offset1:39
	ds_read2_b32 v[106:107], v135 offset0:36 offset1:37
	;; [unrolled: 1-line block ×6, first 2 shown]
	ds_read_b128 v[2:5], v133 offset:36944
	ds_read2_b32 v[104:105], v134 offset0:2 offset1:3
	v_mov_b32_e32 v156, 0
	ds_read2_b32 v[152:153], v135 offset0:42 offset1:43
	ds_read2_b32 v[154:155], v135 offset0:40 offset1:41
	s_waitcnt lgkmcnt(4)
	v_dot4c_i32_i8_e32 v156, v150, v18
	v_dot4c_i32_i8_e32 v156, v151, v19
	;; [unrolled: 1-line block ×4, first 2 shown]
	v_mov_b32_e32 v149, 0
	v_dot4c_i32_i8_e32 v149, v106, v10
	v_dot4c_i32_i8_e32 v149, v107, v11
	;; [unrolled: 1-line block ×4, first 2 shown]
	v_mov_b32_e32 v103, 0
	v_dot4c_i32_i8_e32 v103, v146, v6
	v_dot4c_i32_i8_e32 v103, v147, v7
	s_waitcnt lgkmcnt(2)
	v_bfe_i32 v102, v104, 8, 8
	v_dot4c_i32_i8_e32 v103, v108, v8
	v_mul_lo_u32 v102, v149, v102
	v_dot4c_i32_i8_e32 v103, v109, v9
	v_bfe_i32 v106, v104, 0, 8
	v_mov_b32_e32 v148, 0
	s_waitcnt lgkmcnt(0)
	v_dot4c_i32_i8_e32 v148, v154, v14
	v_mad_u64_u32 v[102:103], s[2:3], v103, v106, v[102:103]
	v_cvt_f32_i32_e32 v102, v102
	v_dot4c_i32_i8_e32 v148, v155, v15
	v_dot4c_i32_i8_e32 v148, v152, v16
	;; [unrolled: 1-line block ×3, first 2 shown]
	v_fma_f32 v160, v2, v102, 0
	v_ashrrev_i32_e32 v102, 24, v104
	v_bfe_i32 v103, v104, 16, 8
	v_mul_lo_u32 v102, v156, v102
	v_mad_u64_u32 v[102:103], s[2:3], v148, v103, v[102:103]
	v_add_u32_e32 v106, 0x2110, v135
	v_add_u32_e32 v146, 0x2108, v135
	;; [unrolled: 1-line block ×5, first 2 shown]
	v_cvt_f32_i32_e32 v161, v102
	ds_read2_b32 v[102:103], v140 offset0:2 offset1:3
	ds_read_b32 v164, v139 offset:128
	ds_read2_b32 v[108:109], v138 offset0:2 offset1:3
	ds_read2_b32 v[106:107], v106 offset1:1
	ds_read2_b32 v[146:147], v146 offset1:1
	;; [unrolled: 1-line block ×5, first 2 shown]
	v_mov_b32_e32 v162, 0
	v_add_u32_e32 v104, 0x2118, v135
	v_add_u32_e32 v154, 0x2128, v135
	;; [unrolled: 1-line block ×3, first 2 shown]
	s_waitcnt lgkmcnt(0)
	v_dot4c_i32_i8_e32 v162, v152, v18
	v_dot4c_i32_i8_e32 v162, v153, v19
	v_add_u32_e32 v158, 0x4198, v135
	v_dot4c_i32_i8_e32 v162, v150, v20
	ds_read2_b32 v[154:155], v154 offset1:1
	ds_read2_b32 v[156:157], v156 offset1:1
	;; [unrolled: 1-line block ×3, first 2 shown]
	v_dot4c_i32_i8_e32 v162, v151, v21
	ds_read2_b32 v[150:151], v104 offset1:1
	v_mov_b32_e32 v153, 0
	v_dot4c_i32_i8_e32 v153, v106, v10
	v_dot4c_i32_i8_e32 v153, v107, v11
	v_mov_b32_e32 v107, 0
	v_dot4c_i32_i8_e32 v107, v148, v6
	s_waitcnt lgkmcnt(0)
	v_dot4c_i32_i8_e32 v153, v150, v12
	v_dot4c_i32_i8_e32 v107, v149, v7
	v_mov_b32_e32 v152, 0
	v_dot4c_i32_i8_e32 v153, v151, v13
	v_bfe_i32 v106, v108, 8, 8
	v_dot4c_i32_i8_e32 v107, v146, v8
	v_dot4c_i32_i8_e32 v152, v156, v14
	v_mul_lo_u32 v106, v153, v106
	v_dot4c_i32_i8_e32 v107, v147, v9
	v_bfe_i32 v146, v108, 0, 8
	v_dot4c_i32_i8_e32 v152, v157, v15
	v_dot4c_i32_i8_e32 v152, v154, v16
	v_mad_u64_u32 v[106:107], s[2:3], v107, v146, v[106:107]
	v_cvt_f32_i32_e32 v146, v106
	v_ashrrev_i32_e32 v106, 24, v108
	v_dot4c_i32_i8_e32 v152, v155, v17
	v_bfe_i32 v107, v108, 16, 8
	v_mul_lo_u32 v106, v162, v106
	v_add_u32_e32 v148, 0x4180, v135
	v_mad_u64_u32 v[106:107], s[2:3], v152, v107, v[106:107]
	v_cvt_f32_i32_e32 v106, v106
	v_fma_f32 v107, v2, v146, 0
	v_add_u32_e32 v146, 0x4188, v135
	v_add_u32_e32 v150, 0x41b8, v135
	v_fmac_f32_e32 v107, v3, v106
	v_add_u32_e32 v106, 0x4190, v135
	v_add_u32_e32 v152, 0x41b0, v135
	ds_read_b32 v104, v143 offset:384
	ds_read_b32 v108, v141 offset:256
	v_fmac_f32_e32 v144, v164, v107
	ds_read2_b32 v[106:107], v106 offset1:1
	ds_read2_b32 v[146:147], v146 offset1:1
	ds_read2_b32 v[148:149], v148 offset1:1
	ds_read2_b32 v[150:151], v150 offset1:1
	ds_read2_b32 v[152:153], v152 offset1:1
	v_mov_b32_e32 v162, 0
	v_fmac_f32_e32 v160, v3, v161
	v_fmac_f32_e32 v23, v25, v160
	v_add_u32_e32 v154, 0x41a8, v135
	s_waitcnt lgkmcnt(0)
	v_dot4c_i32_i8_e32 v162, v152, v18
	v_dot4c_i32_i8_e32 v162, v153, v19
	;; [unrolled: 1-line block ×4, first 2 shown]
	v_mov_b32_e32 v151, 0
	v_dot4c_i32_i8_e32 v151, v106, v10
	v_dot4c_i32_i8_e32 v151, v107, v11
	v_mov_b32_e32 v107, 0
	v_dot4c_i32_i8_e32 v107, v148, v6
	v_dot4c_i32_i8_e32 v151, v158, v12
	;; [unrolled: 1-line block ×3, first 2 shown]
	v_add_u32_e32 v156, 0x41a0, v135
	v_add_u32_e32 v160, 0x6218, v135
	v_dot4c_i32_i8_e32 v151, v159, v13
	v_bfe_i32 v106, v102, 8, 8
	v_dot4c_i32_i8_e32 v107, v146, v8
	ds_read2_b32 v[154:155], v154 offset1:1
	ds_read2_b32 v[156:157], v156 offset1:1
	;; [unrolled: 1-line block ×3, first 2 shown]
	v_mul_lo_u32 v106, v151, v106
	v_dot4c_i32_i8_e32 v107, v147, v9
	v_bfe_i32 v146, v102, 0, 8
	v_mov_b32_e32 v150, 0
	s_waitcnt lgkmcnt(1)
	v_dot4c_i32_i8_e32 v150, v156, v14
	v_mad_u64_u32 v[106:107], s[2:3], v107, v146, v[106:107]
	v_cvt_f32_i32_e32 v106, v106
	v_dot4c_i32_i8_e32 v150, v157, v15
	v_dot4c_i32_i8_e32 v150, v154, v16
	;; [unrolled: 1-line block ×3, first 2 shown]
	v_fma_f32 v165, v2, v106, 0
	v_bfe_i32 v106, v102, 16, 8
	v_ashrrev_i32_e32 v102, 24, v102
	v_mul_lo_u32 v102, v162, v102
	v_mad_u64_u32 v[106:107], s[2:3], v150, v106, v[102:103]
	v_add_u32_e32 v146, 0x6210, v135
	v_add_u32_e32 v148, 0x6208, v135
	;; [unrolled: 1-line block ×5, first 2 shown]
	v_cvt_f32_i32_e32 v102, v106
	ds_read2_b32 v[106:107], v142 offset0:2 offset1:3
	ds_read2_b32 v[146:147], v146 offset1:1
	ds_read2_b32 v[148:149], v148 offset1:1
	;; [unrolled: 1-line block ×5, first 2 shown]
	v_add_u32_e32 v156, 0x6228, v135
	v_add_u32_e32 v158, 0x6220, v135
	;; [unrolled: 1-line block ×3, first 2 shown]
	ds_read2_b32 v[156:157], v156 offset1:1
	ds_read2_b32 v[158:159], v158 offset1:1
	;; [unrolled: 1-line block ×3, first 2 shown]
	v_mov_b32_e32 v166, 0
	s_waitcnt lgkmcnt(3)
	v_dot4c_i32_i8_e32 v166, v154, v18
	v_mov_b32_e32 v18, 0
	s_waitcnt lgkmcnt(1)
	v_dot4c_i32_i8_e32 v18, v158, v14
	v_mov_b32_e32 v14, 0
	v_dot4c_i32_i8_e32 v14, v146, v10
	v_dot4c_i32_i8_e32 v14, v147, v11
	v_mov_b32_e32 v11, 0
	v_dot4c_i32_i8_e32 v11, v150, v6
	v_dot4c_i32_i8_e32 v14, v160, v12
	;; [unrolled: 1-line block ×4, first 2 shown]
	v_bfe_i32 v10, v106, 8, 8
	v_dot4c_i32_i8_e32 v11, v148, v8
	v_dot4c_i32_i8_e32 v166, v155, v19
	v_mul_lo_u32 v10, v14, v10
	v_dot4c_i32_i8_e32 v11, v149, v9
	v_bfe_i32 v6, v106, 0, 8
	v_dot4c_i32_i8_e32 v166, v152, v20
	v_dot4c_i32_i8_e32 v18, v159, v15
	v_mad_u64_u32 v[6:7], s[2:3], v11, v6, v[10:11]
	v_dot4c_i32_i8_e32 v166, v153, v21
	v_dot4c_i32_i8_e32 v18, v156, v16
	v_cvt_f32_i32_e32 v8, v6
	v_ashrrev_i32_e32 v6, 24, v106
	v_dot4c_i32_i8_e32 v18, v157, v17
	v_bfe_i32 v7, v106, 16, 8
	v_mul_lo_u32 v6, v166, v6
	v_fma_f32 v2, v2, v8, 0
	v_mad_u64_u32 v[6:7], s[2:3], v18, v7, v[6:7]
	v_cvt_f32_i32_e32 v6, v6
	v_fmac_f32_e32 v165, v3, v102
	v_mov_b32_e32 v102, 0
	v_mov_b32_e32 v106, 0
	v_fmac_f32_e32 v2, v3, v6
	v_fmac_f32_e32 v53, v104, v2
	ds_read_b128 v[10:13], v132 offset:80
	ds_read_b128 v[6:9], v132 offset:64
	;; [unrolled: 1-line block ×4, first 2 shown]
	ds_read2_b32 v[2:3], v135 offset0:62 offset1:63
	ds_read2_b32 v[146:147], v135 offset0:60 offset1:61
	;; [unrolled: 1-line block ×6, first 2 shown]
	s_waitcnt lgkmcnt(4)
	v_dot4c_i32_i8_e32 v102, v146, v18
	v_dot4c_i32_i8_e32 v102, v147, v19
	;; [unrolled: 1-line block ×3, first 2 shown]
	v_mov_b32_e32 v2, 0
	s_waitcnt lgkmcnt(2)
	v_dot4c_i32_i8_e32 v2, v150, v10
	v_dot4c_i32_i8_e32 v2, v151, v11
	;; [unrolled: 1-line block ×5, first 2 shown]
	v_bfe_i32 v3, v105, 8, 8
	ds_read2_b32 v[156:157], v135 offset0:58 offset1:59
	ds_read2_b32 v[158:159], v135 offset0:56 offset1:57
	v_mul_lo_u32 v2, v2, v3
	v_mov_b32_e32 v3, 0
	s_waitcnt lgkmcnt(2)
	v_dot4c_i32_i8_e32 v3, v154, v6
	v_dot4c_i32_i8_e32 v3, v155, v7
	;; [unrolled: 1-line block ×4, first 2 shown]
	v_bfe_i32 v146, v105, 0, 8
	s_waitcnt lgkmcnt(0)
	v_dot4c_i32_i8_e32 v106, v158, v14
	v_dot4c_i32_i8_e32 v106, v159, v15
	v_mad_u64_u32 v[2:3], s[2:3], v3, v146, v[2:3]
	v_cvt_f32_i32_e32 v2, v2
	v_dot4c_i32_i8_e32 v106, v156, v16
	v_dot4c_i32_i8_e32 v106, v157, v17
	v_bfe_i32 v3, v105, 16, 8
	v_fma_f32 v160, v4, v2, 0
	v_ashrrev_i32_e32 v2, 24, v105
	v_mul_lo_u32 v2, v102, v2
	v_mad_u64_u32 v[2:3], s[2:3], v106, v3, v[2:3]
	v_cvt_f32_i32_e32 v102, v2
	v_add_u32_e32 v2, 0x2150, v135
	v_add_u32_e32 v105, 0x2148, v135
	;; [unrolled: 1-line block ×4, first 2 shown]
	ds_read2_b32 v[2:3], v2 offset1:1
	ds_read2_b32 v[146:147], v105 offset1:1
	ds_read2_b32 v[148:149], v106 offset1:1
	ds_read2_b32 v[150:151], v150 offset1:1
	v_add_u32_e32 v105, 0x2170, v135
	ds_read2_b32 v[152:153], v105 offset1:1
	v_mov_b32_e32 v106, 0
	v_add_u32_e32 v154, 0x2168, v135
	v_add_u32_e32 v156, 0x2160, v135
	;; [unrolled: 1-line block ×3, first 2 shown]
	s_waitcnt lgkmcnt(0)
	v_dot4c_i32_i8_e32 v106, v152, v18
	v_dot4c_i32_i8_e32 v106, v153, v19
	;; [unrolled: 1-line block ×3, first 2 shown]
	v_mov_b32_e32 v150, 0
	v_dot4c_i32_i8_e32 v150, v2, v10
	ds_read2_b32 v[154:155], v154 offset1:1
	ds_read2_b32 v[156:157], v156 offset1:1
	;; [unrolled: 1-line block ×3, first 2 shown]
	v_dot4c_i32_i8_e32 v150, v3, v11
	v_mov_b32_e32 v3, 0
	v_dot4c_i32_i8_e32 v3, v148, v6
	v_dot4c_i32_i8_e32 v150, v162, v12
	;; [unrolled: 1-line block ×3, first 2 shown]
	v_mov_b32_e32 v105, 0
	v_dot4c_i32_i8_e32 v150, v163, v13
	v_bfe_i32 v2, v109, 8, 8
	v_dot4c_i32_i8_e32 v3, v146, v8
	s_waitcnt lgkmcnt(1)
	v_dot4c_i32_i8_e32 v105, v156, v14
	v_mul_lo_u32 v2, v150, v2
	v_dot4c_i32_i8_e32 v3, v147, v9
	v_bfe_i32 v146, v109, 0, 8
	v_dot4c_i32_i8_e32 v105, v157, v15
	v_dot4c_i32_i8_e32 v106, v151, v21
	v_mad_u64_u32 v[2:3], s[2:3], v3, v146, v[2:3]
	v_dot4c_i32_i8_e32 v105, v154, v16
	v_cvt_f32_i32_e32 v146, v2
	v_ashrrev_i32_e32 v2, 24, v109
	v_dot4c_i32_i8_e32 v105, v155, v17
	v_bfe_i32 v3, v109, 16, 8
	v_mul_lo_u32 v2, v106, v2
	v_fmac_f32_e32 v160, v5, v102
	v_mad_u64_u32 v[2:3], s[2:3], v105, v3, v[2:3]
	v_cvt_f32_i32_e32 v2, v2
	v_fma_f32 v3, v4, v146, 0
	v_fmac_f32_e32 v23, v25, v160
	v_add_u32_e32 v25, 0x41c8, v135
	v_fmac_f32_e32 v3, v5, v2
	v_add_u32_e32 v2, 0x41d0, v135
	v_add_u32_e32 v105, 0x41f8, v135
	v_fmac_f32_e32 v144, v164, v3
	v_add_u32_e32 v102, 0x41c0, v135
	ds_read2_b32 v[2:3], v2 offset1:1
	ds_read2_b32 v[146:147], v25 offset1:1
	;; [unrolled: 1-line block ×4, first 2 shown]
	v_add_u32_e32 v25, 0x41f0, v135
	v_add_u32_e32 v105, 0x41e8, v135
	;; [unrolled: 1-line block ×3, first 2 shown]
	ds_read2_b32 v[152:153], v25 offset1:1
	v_add_u32_e32 v25, 0x6258, v135
	ds_read2_b32 v[154:155], v105 offset1:1
	ds_read2_b32 v[156:157], v106 offset1:1
	;; [unrolled: 1-line block ×3, first 2 shown]
	v_mov_b32_e32 v105, 0
	s_waitcnt lgkmcnt(7)
	v_dot4c_i32_i8_e32 v105, v2, v10
	v_dot4c_i32_i8_e32 v105, v3, v11
	v_mov_b32_e32 v3, 0
	s_waitcnt lgkmcnt(5)
	v_dot4c_i32_i8_e32 v3, v148, v6
	v_dot4c_i32_i8_e32 v105, v158, v12
	v_dot4c_i32_i8_e32 v3, v149, v7
	v_dot4c_i32_i8_e32 v105, v159, v13
	v_bfe_i32 v2, v103, 8, 8
	v_dot4c_i32_i8_e32 v3, v146, v8
	v_dot4c_i32_i8_e32 v3, v147, v9
	v_mul_lo_u32 v2, v105, v2
	v_bfe_i32 v105, v103, 0, 8
	v_mov_b32_e32 v102, 0
	v_mad_u64_u32 v[2:3], s[2:3], v3, v105, v[2:3]
	v_cvt_f32_i32_e32 v2, v2
	s_waitcnt lgkmcnt(3)
	v_dot4c_i32_i8_e32 v102, v152, v18
	v_mov_b32_e32 v25, 0
	v_dot4c_i32_i8_e32 v102, v153, v19
	s_waitcnt lgkmcnt(1)
	v_dot4c_i32_i8_e32 v25, v156, v14
	v_dot4c_i32_i8_e32 v102, v150, v20
	;; [unrolled: 1-line block ×5, first 2 shown]
	v_fma_f32 v105, v4, v2, 0
	v_ashrrev_i32_e32 v2, 24, v103
	v_dot4c_i32_i8_e32 v25, v155, v17
	v_bfe_i32 v3, v103, 16, 8
	v_mul_lo_u32 v2, v102, v2
	v_add_u32_e32 v102, 0x6248, v135
	v_mad_u64_u32 v[2:3], s[2:3], v25, v3, v[2:3]
	v_cvt_f32_i32_e32 v25, v2
	v_add_u32_e32 v2, 0x6250, v135
	v_add_u32_e32 v106, 0x6240, v135
	;; [unrolled: 1-line block ×3, first 2 shown]
	ds_read2_b32 v[2:3], v2 offset1:1
	ds_read2_b32 v[102:103], v102 offset1:1
	;; [unrolled: 1-line block ×4, first 2 shown]
	v_add_u32_e32 v106, 0x6270, v135
	ds_read2_b32 v[150:151], v106 offset1:1
	v_add_u32_e32 v106, 0x6268, v135
	v_add_u32_e32 v154, 0x6260, v135
	ds_read2_b32 v[152:153], v106 offset1:1
	ds_read2_b32 v[154:155], v154 offset1:1
	v_mov_b32_e32 v109, 0
	s_waitcnt lgkmcnt(2)
	v_dot4c_i32_i8_e32 v109, v150, v18
	v_mov_b32_e32 v18, 0
	v_dot4c_i32_i8_e32 v109, v151, v19
	s_waitcnt lgkmcnt(0)
	v_dot4c_i32_i8_e32 v18, v154, v14
	v_mov_b32_e32 v14, 0
	v_dot4c_i32_i8_e32 v14, v2, v10
	v_dot4c_i32_i8_e32 v14, v3, v11
	v_mov_b32_e32 v3, 0
	v_dot4c_i32_i8_e32 v3, v146, v6
	v_dot4c_i32_i8_e32 v14, v160, v12
	v_dot4c_i32_i8_e32 v3, v147, v7
	v_dot4c_i32_i8_e32 v14, v161, v13
	v_bfe_i32 v2, v107, 8, 8
	v_dot4c_i32_i8_e32 v3, v102, v8
	v_dot4c_i32_i8_e32 v3, v103, v9
	v_mul_lo_u32 v2, v14, v2
	v_bfe_i32 v6, v107, 0, 8
	v_dot4c_i32_i8_e32 v109, v148, v20
	v_dot4c_i32_i8_e32 v18, v155, v15
	v_mad_u64_u32 v[2:3], s[2:3], v3, v6, v[2:3]
	v_dot4c_i32_i8_e32 v109, v149, v21
	v_dot4c_i32_i8_e32 v18, v152, v16
	v_cvt_f32_i32_e32 v6, v2
	v_ashrrev_i32_e32 v2, 24, v107
	v_dot4c_i32_i8_e32 v18, v153, v17
	v_bfe_i32 v3, v107, 16, 8
	v_mul_lo_u32 v2, v109, v2
	v_fmac_f32_e32 v22, v108, v165
	v_mad_u64_u32 v[2:3], s[2:3], v18, v3, v[2:3]
	v_cvt_f32_i32_e32 v2, v2
	v_fma_f32 v3, v4, v6, 0
	v_fmac_f32_e32 v105, v5, v25
	v_fmac_f32_e32 v22, v108, v105
	v_fmac_f32_e32 v3, v5, v2
	v_fmac_f32_e32 v53, v104, v3
	s_barrier
.LBB235_5:                              ;   in Loop: Header=BB235_6 Depth=1
	s_add_i32 s23, s23, -1
	s_addk_i32 s14, 0x100
	v_add_u32_e32 v24, 8, v24
	v_add_u32_e32 v137, 8, v137
	;; [unrolled: 1-line block ×3, first 2 shown]
	v_lshl_add_u64 v[30:31], v[30:31], 0, s[8:9]
	v_lshl_add_u64 v[32:33], v[32:33], 0, s[8:9]
	;; [unrolled: 1-line block ×34, first 2 shown]
	s_cmp_eq_u32 s23, 0
	v_lshl_add_u64 v[100:101], v[100:101], 0, s[8:9]
	s_cbranch_scc1 .LBB235_19
.LBB235_6:                              ; =>This Inner Loop Header: Depth=1
	v_lshl_add_u64 v[2:3], v[34:35], 0, s[16:17]
	global_load_dword v10, v[2:3], off offset:-2
	v_lshl_add_u64 v[2:3], v[30:31], 0, s[16:17]
	global_load_dword v11, v[2:3], off
	v_lshl_add_u64 v[2:3], v[40:41], 0, s[16:17]
	global_load_dword v12, v[2:3], off offset:-2
	v_lshl_add_u64 v[2:3], v[36:37], 0, s[16:17]
	global_load_dword v13, v[2:3], off
	;; [unrolled: 4-line block ×3, first 2 shown]
	v_lshl_add_u64 v[2:3], v[54:55], 0, s[16:17]
	v_lshl_add_u64 v[4:5], v[48:49], 0, s[16:17]
	;; [unrolled: 1-line block ×4, first 2 shown]
	global_load_dword v16, v[2:3], off offset:-2
	s_nop 0
	global_load_dword v4, v[4:5], off
	s_nop 0
	global_load_dword v5, v[6:7], off offset:-2
	s_nop 0
	global_load_dword v6, v[8:9], off
	s_add_i32 s2, s14, 0xffffff80
	s_cmp_lt_i32 s2, s15
	s_waitcnt vmcnt(9)
	v_and_b32_e32 v2, 0xf0f0f0f, v10
	v_lshrrev_b32_e32 v3, 4, v10
	s_waitcnt vmcnt(8)
	v_ashrrev_i32_e32 v7, v52, v11
	s_waitcnt vmcnt(7)
	v_and_b32_e32 v8, 0xf0f0f0f, v12
	v_lshrrev_b32_e32 v9, 4, v12
	s_waitcnt vmcnt(6)
	v_ashrrev_i32_e32 v10, v52, v13
	;; [unrolled: 5-line block ×3, first 2 shown]
	v_lshlrev_b32_e32 v14, 4, v7
	v_and_b32_e32 v7, 0x30303030, v7
	v_lshlrev_b32_e32 v15, 4, v10
	v_and_b32_e32 v10, 0x30303030, v10
	v_lshlrev_b32_e32 v17, 4, v13
	v_and_or_b32 v2, v14, s25, v2
	v_and_or_b32 v3, v3, s24, v7
	;; [unrolled: 1-line block ×5, first 2 shown]
	v_and_b32_e32 v10, 0x3f00, v2
	v_lshlrev_b16_e32 v11, 8, v2
	v_and_b32_sdwa v14, v2, s26 dst_sel:DWORD dst_unused:UNUSED_PAD src0_sel:WORD_1 src1_sel:DWORD
	v_lshlrev_b16_sdwa v2, v145, v2 dst_sel:DWORD dst_unused:UNUSED_PAD src0_sel:DWORD src1_sel:WORD_1
	v_and_b32_e32 v15, 0x3f00, v3
	v_lshlrev_b16_e32 v17, 8, v3
	v_and_b32_sdwa v18, v3, s26 dst_sel:DWORD dst_unused:UNUSED_PAD src0_sel:WORD_1 src1_sel:DWORD
	v_lshlrev_b16_sdwa v3, v145, v3 dst_sel:DWORD dst_unused:UNUSED_PAD src0_sel:DWORD src1_sel:WORD_1
	;; [unrolled: 4-line block ×4, first 2 shown]
	v_add_u16_e32 v11, 0xe000, v11
	v_add_u16_e32 v2, 0xe000, v2
	;; [unrolled: 1-line block ×8, first 2 shown]
	v_or_b32_sdwa v10, v10, v11 dst_sel:DWORD dst_unused:UNUSED_PAD src0_sel:DWORD src1_sel:BYTE_1
	v_or_b32_sdwa v2, v14, v2 dst_sel:DWORD dst_unused:UNUSED_PAD src0_sel:DWORD src1_sel:BYTE_1
	v_or_b32_sdwa v11, v15, v17 dst_sel:DWORD dst_unused:UNUSED_PAD src0_sel:DWORD src1_sel:BYTE_1
	v_or_b32_sdwa v3, v18, v3 dst_sel:DWORD dst_unused:UNUSED_PAD src0_sel:DWORD src1_sel:BYTE_1
	v_or_b32_sdwa v14, v19, v20 dst_sel:DWORD dst_unused:UNUSED_PAD src0_sel:DWORD src1_sel:BYTE_1
	v_or_b32_sdwa v7, v21, v7 dst_sel:DWORD dst_unused:UNUSED_PAD src0_sel:DWORD src1_sel:BYTE_1
	v_or_b32_sdwa v15, v25, v102 dst_sel:DWORD dst_unused:UNUSED_PAD src0_sel:DWORD src1_sel:BYTE_1
	v_or_b32_sdwa v8, v103, v8 dst_sel:DWORD dst_unused:UNUSED_PAD src0_sel:DWORD src1_sel:BYTE_1
	v_add_u16_e32 v10, 0xe000, v10
	v_add_u16_sdwa v2, v2, s27 dst_sel:WORD_1 dst_unused:UNUSED_PAD src0_sel:DWORD src1_sel:DWORD
	v_add_u16_e32 v11, 0xe000, v11
	v_add_u16_sdwa v3, v3, s27 dst_sel:WORD_1 dst_unused:UNUSED_PAD src0_sel:DWORD src1_sel:DWORD
	;; [unrolled: 2-line block ×4, first 2 shown]
	v_or_b32_e32 v2, v10, v2
	v_or_b32_e32 v3, v11, v3
	;; [unrolled: 1-line block ×3, first 2 shown]
	v_lshlrev_b16_e32 v105, 8, v9
	v_or_b32_e32 v8, v15, v8
	ds_write2_b32 v110, v2, v3 offset1:16
	ds_write2_b32 v111, v7, v8 offset1:16
	v_lshlrev_b16_sdwa v7, v145, v9 dst_sel:DWORD dst_unused:UNUSED_PAD src0_sel:DWORD src1_sel:WORD_1
	v_and_b32_e32 v104, 0x3f00, v9
	v_add_u16_e32 v105, 0xe000, v105
	v_and_b32_sdwa v3, v9, s26 dst_sel:DWORD dst_unused:UNUSED_PAD src0_sel:WORD_1 src1_sel:DWORD
	v_add_u16_e32 v7, 0xe000, v7
	v_and_b32_e32 v13, 0x30303030, v13
	v_or_b32_sdwa v17, v104, v105 dst_sel:DWORD dst_unused:UNUSED_PAD src0_sel:DWORD src1_sel:BYTE_1
	v_or_b32_sdwa v3, v3, v7 dst_sel:DWORD dst_unused:UNUSED_PAD src0_sel:DWORD src1_sel:BYTE_1
	v_add_u16_e32 v2, 0xe000, v17
	v_add_u16_sdwa v3, v3, s27 dst_sel:WORD_1 dst_unused:UNUSED_PAD src0_sel:DWORD src1_sel:DWORD
	v_and_or_b32 v8, v12, s24, v13
	v_or_b32_e32 v7, v2, v3
	v_lshlrev_b16_e32 v2, 8, v8
	v_add_u16_e32 v10, 0xe000, v2
	v_lshl_add_u64 v[2:3], v[66:67], 0, s[16:17]
	global_load_dword v11, v[2:3], off offset:-2
	v_lshl_add_u64 v[2:3], v[62:63], 0, s[16:17]
	global_load_dword v12, v[2:3], off
	v_and_b32_e32 v9, 0x3f00, v8
	v_and_b32_sdwa v3, v8, s26 dst_sel:DWORD dst_unused:UNUSED_PAD src0_sel:WORD_1 src1_sel:DWORD
	v_lshlrev_b16_sdwa v8, v145, v8 dst_sel:DWORD dst_unused:UNUSED_PAD src0_sel:DWORD src1_sel:WORD_1
	v_add_u16_e32 v8, 0xe000, v8
	v_or_b32_sdwa v2, v9, v10 dst_sel:DWORD dst_unused:UNUSED_PAD src0_sel:DWORD src1_sel:BYTE_1
	v_or_b32_sdwa v3, v3, v8 dst_sel:DWORD dst_unused:UNUSED_PAD src0_sel:DWORD src1_sel:BYTE_1
	v_add_u16_e32 v2, 0xe000, v2
	v_add_u16_sdwa v3, v3, s27 dst_sel:WORD_1 dst_unused:UNUSED_PAD src0_sel:DWORD src1_sel:DWORD
	s_waitcnt vmcnt(4)
	v_ashrrev_i32_e32 v4, v52, v4
	v_or_b32_e32 v2, v2, v3
	ds_write2_b32 v112, v7, v2 offset1:16
	v_and_b32_e32 v2, 0xf0f0f0f, v16
	v_lshlrev_b32_e32 v7, 4, v4
	v_and_or_b32 v2, v7, s25, v2
	v_lshlrev_b16_e32 v8, 8, v2
	v_and_b32_e32 v7, 0x3f00, v2
	v_add_u16_e32 v8, 0xe000, v8
	v_or_b32_sdwa v7, v7, v8 dst_sel:DWORD dst_unused:UNUSED_PAD src0_sel:DWORD src1_sel:BYTE_1
	v_and_b32_sdwa v8, v2, s26 dst_sel:DWORD dst_unused:UNUSED_PAD src0_sel:WORD_1 src1_sel:DWORD
	v_lshlrev_b16_sdwa v2, v145, v2 dst_sel:DWORD dst_unused:UNUSED_PAD src0_sel:DWORD src1_sel:WORD_1
	v_add_u16_e32 v2, 0xe000, v2
	v_lshrrev_b32_e32 v3, 4, v16
	v_and_b32_e32 v4, 0x30303030, v4
	v_or_b32_sdwa v2, v8, v2 dst_sel:DWORD dst_unused:UNUSED_PAD src0_sel:DWORD src1_sel:BYTE_1
	v_add_u16_e32 v7, 0xe000, v7
	v_add_u16_sdwa v2, v2, s27 dst_sel:WORD_1 dst_unused:UNUSED_PAD src0_sel:DWORD src1_sel:DWORD
	v_and_or_b32 v4, v3, s24, v4
	v_or_b32_e32 v7, v7, v2
	v_lshlrev_b16_e32 v2, 8, v4
	v_add_u16_e32 v9, 0xe000, v2
	v_lshl_add_u64 v[2:3], v[72:73], 0, s[16:17]
	global_load_dword v10, v[2:3], off offset:-2
	v_lshl_add_u64 v[2:3], v[68:69], 0, s[16:17]
	v_and_b32_e32 v8, 0x3f00, v4
	global_load_dword v13, v[2:3], off
	v_and_b32_sdwa v3, v4, s26 dst_sel:DWORD dst_unused:UNUSED_PAD src0_sel:WORD_1 src1_sel:DWORD
	v_lshlrev_b16_sdwa v4, v145, v4 dst_sel:DWORD dst_unused:UNUSED_PAD src0_sel:DWORD src1_sel:WORD_1
	v_add_u16_e32 v4, 0xe000, v4
	v_or_b32_sdwa v2, v8, v9 dst_sel:DWORD dst_unused:UNUSED_PAD src0_sel:DWORD src1_sel:BYTE_1
	v_or_b32_sdwa v3, v3, v4 dst_sel:DWORD dst_unused:UNUSED_PAD src0_sel:DWORD src1_sel:BYTE_1
	v_add_u16_e32 v2, 0xe000, v2
	v_add_u16_sdwa v3, v3, s27 dst_sel:WORD_1 dst_unused:UNUSED_PAD src0_sel:DWORD src1_sel:DWORD
	s_waitcnt vmcnt(4)
	v_ashrrev_i32_e32 v4, v52, v6
	v_or_b32_e32 v2, v2, v3
	ds_write2_b32 v113, v7, v2 offset1:16
	v_and_b32_e32 v2, 0xf0f0f0f, v5
	v_lshrrev_b32_e32 v3, 4, v5
	v_lshlrev_b32_e32 v5, 4, v4
	v_and_or_b32 v2, v5, s25, v2
	v_lshlrev_b16_e32 v6, 8, v2
	v_and_b32_e32 v5, 0x3f00, v2
	v_add_u16_e32 v6, 0xe000, v6
	v_or_b32_sdwa v5, v5, v6 dst_sel:DWORD dst_unused:UNUSED_PAD src0_sel:DWORD src1_sel:BYTE_1
	v_and_b32_sdwa v6, v2, s26 dst_sel:DWORD dst_unused:UNUSED_PAD src0_sel:WORD_1 src1_sel:DWORD
	v_lshlrev_b16_sdwa v2, v145, v2 dst_sel:DWORD dst_unused:UNUSED_PAD src0_sel:DWORD src1_sel:WORD_1
	v_add_u16_e32 v2, 0xe000, v2
	v_and_b32_e32 v4, 0x30303030, v4
	v_or_b32_sdwa v2, v6, v2 dst_sel:DWORD dst_unused:UNUSED_PAD src0_sel:DWORD src1_sel:BYTE_1
	v_add_u16_e32 v5, 0xe000, v5
	v_add_u16_sdwa v2, v2, s27 dst_sel:WORD_1 dst_unused:UNUSED_PAD src0_sel:DWORD src1_sel:DWORD
	v_and_or_b32 v4, v3, s24, v4
	v_or_b32_e32 v5, v5, v2
	v_lshlrev_b16_e32 v2, 8, v4
	v_add_u16_e32 v7, 0xe000, v2
	v_lshl_add_u64 v[2:3], v[78:79], 0, s[16:17]
	global_load_dword v8, v[2:3], off offset:-2
	v_lshl_add_u64 v[2:3], v[74:75], 0, s[16:17]
	global_load_dword v9, v[2:3], off
	v_and_b32_e32 v6, 0x3f00, v4
	v_and_b32_sdwa v3, v4, s26 dst_sel:DWORD dst_unused:UNUSED_PAD src0_sel:WORD_1 src1_sel:DWORD
	v_lshlrev_b16_sdwa v4, v145, v4 dst_sel:DWORD dst_unused:UNUSED_PAD src0_sel:DWORD src1_sel:WORD_1
	v_add_u16_e32 v4, 0xe000, v4
	v_or_b32_sdwa v2, v6, v7 dst_sel:DWORD dst_unused:UNUSED_PAD src0_sel:DWORD src1_sel:BYTE_1
	v_or_b32_sdwa v3, v3, v4 dst_sel:DWORD dst_unused:UNUSED_PAD src0_sel:DWORD src1_sel:BYTE_1
	v_add_u16_e32 v2, 0xe000, v2
	v_add_u16_sdwa v3, v3, s27 dst_sel:WORD_1 dst_unused:UNUSED_PAD src0_sel:DWORD src1_sel:DWORD
	s_waitcnt vmcnt(4)
	v_ashrrev_i32_e32 v4, v52, v12
	v_or_b32_e32 v2, v2, v3
	ds_write2_b32 v114, v5, v2 offset1:16
	v_and_b32_e32 v2, 0xf0f0f0f, v11
	v_lshlrev_b32_e32 v5, 4, v4
	v_and_or_b32 v2, v5, s25, v2
	v_lshlrev_b16_e32 v6, 8, v2
	v_and_b32_e32 v5, 0x3f00, v2
	v_add_u16_e32 v6, 0xe000, v6
	v_or_b32_sdwa v5, v5, v6 dst_sel:DWORD dst_unused:UNUSED_PAD src0_sel:DWORD src1_sel:BYTE_1
	v_and_b32_sdwa v6, v2, s26 dst_sel:DWORD dst_unused:UNUSED_PAD src0_sel:WORD_1 src1_sel:DWORD
	v_lshlrev_b16_sdwa v2, v145, v2 dst_sel:DWORD dst_unused:UNUSED_PAD src0_sel:DWORD src1_sel:WORD_1
	v_add_u16_e32 v2, 0xe000, v2
	v_lshrrev_b32_e32 v3, 4, v11
	v_and_b32_e32 v4, 0x30303030, v4
	v_or_b32_sdwa v2, v6, v2 dst_sel:DWORD dst_unused:UNUSED_PAD src0_sel:DWORD src1_sel:BYTE_1
	v_add_u16_e32 v5, 0xe000, v5
	v_add_u16_sdwa v2, v2, s27 dst_sel:WORD_1 dst_unused:UNUSED_PAD src0_sel:DWORD src1_sel:DWORD
	v_and_or_b32 v4, v3, s24, v4
	v_or_b32_e32 v5, v5, v2
	v_lshlrev_b16_e32 v2, 8, v4
	v_add_u16_e32 v7, 0xe000, v2
	v_lshl_add_u64 v[2:3], v[84:85], 0, s[16:17]
	global_load_dword v11, v[2:3], off offset:-2
	v_lshl_add_u64 v[2:3], v[80:81], 0, s[16:17]
	global_load_dword v12, v[2:3], off
	v_and_b32_e32 v6, 0x3f00, v4
	v_and_b32_sdwa v3, v4, s26 dst_sel:DWORD dst_unused:UNUSED_PAD src0_sel:WORD_1 src1_sel:DWORD
	v_lshlrev_b16_sdwa v4, v145, v4 dst_sel:DWORD dst_unused:UNUSED_PAD src0_sel:DWORD src1_sel:WORD_1
	v_add_u16_e32 v4, 0xe000, v4
	v_or_b32_sdwa v2, v6, v7 dst_sel:DWORD dst_unused:UNUSED_PAD src0_sel:DWORD src1_sel:BYTE_1
	v_or_b32_sdwa v3, v3, v4 dst_sel:DWORD dst_unused:UNUSED_PAD src0_sel:DWORD src1_sel:BYTE_1
	v_add_u16_e32 v2, 0xe000, v2
	v_add_u16_sdwa v3, v3, s27 dst_sel:WORD_1 dst_unused:UNUSED_PAD src0_sel:DWORD src1_sel:DWORD
	s_waitcnt vmcnt(4)
	v_ashrrev_i32_e32 v4, v52, v13
	v_or_b32_e32 v2, v2, v3
	ds_write2_b32 v115, v5, v2 offset1:16
	v_and_b32_e32 v2, 0xf0f0f0f, v10
	v_lshlrev_b32_e32 v5, 4, v4
	v_and_or_b32 v2, v5, s25, v2
	v_lshlrev_b16_e32 v6, 8, v2
	v_and_b32_e32 v5, 0x3f00, v2
	v_add_u16_e32 v6, 0xe000, v6
	v_or_b32_sdwa v5, v5, v6 dst_sel:DWORD dst_unused:UNUSED_PAD src0_sel:DWORD src1_sel:BYTE_1
	v_and_b32_sdwa v6, v2, s26 dst_sel:DWORD dst_unused:UNUSED_PAD src0_sel:WORD_1 src1_sel:DWORD
	v_lshlrev_b16_sdwa v2, v145, v2 dst_sel:DWORD dst_unused:UNUSED_PAD src0_sel:DWORD src1_sel:WORD_1
	v_add_u16_e32 v2, 0xe000, v2
	v_lshrrev_b32_e32 v3, 4, v10
	v_and_b32_e32 v4, 0x30303030, v4
	v_or_b32_sdwa v2, v6, v2 dst_sel:DWORD dst_unused:UNUSED_PAD src0_sel:DWORD src1_sel:BYTE_1
	v_add_u16_e32 v5, 0xe000, v5
	v_add_u16_sdwa v2, v2, s27 dst_sel:WORD_1 dst_unused:UNUSED_PAD src0_sel:DWORD src1_sel:DWORD
	v_and_or_b32 v4, v3, s24, v4
	v_or_b32_e32 v5, v5, v2
	v_lshlrev_b16_e32 v2, 8, v4
	v_add_u16_e32 v7, 0xe000, v2
	v_lshl_add_u64 v[2:3], v[90:91], 0, s[16:17]
	global_load_dword v10, v[2:3], off offset:-2
	v_lshl_add_u64 v[2:3], v[86:87], 0, s[16:17]
	v_and_b32_e32 v6, 0x3f00, v4
	global_load_dword v13, v[2:3], off
	v_and_b32_sdwa v3, v4, s26 dst_sel:DWORD dst_unused:UNUSED_PAD src0_sel:WORD_1 src1_sel:DWORD
	v_lshlrev_b16_sdwa v4, v145, v4 dst_sel:DWORD dst_unused:UNUSED_PAD src0_sel:DWORD src1_sel:WORD_1
	v_add_u16_e32 v4, 0xe000, v4
	v_or_b32_sdwa v2, v6, v7 dst_sel:DWORD dst_unused:UNUSED_PAD src0_sel:DWORD src1_sel:BYTE_1
	v_or_b32_sdwa v3, v3, v4 dst_sel:DWORD dst_unused:UNUSED_PAD src0_sel:DWORD src1_sel:BYTE_1
	v_add_u16_e32 v2, 0xe000, v2
	v_add_u16_sdwa v3, v3, s27 dst_sel:WORD_1 dst_unused:UNUSED_PAD src0_sel:DWORD src1_sel:DWORD
	s_waitcnt vmcnt(4)
	v_ashrrev_i32_e32 v4, v52, v9
	v_or_b32_e32 v2, v2, v3
	ds_write2_b32 v116, v5, v2 offset1:16
	v_and_b32_e32 v2, 0xf0f0f0f, v8
	v_lshlrev_b32_e32 v5, 4, v4
	v_and_or_b32 v2, v5, s25, v2
	v_lshlrev_b16_e32 v6, 8, v2
	v_and_b32_e32 v5, 0x3f00, v2
	v_add_u16_e32 v6, 0xe000, v6
	v_or_b32_sdwa v5, v5, v6 dst_sel:DWORD dst_unused:UNUSED_PAD src0_sel:DWORD src1_sel:BYTE_1
	v_and_b32_sdwa v6, v2, s26 dst_sel:DWORD dst_unused:UNUSED_PAD src0_sel:WORD_1 src1_sel:DWORD
	v_lshlrev_b16_sdwa v2, v145, v2 dst_sel:DWORD dst_unused:UNUSED_PAD src0_sel:DWORD src1_sel:WORD_1
	v_add_u16_e32 v2, 0xe000, v2
	v_lshrrev_b32_e32 v3, 4, v8
	v_and_b32_e32 v4, 0x30303030, v4
	v_or_b32_sdwa v2, v6, v2 dst_sel:DWORD dst_unused:UNUSED_PAD src0_sel:DWORD src1_sel:BYTE_1
	v_add_u16_e32 v5, 0xe000, v5
	v_add_u16_sdwa v2, v2, s27 dst_sel:WORD_1 dst_unused:UNUSED_PAD src0_sel:DWORD src1_sel:DWORD
	v_and_or_b32 v4, v3, s24, v4
	v_or_b32_e32 v5, v5, v2
	v_lshlrev_b16_e32 v2, 8, v4
	v_add_u16_e32 v7, 0xe000, v2
	v_lshl_add_u64 v[2:3], v[96:97], 0, s[16:17]
	global_load_dword v8, v[2:3], off offset:-2
	v_lshl_add_u64 v[2:3], v[92:93], 0, s[16:17]
	global_load_dword v9, v[2:3], off
	v_and_b32_e32 v6, 0x3f00, v4
	v_and_b32_sdwa v3, v4, s26 dst_sel:DWORD dst_unused:UNUSED_PAD src0_sel:WORD_1 src1_sel:DWORD
	v_lshlrev_b16_sdwa v4, v145, v4 dst_sel:DWORD dst_unused:UNUSED_PAD src0_sel:DWORD src1_sel:WORD_1
	v_add_u16_e32 v4, 0xe000, v4
	v_or_b32_sdwa v2, v6, v7 dst_sel:DWORD dst_unused:UNUSED_PAD src0_sel:DWORD src1_sel:BYTE_1
	v_or_b32_sdwa v3, v3, v4 dst_sel:DWORD dst_unused:UNUSED_PAD src0_sel:DWORD src1_sel:BYTE_1
	v_add_u16_e32 v2, 0xe000, v2
	v_add_u16_sdwa v3, v3, s27 dst_sel:WORD_1 dst_unused:UNUSED_PAD src0_sel:DWORD src1_sel:DWORD
	s_waitcnt vmcnt(4)
	v_ashrrev_i32_e32 v4, v52, v12
	v_or_b32_e32 v2, v2, v3
	ds_write2_b32 v117, v5, v2 offset1:16
	v_and_b32_e32 v2, 0xf0f0f0f, v11
	v_lshlrev_b32_e32 v5, 4, v4
	v_and_or_b32 v2, v5, s25, v2
	v_lshlrev_b16_e32 v6, 8, v2
	v_and_b32_e32 v5, 0x3f00, v2
	v_add_u16_e32 v6, 0xe000, v6
	v_or_b32_sdwa v5, v5, v6 dst_sel:DWORD dst_unused:UNUSED_PAD src0_sel:DWORD src1_sel:BYTE_1
	v_and_b32_sdwa v6, v2, s26 dst_sel:DWORD dst_unused:UNUSED_PAD src0_sel:WORD_1 src1_sel:DWORD
	v_lshlrev_b16_sdwa v2, v145, v2 dst_sel:DWORD dst_unused:UNUSED_PAD src0_sel:DWORD src1_sel:WORD_1
	v_add_u16_e32 v2, 0xe000, v2
	v_lshrrev_b32_e32 v3, 4, v11
	v_and_b32_e32 v4, 0x30303030, v4
	v_or_b32_sdwa v2, v6, v2 dst_sel:DWORD dst_unused:UNUSED_PAD src0_sel:DWORD src1_sel:BYTE_1
	v_add_u16_e32 v5, 0xe000, v5
	v_add_u16_sdwa v2, v2, s27 dst_sel:WORD_1 dst_unused:UNUSED_PAD src0_sel:DWORD src1_sel:DWORD
	v_and_or_b32 v4, v3, s24, v4
	v_or_b32_e32 v5, v5, v2
	v_lshlrev_b16_e32 v2, 8, v4
	v_add_u16_e32 v7, 0xe000, v2
	v_lshl_add_u64 v[2:3], v[100:101], 0, s[16:17]
	global_load_dword v11, v[2:3], off offset:-2
	v_lshl_add_u64 v[2:3], v[98:99], 0, s[16:17]
	global_load_dword v12, v[2:3], off
	v_and_b32_e32 v6, 0x3f00, v4
	v_and_b32_sdwa v3, v4, s26 dst_sel:DWORD dst_unused:UNUSED_PAD src0_sel:WORD_1 src1_sel:DWORD
	v_lshlrev_b16_sdwa v4, v145, v4 dst_sel:DWORD dst_unused:UNUSED_PAD src0_sel:DWORD src1_sel:WORD_1
	v_add_u16_e32 v4, 0xe000, v4
	v_or_b32_sdwa v2, v6, v7 dst_sel:DWORD dst_unused:UNUSED_PAD src0_sel:DWORD src1_sel:BYTE_1
	v_or_b32_sdwa v3, v3, v4 dst_sel:DWORD dst_unused:UNUSED_PAD src0_sel:DWORD src1_sel:BYTE_1
	v_add_u16_e32 v2, 0xe000, v2
	v_add_u16_sdwa v3, v3, s27 dst_sel:WORD_1 dst_unused:UNUSED_PAD src0_sel:DWORD src1_sel:DWORD
	s_waitcnt vmcnt(4)
	v_ashrrev_i32_e32 v4, v52, v13
	v_or_b32_e32 v2, v2, v3
	ds_write2_b32 v118, v5, v2 offset1:16
	v_and_b32_e32 v2, 0xf0f0f0f, v10
	v_lshlrev_b32_e32 v5, 4, v4
	v_and_or_b32 v2, v5, s25, v2
	v_lshlrev_b16_e32 v6, 8, v2
	v_and_b32_e32 v5, 0x3f00, v2
	v_add_u16_e32 v6, 0xe000, v6
	v_or_b32_sdwa v5, v5, v6 dst_sel:DWORD dst_unused:UNUSED_PAD src0_sel:DWORD src1_sel:BYTE_1
	v_and_b32_sdwa v6, v2, s26 dst_sel:DWORD dst_unused:UNUSED_PAD src0_sel:WORD_1 src1_sel:DWORD
	v_lshlrev_b16_sdwa v2, v145, v2 dst_sel:DWORD dst_unused:UNUSED_PAD src0_sel:DWORD src1_sel:WORD_1
	v_add_u16_e32 v2, 0xe000, v2
	v_lshrrev_b32_e32 v3, 4, v10
	v_and_b32_e32 v4, 0x30303030, v4
	v_or_b32_sdwa v2, v6, v2 dst_sel:DWORD dst_unused:UNUSED_PAD src0_sel:DWORD src1_sel:BYTE_1
	v_add_u16_e32 v5, 0xe000, v5
	v_add_u16_sdwa v2, v2, s27 dst_sel:WORD_1 dst_unused:UNUSED_PAD src0_sel:DWORD src1_sel:DWORD
	v_and_or_b32 v4, v3, s24, v4
	v_or_b32_e32 v5, v5, v2
	v_lshlrev_b16_e32 v2, 8, v4
	v_add_u16_e32 v7, 0xe000, v2
	v_lshl_add_u64 v[2:3], v[88:89], 0, s[16:17]
	global_load_dword v10, v[2:3], off
	v_lshl_add_u64 v[2:3], v[94:95], 0, s[16:17]
	v_and_b32_e32 v6, 0x3f00, v4
	global_load_dword v13, v[2:3], off
	v_and_b32_sdwa v3, v4, s26 dst_sel:DWORD dst_unused:UNUSED_PAD src0_sel:WORD_1 src1_sel:DWORD
	v_lshlrev_b16_sdwa v4, v145, v4 dst_sel:DWORD dst_unused:UNUSED_PAD src0_sel:DWORD src1_sel:WORD_1
	v_add_u16_e32 v4, 0xe000, v4
	v_or_b32_sdwa v2, v6, v7 dst_sel:DWORD dst_unused:UNUSED_PAD src0_sel:DWORD src1_sel:BYTE_1
	v_or_b32_sdwa v3, v3, v4 dst_sel:DWORD dst_unused:UNUSED_PAD src0_sel:DWORD src1_sel:BYTE_1
	v_add_u16_e32 v2, 0xe000, v2
	v_add_u16_sdwa v3, v3, s27 dst_sel:WORD_1 dst_unused:UNUSED_PAD src0_sel:DWORD src1_sel:DWORD
	s_waitcnt vmcnt(4)
	v_ashrrev_i32_e32 v4, v52, v9
	v_or_b32_e32 v2, v2, v3
	ds_write2_b32 v119, v5, v2 offset1:16
	v_and_b32_e32 v2, 0xf0f0f0f, v8
	v_lshlrev_b32_e32 v5, 4, v4
	v_and_or_b32 v2, v5, s25, v2
	v_lshlrev_b16_e32 v6, 8, v2
	v_and_b32_e32 v5, 0x3f00, v2
	v_add_u16_e32 v6, 0xe000, v6
	v_or_b32_sdwa v5, v5, v6 dst_sel:DWORD dst_unused:UNUSED_PAD src0_sel:DWORD src1_sel:BYTE_1
	v_and_b32_sdwa v6, v2, s26 dst_sel:DWORD dst_unused:UNUSED_PAD src0_sel:WORD_1 src1_sel:DWORD
	v_lshlrev_b16_sdwa v2, v145, v2 dst_sel:DWORD dst_unused:UNUSED_PAD src0_sel:DWORD src1_sel:WORD_1
	v_add_u16_e32 v2, 0xe000, v2
	v_lshrrev_b32_e32 v3, 4, v8
	v_and_b32_e32 v4, 0x30303030, v4
	v_or_b32_sdwa v2, v6, v2 dst_sel:DWORD dst_unused:UNUSED_PAD src0_sel:DWORD src1_sel:BYTE_1
	v_add_u16_e32 v5, 0xe000, v5
	v_add_u16_sdwa v2, v2, s27 dst_sel:WORD_1 dst_unused:UNUSED_PAD src0_sel:DWORD src1_sel:DWORD
	v_and_or_b32 v4, v3, s24, v4
	v_or_b32_e32 v5, v5, v2
	v_lshlrev_b16_e32 v2, 8, v4
	v_add_u16_e32 v7, 0xe000, v2
	v_lshl_add_u64 v[2:3], v[76:77], 0, s[16:17]
	global_load_dword v8, v[2:3], off
	v_lshl_add_u64 v[2:3], v[82:83], 0, s[16:17]
	global_load_dword v9, v[2:3], off
	v_and_b32_e32 v6, 0x3f00, v4
	v_and_b32_sdwa v3, v4, s26 dst_sel:DWORD dst_unused:UNUSED_PAD src0_sel:WORD_1 src1_sel:DWORD
	v_lshlrev_b16_sdwa v4, v145, v4 dst_sel:DWORD dst_unused:UNUSED_PAD src0_sel:DWORD src1_sel:WORD_1
	v_add_u16_e32 v4, 0xe000, v4
	v_or_b32_sdwa v2, v6, v7 dst_sel:DWORD dst_unused:UNUSED_PAD src0_sel:DWORD src1_sel:BYTE_1
	v_or_b32_sdwa v3, v3, v4 dst_sel:DWORD dst_unused:UNUSED_PAD src0_sel:DWORD src1_sel:BYTE_1
	v_add_u16_e32 v2, 0xe000, v2
	v_add_u16_sdwa v3, v3, s27 dst_sel:WORD_1 dst_unused:UNUSED_PAD src0_sel:DWORD src1_sel:DWORD
	s_waitcnt vmcnt(4)
	v_ashrrev_i32_e32 v4, v52, v12
	v_or_b32_e32 v2, v2, v3
	ds_write2_b32 v120, v5, v2 offset1:16
	v_and_b32_e32 v2, 0xf0f0f0f, v11
	v_lshlrev_b32_e32 v5, 4, v4
	v_and_or_b32 v2, v5, s25, v2
	v_lshlrev_b16_e32 v6, 8, v2
	v_and_b32_e32 v5, 0x3f00, v2
	v_add_u16_e32 v6, 0xe000, v6
	v_or_b32_sdwa v5, v5, v6 dst_sel:DWORD dst_unused:UNUSED_PAD src0_sel:DWORD src1_sel:BYTE_1
	v_and_b32_sdwa v6, v2, s26 dst_sel:DWORD dst_unused:UNUSED_PAD src0_sel:WORD_1 src1_sel:DWORD
	v_lshlrev_b16_sdwa v2, v145, v2 dst_sel:DWORD dst_unused:UNUSED_PAD src0_sel:DWORD src1_sel:WORD_1
	v_lshrrev_b32_e32 v3, 4, v11
	v_and_b32_e32 v4, 0x30303030, v4
	v_add_u16_e32 v2, 0xe000, v2
	v_or_b32_sdwa v2, v6, v2 dst_sel:DWORD dst_unused:UNUSED_PAD src0_sel:DWORD src1_sel:BYTE_1
	v_and_or_b32 v4, v3, s24, v4
	v_add_u16_e32 v5, 0xe000, v5
	v_add_u16_sdwa v2, v2, s27 dst_sel:WORD_1 dst_unused:UNUSED_PAD src0_sel:DWORD src1_sel:DWORD
	v_lshlrev_b16_e32 v3, 8, v4
	v_or_b32_e32 v5, v5, v2
	v_and_b32_e32 v2, 0x3f00, v4
	v_add_u16_e32 v3, 0xe000, v3
	v_or_b32_sdwa v2, v2, v3 dst_sel:DWORD dst_unused:UNUSED_PAD src0_sel:DWORD src1_sel:BYTE_1
	v_add_u16_e32 v6, 0xe000, v2
	v_lshl_add_u64 v[2:3], v[64:65], 0, s[16:17]
	global_load_dword v7, v[2:3], off
	v_lshl_add_u64 v[2:3], v[70:71], 0, s[16:17]
	global_load_dword v11, v[2:3], off
	v_lshlrev_b16_sdwa v3, v145, v4 dst_sel:DWORD dst_unused:UNUSED_PAD src0_sel:DWORD src1_sel:WORD_1
	v_and_b32_sdwa v2, v4, s26 dst_sel:DWORD dst_unused:UNUSED_PAD src0_sel:WORD_1 src1_sel:DWORD
	v_add_u16_e32 v3, 0xe000, v3
	v_or_b32_sdwa v2, v2, v3 dst_sel:DWORD dst_unused:UNUSED_PAD src0_sel:DWORD src1_sel:BYTE_1
	v_add_u16_sdwa v2, v2, s27 dst_sel:WORD_1 dst_unused:UNUSED_PAD src0_sel:DWORD src1_sel:DWORD
	s_waitcnt vmcnt(5)
	v_lshrrev_b32_e32 v3, 4, v10
	v_or_b32_e32 v2, v6, v2
	ds_write2_b32 v121, v5, v2 offset1:16
	s_waitcnt vmcnt(4)
	v_ashrrev_i32_e32 v4, v52, v13
	v_and_b32_e32 v2, 0xf0f0f0f, v10
	v_lshlrev_b32_e32 v5, 4, v4
	v_and_or_b32 v2, v5, s25, v2
	v_lshlrev_b16_e32 v6, 8, v2
	v_and_b32_e32 v5, 0x3f00, v2
	v_add_u16_e32 v6, 0xe000, v6
	v_or_b32_sdwa v5, v5, v6 dst_sel:DWORD dst_unused:UNUSED_PAD src0_sel:DWORD src1_sel:BYTE_1
	v_and_b32_sdwa v6, v2, s26 dst_sel:DWORD dst_unused:UNUSED_PAD src0_sel:WORD_1 src1_sel:DWORD
	v_lshlrev_b16_sdwa v2, v145, v2 dst_sel:DWORD dst_unused:UNUSED_PAD src0_sel:DWORD src1_sel:WORD_1
	v_add_u16_e32 v2, 0xe000, v2
	v_or_b32_sdwa v2, v6, v2 dst_sel:DWORD dst_unused:UNUSED_PAD src0_sel:DWORD src1_sel:BYTE_1
	v_and_b32_e32 v4, 0x30303030, v4
	v_add_u16_e32 v5, 0xe000, v5
	v_add_u16_sdwa v2, v2, s27 dst_sel:WORD_1 dst_unused:UNUSED_PAD src0_sel:DWORD src1_sel:DWORD
	v_and_or_b32 v4, v3, s24, v4
	v_or_b32_e32 v5, v5, v2
	v_lshl_add_u64 v[2:3], v[50:51], 0, s[16:17]
	global_load_dword v10, v[2:3], off
	v_lshl_add_u64 v[2:3], v[58:59], 0, s[16:17]
	global_load_dword v12, v[2:3], off
	v_and_b32_e32 v6, 0x3f00, v4
	v_lshlrev_b16_e32 v2, 8, v4
	v_and_b32_sdwa v3, v4, s26 dst_sel:DWORD dst_unused:UNUSED_PAD src0_sel:WORD_1 src1_sel:DWORD
	v_lshlrev_b16_sdwa v4, v145, v4 dst_sel:DWORD dst_unused:UNUSED_PAD src0_sel:DWORD src1_sel:WORD_1
	v_add_u16_e32 v2, 0xe000, v2
	v_add_u16_e32 v4, 0xe000, v4
	v_or_b32_sdwa v2, v6, v2 dst_sel:DWORD dst_unused:UNUSED_PAD src0_sel:DWORD src1_sel:BYTE_1
	v_or_b32_sdwa v3, v3, v4 dst_sel:DWORD dst_unused:UNUSED_PAD src0_sel:DWORD src1_sel:BYTE_1
	v_add_u16_e32 v2, 0xe000, v2
	v_add_u16_sdwa v3, v3, s27 dst_sel:WORD_1 dst_unused:UNUSED_PAD src0_sel:DWORD src1_sel:DWORD
	s_waitcnt vmcnt(5)
	v_lshrrev_b32_e32 v4, 4, v8
	v_or_b32_e32 v2, v2, v3
	s_waitcnt vmcnt(4)
	v_ashrrev_i32_e32 v3, v52, v9
	ds_write2_b32 v122, v5, v2 offset1:16
	v_and_b32_e32 v2, 0xf0f0f0f, v8
	v_lshlrev_b32_e32 v5, 4, v3
	v_and_or_b32 v5, v5, s25, v2
	v_and_b32_e32 v6, 0x30303030, v3
	v_lshlrev_b16_e32 v3, 8, v5
	v_and_b32_e32 v2, 0x3f00, v5
	v_add_u16_e32 v3, 0xe000, v3
	v_or_b32_sdwa v2, v2, v3 dst_sel:DWORD dst_unused:UNUSED_PAD src0_sel:DWORD src1_sel:BYTE_1
	v_add_u16_e32 v8, 0xe000, v2
	v_lshl_add_u64 v[2:3], v[44:45], 0, s[16:17]
	global_load_ushort v13, v[2:3], off
	v_lshlrev_b16_sdwa v2, v145, v5 dst_sel:DWORD dst_unused:UNUSED_PAD src0_sel:DWORD src1_sel:WORD_1
	v_and_b32_sdwa v9, v5, s26 dst_sel:DWORD dst_unused:UNUSED_PAD src0_sel:WORD_1 src1_sel:DWORD
	v_add_u16_e32 v2, 0xe000, v2
	v_or_b32_sdwa v5, v9, v2 dst_sel:DWORD dst_unused:UNUSED_PAD src0_sel:DWORD src1_sel:BYTE_1
	v_lshl_add_u64 v[2:3], v[38:39], 0, s[16:17]
	global_load_dword v9, v[2:3], off
	v_lshl_add_u64 v[2:3], v[32:33], 0, s[16:17]
	global_load_dword v2, v[2:3], off
	v_and_or_b32 v4, v4, s24, v6
	v_add_u16_sdwa v5, v5, s27 dst_sel:WORD_1 dst_unused:UNUSED_PAD src0_sel:DWORD src1_sel:DWORD
	v_lshlrev_b16_e32 v6, 8, v4
	v_or_b32_e32 v3, v8, v5
	v_and_b32_e32 v5, 0x3f00, v4
	v_add_u16_e32 v6, 0xe000, v6
	v_or_b32_sdwa v5, v5, v6 dst_sel:DWORD dst_unused:UNUSED_PAD src0_sel:DWORD src1_sel:BYTE_1
	v_and_b32_sdwa v6, v4, s26 dst_sel:DWORD dst_unused:UNUSED_PAD src0_sel:WORD_1 src1_sel:DWORD
	v_lshlrev_b16_sdwa v4, v145, v4 dst_sel:DWORD dst_unused:UNUSED_PAD src0_sel:DWORD src1_sel:WORD_1
	v_add_u16_e32 v4, 0xe000, v4
	v_or_b32_sdwa v4, v6, v4 dst_sel:DWORD dst_unused:UNUSED_PAD src0_sel:DWORD src1_sel:BYTE_1
	v_add_u16_e32 v5, 0xe000, v5
	v_add_u16_sdwa v4, v4, s27 dst_sel:WORD_1 dst_unused:UNUSED_PAD src0_sel:DWORD src1_sel:DWORD
	s_nop 0
	v_or_b32_e32 v4, v5, v4
	ds_write2_b32 v123, v3, v4 offset1:16
	s_waitcnt vmcnt(6)
	v_and_b32_e32 v3, 0xf0f0f0f, v7
	s_waitcnt vmcnt(5)
	v_ashrrev_i32_e32 v5, v52, v11
	v_lshlrev_b32_e32 v6, 4, v5
	v_and_or_b32 v3, v6, s25, v3
	v_lshrrev_b32_e32 v4, 4, v7
	v_lshlrev_b16_e32 v7, 8, v3
	v_and_b32_e32 v6, 0x3f00, v3
	v_add_u16_e32 v7, 0xe000, v7
	v_or_b32_sdwa v6, v6, v7 dst_sel:DWORD dst_unused:UNUSED_PAD src0_sel:DWORD src1_sel:BYTE_1
	v_and_b32_sdwa v7, v3, s26 dst_sel:DWORD dst_unused:UNUSED_PAD src0_sel:WORD_1 src1_sel:DWORD
	v_lshlrev_b16_sdwa v3, v145, v3 dst_sel:DWORD dst_unused:UNUSED_PAD src0_sel:DWORD src1_sel:WORD_1
	v_add_u16_e32 v3, 0xe000, v3
	v_and_b32_e32 v5, 0x30303030, v5
	v_or_b32_sdwa v3, v7, v3 dst_sel:DWORD dst_unused:UNUSED_PAD src0_sel:DWORD src1_sel:BYTE_1
	v_add_u16_e32 v6, 0xe000, v6
	v_add_u16_sdwa v3, v3, s27 dst_sel:WORD_1 dst_unused:UNUSED_PAD src0_sel:DWORD src1_sel:DWORD
	v_and_or_b32 v4, v4, s24, v5
	v_or_b32_e32 v3, v6, v3
	v_lshlrev_b16_e32 v6, 8, v4
	v_and_b32_e32 v5, 0x3f00, v4
	v_add_u16_e32 v6, 0xe000, v6
	v_or_b32_sdwa v5, v5, v6 dst_sel:DWORD dst_unused:UNUSED_PAD src0_sel:DWORD src1_sel:BYTE_1
	v_and_b32_sdwa v6, v4, s26 dst_sel:DWORD dst_unused:UNUSED_PAD src0_sel:WORD_1 src1_sel:DWORD
	v_lshlrev_b16_sdwa v4, v145, v4 dst_sel:DWORD dst_unused:UNUSED_PAD src0_sel:DWORD src1_sel:WORD_1
	v_add_u16_e32 v4, 0xe000, v4
	v_or_b32_sdwa v4, v6, v4 dst_sel:DWORD dst_unused:UNUSED_PAD src0_sel:DWORD src1_sel:BYTE_1
	v_add_u16_e32 v5, 0xe000, v5
	v_add_u16_sdwa v4, v4, s27 dst_sel:WORD_1 dst_unused:UNUSED_PAD src0_sel:DWORD src1_sel:DWORD
	s_nop 0
	v_or_b32_e32 v4, v5, v4
	s_waitcnt vmcnt(3)
	v_ashrrev_i32_e32 v5, v52, v12
	ds_write2_b32 v124, v3, v4 offset1:16
	v_and_b32_e32 v3, 0xf0f0f0f, v10
	v_lshlrev_b32_e32 v6, 4, v5
	v_and_or_b32 v3, v6, s25, v3
	v_lshlrev_b16_e32 v7, 8, v3
	v_and_b32_e32 v6, 0x3f00, v3
	v_add_u16_e32 v7, 0xe000, v7
	v_or_b32_sdwa v6, v6, v7 dst_sel:DWORD dst_unused:UNUSED_PAD src0_sel:DWORD src1_sel:BYTE_1
	v_and_b32_sdwa v7, v3, s26 dst_sel:DWORD dst_unused:UNUSED_PAD src0_sel:WORD_1 src1_sel:DWORD
	v_lshlrev_b16_sdwa v3, v145, v3 dst_sel:DWORD dst_unused:UNUSED_PAD src0_sel:DWORD src1_sel:WORD_1
	v_add_u16_e32 v3, 0xe000, v3
	v_lshrrev_b32_e32 v4, 4, v10
	v_and_b32_e32 v5, 0x30303030, v5
	v_or_b32_sdwa v3, v7, v3 dst_sel:DWORD dst_unused:UNUSED_PAD src0_sel:DWORD src1_sel:BYTE_1
	v_add_u16_e32 v6, 0xe000, v6
	v_add_u16_sdwa v3, v3, s27 dst_sel:WORD_1 dst_unused:UNUSED_PAD src0_sel:DWORD src1_sel:DWORD
	v_and_or_b32 v4, v4, s24, v5
	v_or_b32_e32 v3, v6, v3
	v_lshlrev_b16_e32 v6, 8, v4
	v_and_b32_e32 v5, 0x3f00, v4
	v_add_u16_e32 v6, 0xe000, v6
	v_or_b32_sdwa v5, v5, v6 dst_sel:DWORD dst_unused:UNUSED_PAD src0_sel:DWORD src1_sel:BYTE_1
	v_and_b32_sdwa v6, v4, s26 dst_sel:DWORD dst_unused:UNUSED_PAD src0_sel:WORD_1 src1_sel:DWORD
	v_lshlrev_b16_sdwa v4, v145, v4 dst_sel:DWORD dst_unused:UNUSED_PAD src0_sel:DWORD src1_sel:WORD_1
	v_add_u16_e32 v4, 0xe000, v4
	v_or_b32_sdwa v4, v6, v4 dst_sel:DWORD dst_unused:UNUSED_PAD src0_sel:DWORD src1_sel:BYTE_1
	s_waitcnt vmcnt(2)
	v_cvt_f32_f16_e32 v6, v13
	v_add_u16_e32 v5, 0xe000, v5
	v_add_u16_sdwa v4, v4, s27 dst_sel:WORD_1 dst_unused:UNUSED_PAD src0_sel:DWORD src1_sel:DWORD
	s_nop 0
	v_or_b32_e32 v4, v5, v4
	ds_write2_b32 v125, v3, v4 offset1:16
	ds_write_b32 v126, v6
	s_waitcnt vmcnt(1)
	ds_write_b32 v127, v9
	s_waitcnt vmcnt(0)
	ds_write_b32 v128, v2
	s_cbranch_scc0 .LBB235_5
; %bb.7:                                ;   in Loop: Header=BB235_6 Depth=1
	v_cmp_gt_i32_e64 s[2:3], s5, v131
	s_and_b64 s[20:21], s[0:1], s[2:3]
	s_and_saveexec_b64 s[2:3], s[20:21]
	s_cbranch_execz .LBB235_9
; %bb.8:                                ;   in Loop: Header=BB235_6 Depth=1
	v_add_u32_e32 v2, v28, v131
	v_mad_i64_i32 v[2:3], s[20:21], v2, 36, v[26:27]
	global_load_dword v2, v[2:3], off offset:4
	s_waitcnt vmcnt(0)
	ds_write_b32 v129, v2
.LBB235_9:                              ;   in Loop: Header=BB235_6 Depth=1
	s_or_b64 exec, exec, s[2:3]
	s_and_saveexec_b64 s[20:21], vcc
	s_cbranch_execz .LBB235_12
; %bb.10:                               ;   in Loop: Header=BB235_6 Depth=1
	v_cmp_gt_i32_e64 s[2:3], s5, v24
	s_and_b64 s[2:3], s[0:1], s[2:3]
	s_and_b64 exec, exec, s[2:3]
	s_cbranch_execz .LBB235_12
; %bb.11:                               ;   in Loop: Header=BB235_6 Depth=1
	v_add_u32_e32 v2, v28, v24
	v_mad_i64_i32 v[2:3], s[2:3], v2, 36, s[10:11]
	global_load_dword v2, v[2:3], off
	s_waitcnt vmcnt(0)
	v_cvt_f32_f16_e32 v2, v2
	ds_write_b32 v130, v2
.LBB235_12:                             ;   in Loop: Header=BB235_6 Depth=1
	s_or_b64 exec, exec, s[20:21]
	s_waitcnt lgkmcnt(0)
	s_barrier
	ds_read_b128 v[6:9], v132
	ds_read_b128 v[10:13], v132 offset:16
	ds_read_b128 v[14:17], v132 offset:32
	;; [unrolled: 1-line block ×3, first 2 shown]
	ds_read_b32 v25, v136
	ds_read2_b32 v[102:103], v135 offset0:6 offset1:7
	ds_read2_b32 v[106:107], v135 offset0:4 offset1:5
	;; [unrolled: 1-line block ×3, first 2 shown]
	ds_read2_b32 v[146:147], v135 offset1:1
	ds_read2_b32 v[148:149], v135 offset0:14 offset1:15
	ds_read2_b32 v[150:151], v135 offset0:12 offset1:13
	ds_read_b128 v[2:5], v133 offset:36944
	ds_read2_b32 v[104:105], v134 offset1:1
	v_mov_b32_e32 v156, 0
	ds_read2_b32 v[152:153], v135 offset0:10 offset1:11
	ds_read2_b32 v[154:155], v135 offset0:8 offset1:9
	s_waitcnt lgkmcnt(4)
	v_dot4c_i32_i8_e32 v156, v150, v18
	v_dot4c_i32_i8_e32 v156, v151, v19
	;; [unrolled: 1-line block ×4, first 2 shown]
	v_mov_b32_e32 v149, 0
	v_dot4c_i32_i8_e32 v149, v106, v10
	v_dot4c_i32_i8_e32 v149, v107, v11
	;; [unrolled: 1-line block ×4, first 2 shown]
	v_mov_b32_e32 v103, 0
	v_dot4c_i32_i8_e32 v103, v146, v6
	v_dot4c_i32_i8_e32 v103, v147, v7
	s_waitcnt lgkmcnt(2)
	v_bfe_i32 v102, v104, 8, 8
	v_dot4c_i32_i8_e32 v103, v108, v8
	v_mul_lo_u32 v102, v149, v102
	v_dot4c_i32_i8_e32 v103, v109, v9
	v_bfe_i32 v106, v104, 0, 8
	v_mov_b32_e32 v148, 0
	s_waitcnt lgkmcnt(0)
	v_dot4c_i32_i8_e32 v148, v154, v14
	v_mad_u64_u32 v[102:103], s[2:3], v103, v106, v[102:103]
	v_cvt_f32_i32_e32 v102, v102
	v_dot4c_i32_i8_e32 v148, v155, v15
	v_dot4c_i32_i8_e32 v148, v152, v16
	;; [unrolled: 1-line block ×3, first 2 shown]
	v_fma_f32 v160, v2, v102, 0
	v_ashrrev_i32_e32 v102, 24, v104
	v_bfe_i32 v103, v104, 16, 8
	v_mul_lo_u32 v102, v156, v102
	v_mad_u64_u32 v[102:103], s[2:3], v148, v103, v[102:103]
	v_add_u32_e32 v106, 0x2090, v135
	v_add_u32_e32 v146, 0x2088, v135
	;; [unrolled: 1-line block ×5, first 2 shown]
	v_cvt_f32_i32_e32 v161, v102
	ds_read2_b32 v[102:103], v140 offset1:1
	ds_read_b32 v164, v139 offset:128
	ds_read2_b32 v[108:109], v138 offset1:1
	ds_read2_b32 v[106:107], v106 offset1:1
	;; [unrolled: 1-line block ×6, first 2 shown]
	v_mov_b32_e32 v162, 0
	v_add_u32_e32 v104, 0x2098, v135
	v_add_u32_e32 v154, 0x20a8, v135
	;; [unrolled: 1-line block ×3, first 2 shown]
	s_waitcnt lgkmcnt(0)
	v_dot4c_i32_i8_e32 v162, v152, v18
	v_dot4c_i32_i8_e32 v162, v153, v19
	v_add_u32_e32 v158, 0x4118, v135
	v_dot4c_i32_i8_e32 v162, v150, v20
	ds_read2_b32 v[154:155], v154 offset1:1
	ds_read2_b32 v[156:157], v156 offset1:1
	;; [unrolled: 1-line block ×3, first 2 shown]
	v_dot4c_i32_i8_e32 v162, v151, v21
	ds_read2_b32 v[150:151], v104 offset1:1
	v_mov_b32_e32 v153, 0
	v_dot4c_i32_i8_e32 v153, v106, v10
	v_dot4c_i32_i8_e32 v153, v107, v11
	v_mov_b32_e32 v107, 0
	v_dot4c_i32_i8_e32 v107, v148, v6
	s_waitcnt lgkmcnt(0)
	v_dot4c_i32_i8_e32 v153, v150, v12
	v_dot4c_i32_i8_e32 v107, v149, v7
	v_mov_b32_e32 v152, 0
	v_dot4c_i32_i8_e32 v153, v151, v13
	v_bfe_i32 v106, v108, 8, 8
	v_dot4c_i32_i8_e32 v107, v146, v8
	v_dot4c_i32_i8_e32 v152, v156, v14
	v_mul_lo_u32 v106, v153, v106
	v_dot4c_i32_i8_e32 v107, v147, v9
	v_bfe_i32 v146, v108, 0, 8
	v_dot4c_i32_i8_e32 v152, v157, v15
	v_dot4c_i32_i8_e32 v152, v154, v16
	v_mad_u64_u32 v[106:107], s[2:3], v107, v146, v[106:107]
	v_cvt_f32_i32_e32 v146, v106
	v_ashrrev_i32_e32 v106, 24, v108
	v_dot4c_i32_i8_e32 v152, v155, v17
	v_bfe_i32 v107, v108, 16, 8
	v_mul_lo_u32 v106, v162, v106
	v_add_u32_e32 v148, 0x4100, v135
	v_mad_u64_u32 v[106:107], s[2:3], v152, v107, v[106:107]
	v_cvt_f32_i32_e32 v106, v106
	v_fma_f32 v107, v2, v146, 0
	v_add_u32_e32 v146, 0x4108, v135
	v_add_u32_e32 v150, 0x4138, v135
	v_fmac_f32_e32 v107, v3, v106
	v_add_u32_e32 v106, 0x4110, v135
	v_add_u32_e32 v152, 0x4130, v135
	ds_read_b32 v104, v143 offset:384
	ds_read_b32 v108, v141 offset:256
	v_fmac_f32_e32 v144, v164, v107
	ds_read2_b32 v[106:107], v106 offset1:1
	ds_read2_b32 v[146:147], v146 offset1:1
	;; [unrolled: 1-line block ×5, first 2 shown]
	v_mov_b32_e32 v162, 0
	v_fmac_f32_e32 v160, v3, v161
	v_fmac_f32_e32 v23, v25, v160
	v_add_u32_e32 v154, 0x4128, v135
	s_waitcnt lgkmcnt(0)
	v_dot4c_i32_i8_e32 v162, v152, v18
	v_dot4c_i32_i8_e32 v162, v153, v19
	;; [unrolled: 1-line block ×4, first 2 shown]
	v_mov_b32_e32 v151, 0
	v_dot4c_i32_i8_e32 v151, v106, v10
	v_dot4c_i32_i8_e32 v151, v107, v11
	v_mov_b32_e32 v107, 0
	v_dot4c_i32_i8_e32 v107, v148, v6
	v_dot4c_i32_i8_e32 v151, v158, v12
	;; [unrolled: 1-line block ×3, first 2 shown]
	v_add_u32_e32 v156, 0x4120, v135
	v_add_u32_e32 v160, 0x6198, v135
	v_dot4c_i32_i8_e32 v151, v159, v13
	v_bfe_i32 v106, v102, 8, 8
	v_dot4c_i32_i8_e32 v107, v146, v8
	ds_read2_b32 v[154:155], v154 offset1:1
	ds_read2_b32 v[156:157], v156 offset1:1
	;; [unrolled: 1-line block ×3, first 2 shown]
	v_mul_lo_u32 v106, v151, v106
	v_dot4c_i32_i8_e32 v107, v147, v9
	v_bfe_i32 v146, v102, 0, 8
	v_mov_b32_e32 v150, 0
	s_waitcnt lgkmcnt(1)
	v_dot4c_i32_i8_e32 v150, v156, v14
	v_mad_u64_u32 v[106:107], s[2:3], v107, v146, v[106:107]
	v_cvt_f32_i32_e32 v106, v106
	v_dot4c_i32_i8_e32 v150, v157, v15
	v_dot4c_i32_i8_e32 v150, v154, v16
	;; [unrolled: 1-line block ×3, first 2 shown]
	v_fma_f32 v165, v2, v106, 0
	v_bfe_i32 v106, v102, 16, 8
	v_ashrrev_i32_e32 v102, 24, v102
	v_mul_lo_u32 v102, v162, v102
	v_mad_u64_u32 v[106:107], s[2:3], v150, v106, v[102:103]
	v_add_u32_e32 v146, 0x6190, v135
	v_add_u32_e32 v148, 0x6188, v135
	;; [unrolled: 1-line block ×5, first 2 shown]
	v_cvt_f32_i32_e32 v102, v106
	ds_read2_b32 v[106:107], v142 offset1:1
	ds_read2_b32 v[146:147], v146 offset1:1
	;; [unrolled: 1-line block ×6, first 2 shown]
	v_add_u32_e32 v156, 0x61a8, v135
	v_add_u32_e32 v158, 0x61a0, v135
	;; [unrolled: 1-line block ×3, first 2 shown]
	ds_read2_b32 v[156:157], v156 offset1:1
	ds_read2_b32 v[158:159], v158 offset1:1
	ds_read2_b32 v[162:163], v162 offset1:1
	v_mov_b32_e32 v166, 0
	s_waitcnt lgkmcnt(3)
	v_dot4c_i32_i8_e32 v166, v154, v18
	v_mov_b32_e32 v18, 0
	s_waitcnt lgkmcnt(1)
	v_dot4c_i32_i8_e32 v18, v158, v14
	v_mov_b32_e32 v14, 0
	v_dot4c_i32_i8_e32 v14, v146, v10
	v_dot4c_i32_i8_e32 v14, v147, v11
	v_mov_b32_e32 v11, 0
	v_dot4c_i32_i8_e32 v11, v150, v6
	v_dot4c_i32_i8_e32 v14, v160, v12
	;; [unrolled: 1-line block ×4, first 2 shown]
	v_bfe_i32 v10, v106, 8, 8
	v_dot4c_i32_i8_e32 v11, v148, v8
	v_dot4c_i32_i8_e32 v166, v155, v19
	v_mul_lo_u32 v10, v14, v10
	v_dot4c_i32_i8_e32 v11, v149, v9
	v_bfe_i32 v6, v106, 0, 8
	v_dot4c_i32_i8_e32 v166, v152, v20
	v_dot4c_i32_i8_e32 v18, v159, v15
	v_mad_u64_u32 v[6:7], s[2:3], v11, v6, v[10:11]
	v_dot4c_i32_i8_e32 v166, v153, v21
	v_dot4c_i32_i8_e32 v18, v156, v16
	v_cvt_f32_i32_e32 v8, v6
	v_ashrrev_i32_e32 v6, 24, v106
	v_dot4c_i32_i8_e32 v18, v157, v17
	v_bfe_i32 v7, v106, 16, 8
	v_mul_lo_u32 v6, v166, v6
	v_fma_f32 v2, v2, v8, 0
	v_mad_u64_u32 v[6:7], s[2:3], v18, v7, v[6:7]
	v_cvt_f32_i32_e32 v6, v6
	v_fmac_f32_e32 v165, v3, v102
	v_mov_b32_e32 v102, 0
	v_mov_b32_e32 v106, 0
	v_fmac_f32_e32 v2, v3, v6
	v_fmac_f32_e32 v53, v104, v2
	ds_read_b128 v[10:13], v132 offset:80
	ds_read_b128 v[6:9], v132 offset:64
	;; [unrolled: 1-line block ×4, first 2 shown]
	ds_read2_b32 v[2:3], v135 offset0:30 offset1:31
	ds_read2_b32 v[146:147], v135 offset0:28 offset1:29
	;; [unrolled: 1-line block ×6, first 2 shown]
	s_waitcnt lgkmcnt(4)
	v_dot4c_i32_i8_e32 v102, v146, v18
	v_dot4c_i32_i8_e32 v102, v147, v19
	v_dot4c_i32_i8_e32 v102, v2, v20
	v_mov_b32_e32 v2, 0
	s_waitcnt lgkmcnt(2)
	v_dot4c_i32_i8_e32 v2, v150, v10
	v_dot4c_i32_i8_e32 v2, v151, v11
	;; [unrolled: 1-line block ×5, first 2 shown]
	v_bfe_i32 v3, v105, 8, 8
	ds_read2_b32 v[156:157], v135 offset0:26 offset1:27
	ds_read2_b32 v[158:159], v135 offset0:24 offset1:25
	v_mul_lo_u32 v2, v2, v3
	v_mov_b32_e32 v3, 0
	s_waitcnt lgkmcnt(2)
	v_dot4c_i32_i8_e32 v3, v154, v6
	v_dot4c_i32_i8_e32 v3, v155, v7
	;; [unrolled: 1-line block ×4, first 2 shown]
	v_bfe_i32 v146, v105, 0, 8
	s_waitcnt lgkmcnt(0)
	v_dot4c_i32_i8_e32 v106, v158, v14
	v_dot4c_i32_i8_e32 v106, v159, v15
	v_mad_u64_u32 v[2:3], s[2:3], v3, v146, v[2:3]
	v_cvt_f32_i32_e32 v2, v2
	v_dot4c_i32_i8_e32 v106, v156, v16
	v_dot4c_i32_i8_e32 v106, v157, v17
	v_bfe_i32 v3, v105, 16, 8
	v_fma_f32 v160, v4, v2, 0
	v_ashrrev_i32_e32 v2, 24, v105
	v_mul_lo_u32 v2, v102, v2
	v_mad_u64_u32 v[2:3], s[2:3], v106, v3, v[2:3]
	v_cvt_f32_i32_e32 v102, v2
	v_add_u32_e32 v2, 0x20d0, v135
	v_add_u32_e32 v105, 0x20c8, v135
	v_add_u32_e32 v150, 0x20f8, v135
	v_add_u32_e32 v106, 0x20c0, v135
	ds_read2_b32 v[2:3], v2 offset1:1
	ds_read2_b32 v[146:147], v105 offset1:1
	;; [unrolled: 1-line block ×4, first 2 shown]
	v_add_u32_e32 v105, 0x20f0, v135
	ds_read2_b32 v[152:153], v105 offset1:1
	v_mov_b32_e32 v106, 0
	v_add_u32_e32 v154, 0x20e8, v135
	v_add_u32_e32 v156, 0x20e0, v135
	;; [unrolled: 1-line block ×3, first 2 shown]
	s_waitcnt lgkmcnt(0)
	v_dot4c_i32_i8_e32 v106, v152, v18
	v_dot4c_i32_i8_e32 v106, v153, v19
	;; [unrolled: 1-line block ×3, first 2 shown]
	v_mov_b32_e32 v150, 0
	v_dot4c_i32_i8_e32 v150, v2, v10
	ds_read2_b32 v[154:155], v154 offset1:1
	ds_read2_b32 v[156:157], v156 offset1:1
	;; [unrolled: 1-line block ×3, first 2 shown]
	v_dot4c_i32_i8_e32 v150, v3, v11
	v_mov_b32_e32 v3, 0
	v_dot4c_i32_i8_e32 v3, v148, v6
	v_dot4c_i32_i8_e32 v150, v162, v12
	v_dot4c_i32_i8_e32 v3, v149, v7
	v_mov_b32_e32 v105, 0
	v_dot4c_i32_i8_e32 v150, v163, v13
	v_bfe_i32 v2, v109, 8, 8
	v_dot4c_i32_i8_e32 v3, v146, v8
	s_waitcnt lgkmcnt(1)
	v_dot4c_i32_i8_e32 v105, v156, v14
	v_mul_lo_u32 v2, v150, v2
	v_dot4c_i32_i8_e32 v3, v147, v9
	v_bfe_i32 v146, v109, 0, 8
	v_dot4c_i32_i8_e32 v105, v157, v15
	v_dot4c_i32_i8_e32 v106, v151, v21
	v_mad_u64_u32 v[2:3], s[2:3], v3, v146, v[2:3]
	v_dot4c_i32_i8_e32 v105, v154, v16
	v_cvt_f32_i32_e32 v146, v2
	v_ashrrev_i32_e32 v2, 24, v109
	v_dot4c_i32_i8_e32 v105, v155, v17
	v_bfe_i32 v3, v109, 16, 8
	v_mul_lo_u32 v2, v106, v2
	v_fmac_f32_e32 v160, v5, v102
	v_mad_u64_u32 v[2:3], s[2:3], v105, v3, v[2:3]
	v_cvt_f32_i32_e32 v2, v2
	v_fma_f32 v3, v4, v146, 0
	v_fmac_f32_e32 v23, v25, v160
	v_add_u32_e32 v25, 0x4148, v135
	v_fmac_f32_e32 v3, v5, v2
	v_add_u32_e32 v2, 0x4150, v135
	v_add_u32_e32 v105, 0x4178, v135
	v_fmac_f32_e32 v144, v164, v3
	v_add_u32_e32 v102, 0x4140, v135
	ds_read2_b32 v[2:3], v2 offset1:1
	ds_read2_b32 v[146:147], v25 offset1:1
	;; [unrolled: 1-line block ×4, first 2 shown]
	v_add_u32_e32 v25, 0x4170, v135
	v_add_u32_e32 v105, 0x4168, v135
	;; [unrolled: 1-line block ×3, first 2 shown]
	ds_read2_b32 v[152:153], v25 offset1:1
	v_add_u32_e32 v25, 0x61d8, v135
	ds_read2_b32 v[154:155], v105 offset1:1
	ds_read2_b32 v[156:157], v106 offset1:1
	;; [unrolled: 1-line block ×3, first 2 shown]
	v_mov_b32_e32 v105, 0
	s_waitcnt lgkmcnt(7)
	v_dot4c_i32_i8_e32 v105, v2, v10
	v_dot4c_i32_i8_e32 v105, v3, v11
	v_mov_b32_e32 v3, 0
	s_waitcnt lgkmcnt(5)
	v_dot4c_i32_i8_e32 v3, v148, v6
	v_dot4c_i32_i8_e32 v105, v158, v12
	v_dot4c_i32_i8_e32 v3, v149, v7
	v_dot4c_i32_i8_e32 v105, v159, v13
	v_bfe_i32 v2, v103, 8, 8
	v_dot4c_i32_i8_e32 v3, v146, v8
	v_dot4c_i32_i8_e32 v3, v147, v9
	v_mul_lo_u32 v2, v105, v2
	v_bfe_i32 v105, v103, 0, 8
	v_mov_b32_e32 v102, 0
	v_mad_u64_u32 v[2:3], s[2:3], v3, v105, v[2:3]
	v_cvt_f32_i32_e32 v2, v2
	s_waitcnt lgkmcnt(3)
	v_dot4c_i32_i8_e32 v102, v152, v18
	v_mov_b32_e32 v25, 0
	v_dot4c_i32_i8_e32 v102, v153, v19
	s_waitcnt lgkmcnt(1)
	v_dot4c_i32_i8_e32 v25, v156, v14
	v_dot4c_i32_i8_e32 v102, v150, v20
	v_dot4c_i32_i8_e32 v25, v157, v15
	v_dot4c_i32_i8_e32 v102, v151, v21
	v_dot4c_i32_i8_e32 v25, v154, v16
	v_fma_f32 v105, v4, v2, 0
	v_ashrrev_i32_e32 v2, 24, v103
	v_dot4c_i32_i8_e32 v25, v155, v17
	v_bfe_i32 v3, v103, 16, 8
	v_mul_lo_u32 v2, v102, v2
	v_add_u32_e32 v102, 0x61c8, v135
	v_mad_u64_u32 v[2:3], s[2:3], v25, v3, v[2:3]
	v_cvt_f32_i32_e32 v25, v2
	v_add_u32_e32 v2, 0x61d0, v135
	v_add_u32_e32 v106, 0x61c0, v135
	;; [unrolled: 1-line block ×3, first 2 shown]
	ds_read2_b32 v[2:3], v2 offset1:1
	ds_read2_b32 v[102:103], v102 offset1:1
	;; [unrolled: 1-line block ×4, first 2 shown]
	v_add_u32_e32 v106, 0x61f0, v135
	ds_read2_b32 v[150:151], v106 offset1:1
	v_add_u32_e32 v106, 0x61e8, v135
	v_add_u32_e32 v154, 0x61e0, v135
	ds_read2_b32 v[152:153], v106 offset1:1
	ds_read2_b32 v[154:155], v154 offset1:1
	v_mov_b32_e32 v109, 0
	s_waitcnt lgkmcnt(2)
	v_dot4c_i32_i8_e32 v109, v150, v18
	v_mov_b32_e32 v18, 0
	v_dot4c_i32_i8_e32 v109, v151, v19
	s_waitcnt lgkmcnt(0)
	v_dot4c_i32_i8_e32 v18, v154, v14
	v_mov_b32_e32 v14, 0
	v_dot4c_i32_i8_e32 v14, v2, v10
	v_dot4c_i32_i8_e32 v14, v3, v11
	v_mov_b32_e32 v3, 0
	v_dot4c_i32_i8_e32 v3, v146, v6
	v_dot4c_i32_i8_e32 v14, v160, v12
	;; [unrolled: 1-line block ×4, first 2 shown]
	v_bfe_i32 v2, v107, 8, 8
	v_dot4c_i32_i8_e32 v3, v102, v8
	v_dot4c_i32_i8_e32 v3, v103, v9
	v_mul_lo_u32 v2, v14, v2
	v_bfe_i32 v6, v107, 0, 8
	v_dot4c_i32_i8_e32 v109, v148, v20
	v_dot4c_i32_i8_e32 v18, v155, v15
	v_mad_u64_u32 v[2:3], s[2:3], v3, v6, v[2:3]
	v_dot4c_i32_i8_e32 v109, v149, v21
	v_dot4c_i32_i8_e32 v18, v152, v16
	v_cvt_f32_i32_e32 v6, v2
	v_ashrrev_i32_e32 v2, 24, v107
	v_dot4c_i32_i8_e32 v18, v153, v17
	v_bfe_i32 v3, v107, 16, 8
	v_mul_lo_u32 v2, v109, v2
	v_fmac_f32_e32 v22, v108, v165
	v_mad_u64_u32 v[2:3], s[2:3], v18, v3, v[2:3]
	v_cvt_f32_i32_e32 v2, v2
	v_fma_f32 v3, v4, v6, 0
	v_fmac_f32_e32 v105, v5, v25
	v_fmac_f32_e32 v22, v108, v105
	;; [unrolled: 1-line block ×4, first 2 shown]
	s_cmp_ge_i32 s14, s15
	s_barrier
	s_cbranch_scc1 .LBB235_5
; %bb.13:                               ;   in Loop: Header=BB235_6 Depth=1
	v_cmp_gt_i32_e64 s[2:3], s5, v137
	s_and_b64 s[20:21], s[0:1], s[2:3]
	s_and_saveexec_b64 s[2:3], s[20:21]
	s_cbranch_execz .LBB235_15
; %bb.14:                               ;   in Loop: Header=BB235_6 Depth=1
	v_add_u32_e32 v2, v28, v137
	v_mad_i64_i32 v[2:3], s[20:21], v2, 36, v[26:27]
	global_load_dword v2, v[2:3], off offset:4
	s_waitcnt vmcnt(0)
	ds_write_b32 v129, v2
.LBB235_15:                             ;   in Loop: Header=BB235_6 Depth=1
	s_or_b64 exec, exec, s[2:3]
	s_and_saveexec_b64 s[20:21], vcc
	s_cbranch_execz .LBB235_4
; %bb.16:                               ;   in Loop: Header=BB235_6 Depth=1
	v_add_u32_e32 v2, 4, v24
	v_cmp_gt_i32_e64 s[2:3], s5, v2
	s_and_b64 s[2:3], s[0:1], s[2:3]
	s_and_b64 exec, exec, s[2:3]
	s_cbranch_execz .LBB235_4
; %bb.17:                               ;   in Loop: Header=BB235_6 Depth=1
	v_ashrrev_i32_e32 v25, 31, v24
	v_lshl_add_u64 v[2:3], v[28:29], 0, v[24:25]
	v_mad_u64_u32 v[4:5], s[2:3], v2, 36, s[18:19]
	v_mad_i32_i24 v5, v3, 36, v5
	global_load_dword v2, v[4:5], off
	s_waitcnt vmcnt(0)
	v_cvt_f32_f16_e32 v2, v2
	ds_write_b32 v130, v2
	s_branch .LBB235_4
.LBB235_18:
	v_mov_b32_e32 v22, 0
	v_mov_b32_e32 v144, 0
	;; [unrolled: 1-line block ×3, first 2 shown]
.LBB235_19:
	s_mul_i32 s0, s7, s4
	s_waitcnt vmcnt(0)
	v_cmp_gt_i32_e32 vcc, s0, v1
	s_and_saveexec_b64 s[0:1], vcc
	s_cbranch_execz .LBB235_28
; %bb.20:
	v_and_b32_e32 v0, 0x3ff, v0
	v_add_u32_e32 v2, s22, v0
	v_mul_lo_u32 v0, v1, s6
	v_cmp_gt_u32_e32 vcc, s6, v2
	s_and_saveexec_b64 s[0:1], vcc
	s_cbranch_execz .LBB235_22
; %bb.21:
	v_bfe_u32 v1, v23, 16, 1
	s_movk_i32 s2, 0x7fff
	v_add3_u32 v1, v23, v1, s2
	v_lshrrev_b32_e32 v1, 16, v1
	v_mov_b32_e32 v3, 0x7fc0
	v_cmp_o_f32_e32 vcc, v23, v23
	v_add_u32_e32 v4, v0, v2
	v_mov_b32_e32 v5, 0
	v_cndmask_b32_e32 v1, v3, v1, vcc
	v_lshl_add_u64 v[4:5], v[4:5], 1, s[12:13]
	global_store_short v[4:5], v1, off
.LBB235_22:
	s_or_b64 exec, exec, s[0:1]
	v_add_u32_e32 v1, 32, v2
	v_cmp_gt_u32_e32 vcc, s6, v1
	s_and_saveexec_b64 s[0:1], vcc
	s_cbranch_execz .LBB235_24
; %bb.23:
	v_bfe_u32 v3, v144, 16, 1
	s_movk_i32 s2, 0x7fff
	v_add3_u32 v3, v144, v3, s2
	v_lshrrev_b32_e32 v3, 16, v3
	v_mov_b32_e32 v4, 0x7fc0
	v_cmp_o_f32_e32 vcc, v144, v144
	v_mov_b32_e32 v5, 0
	s_nop 0
	v_cndmask_b32_e32 v3, v4, v3, vcc
	v_add_u32_e32 v4, v0, v1
	v_lshl_add_u64 v[4:5], v[4:5], 1, s[12:13]
	global_store_short v[4:5], v3, off
.LBB235_24:
	s_or_b64 exec, exec, s[0:1]
	v_add_u32_e32 v1, 64, v2
	v_cmp_gt_u32_e32 vcc, s6, v1
	s_and_saveexec_b64 s[0:1], vcc
	s_cbranch_execz .LBB235_26
; %bb.25:
	v_bfe_u32 v3, v22, 16, 1
	s_movk_i32 s2, 0x7fff
	v_add3_u32 v3, v22, v3, s2
	v_lshrrev_b32_e32 v3, 16, v3
	v_mov_b32_e32 v4, 0x7fc0
	v_cmp_o_f32_e32 vcc, v22, v22
	v_mov_b32_e32 v5, 0
	s_nop 0
	v_cndmask_b32_e32 v3, v4, v3, vcc
	v_add_u32_e32 v4, v0, v1
	v_lshl_add_u64 v[4:5], v[4:5], 1, s[12:13]
	global_store_short v[4:5], v3, off
.LBB235_26:
	s_or_b64 exec, exec, s[0:1]
	v_add_u32_e32 v1, 0x60, v2
	v_cmp_gt_u32_e32 vcc, s6, v1
	s_and_b64 exec, exec, vcc
	s_cbranch_execz .LBB235_28
; %bb.27:
	v_bfe_u32 v2, v53, 16, 1
	s_movk_i32 s0, 0x7fff
	v_add3_u32 v2, v53, v2, s0
	v_lshrrev_b32_e32 v2, 16, v2
	v_mov_b32_e32 v3, 0x7fc0
	v_cmp_o_f32_e32 vcc, v53, v53
	v_add_u32_e32 v0, v0, v1
	v_mov_b32_e32 v1, 0
	v_cndmask_b32_e32 v2, v3, v2, vcc
	v_lshl_add_u64 v[0:1], v[0:1], 1, s[12:13]
	global_store_short v[0:1], v2, off
.LBB235_28:
	s_endpgm
	.section	.rodata,"a",@progbits
	.p2align	6, 0x0
	.amdhsa_kernel _ZL8moe_q6_KIN3c108BFloat16ELb0EEvPKvS3_PT_PKiS7_S7_iiiiiii
		.amdhsa_group_segment_fixed_size 37072
		.amdhsa_private_segment_fixed_size 0
		.amdhsa_kernarg_size 76
		.amdhsa_user_sgpr_count 2
		.amdhsa_user_sgpr_dispatch_ptr 0
		.amdhsa_user_sgpr_queue_ptr 0
		.amdhsa_user_sgpr_kernarg_segment_ptr 1
		.amdhsa_user_sgpr_dispatch_id 0
		.amdhsa_user_sgpr_kernarg_preload_length 0
		.amdhsa_user_sgpr_kernarg_preload_offset 0
		.amdhsa_user_sgpr_private_segment_size 0
		.amdhsa_uses_dynamic_stack 0
		.amdhsa_enable_private_segment 0
		.amdhsa_system_sgpr_workgroup_id_x 1
		.amdhsa_system_sgpr_workgroup_id_y 1
		.amdhsa_system_sgpr_workgroup_id_z 0
		.amdhsa_system_sgpr_workgroup_info 0
		.amdhsa_system_vgpr_workitem_id 1
		.amdhsa_next_free_vgpr 167
		.amdhsa_next_free_sgpr 29
		.amdhsa_accum_offset 168
		.amdhsa_reserve_vcc 1
		.amdhsa_float_round_mode_32 0
		.amdhsa_float_round_mode_16_64 0
		.amdhsa_float_denorm_mode_32 3
		.amdhsa_float_denorm_mode_16_64 3
		.amdhsa_dx10_clamp 1
		.amdhsa_ieee_mode 1
		.amdhsa_fp16_overflow 0
		.amdhsa_tg_split 0
		.amdhsa_exception_fp_ieee_invalid_op 0
		.amdhsa_exception_fp_denorm_src 0
		.amdhsa_exception_fp_ieee_div_zero 0
		.amdhsa_exception_fp_ieee_overflow 0
		.amdhsa_exception_fp_ieee_underflow 0
		.amdhsa_exception_fp_ieee_inexact 0
		.amdhsa_exception_int_div_zero 0
	.end_amdhsa_kernel
	.section	.text._ZL8moe_q6_KIN3c108BFloat16ELb0EEvPKvS3_PT_PKiS7_S7_iiiiiii,"axG",@progbits,_ZL8moe_q6_KIN3c108BFloat16ELb0EEvPKvS3_PT_PKiS7_S7_iiiiiii,comdat
.Lfunc_end235:
	.size	_ZL8moe_q6_KIN3c108BFloat16ELb0EEvPKvS3_PT_PKiS7_S7_iiiiiii, .Lfunc_end235-_ZL8moe_q6_KIN3c108BFloat16ELb0EEvPKvS3_PT_PKiS7_S7_iiiiiii
                                        ; -- End function
	.section	.AMDGPU.csdata,"",@progbits
; Kernel info:
; codeLenInByte = 12188
; NumSgprs: 35
; NumVgprs: 167
; NumAgprs: 0
; TotalNumVgprs: 167
; ScratchSize: 0
; MemoryBound: 0
; FloatMode: 240
; IeeeMode: 1
; LDSByteSize: 37072 bytes/workgroup (compile time only)
; SGPRBlocks: 4
; VGPRBlocks: 20
; NumSGPRsForWavesPerEU: 35
; NumVGPRsForWavesPerEU: 167
; AccumOffset: 168
; Occupancy: 1
; WaveLimiterHint : 1
; COMPUTE_PGM_RSRC2:SCRATCH_EN: 0
; COMPUTE_PGM_RSRC2:USER_SGPR: 2
; COMPUTE_PGM_RSRC2:TRAP_HANDLER: 0
; COMPUTE_PGM_RSRC2:TGID_X_EN: 1
; COMPUTE_PGM_RSRC2:TGID_Y_EN: 1
; COMPUTE_PGM_RSRC2:TGID_Z_EN: 0
; COMPUTE_PGM_RSRC2:TIDIG_COMP_CNT: 1
; COMPUTE_PGM_RSRC3_GFX90A:ACCUM_OFFSET: 41
; COMPUTE_PGM_RSRC3_GFX90A:TG_SPLIT: 0
	.section	.text._ZL8moe_q6_KIN3c108BFloat16ELb1EEvPKvS3_PT_PKiS7_S7_iiiiiii,"axG",@progbits,_ZL8moe_q6_KIN3c108BFloat16ELb1EEvPKvS3_PT_PKiS7_S7_iiiiiii,comdat
	.globl	_ZL8moe_q6_KIN3c108BFloat16ELb1EEvPKvS3_PT_PKiS7_S7_iiiiiii ; -- Begin function _ZL8moe_q6_KIN3c108BFloat16ELb1EEvPKvS3_PT_PKiS7_S7_iiiiiii
	.p2align	8
	.type	_ZL8moe_q6_KIN3c108BFloat16ELb1EEvPKvS3_PT_PKiS7_S7_iiiiiii,@function
_ZL8moe_q6_KIN3c108BFloat16ELb1EEvPKvS3_PT_PKiS7_S7_iiiiiii: ; @_ZL8moe_q6_KIN3c108BFloat16ELb1EEvPKvS3_PT_PKiS7_S7_iiiiiii
; %bb.0:
	s_load_dwordx4 s[4:7], s[0:1], 0x18
	s_mov_b32 s8, s3
	s_mov_b32 s9, 0
	s_lshl_b64 s[10:11], s[8:9], 2
	s_waitcnt lgkmcnt(0)
	s_add_u32 s6, s6, s10
	s_addc_u32 s7, s7, s11
	s_load_dword s3, s[6:7], 0x0
	s_waitcnt lgkmcnt(0)
	s_cmpk_gt_u32 s3, 0xff
	s_cbranch_scc1 .LBB236_28
; %bb.1:
	s_load_dwordx2 s[6:7], s[0:1], 0x28
	s_waitcnt lgkmcnt(0)
	s_load_dword s7, s[6:7], 0x0
	s_lshl_b32 s6, s8, 3
	s_waitcnt lgkmcnt(0)
	s_cmp_gt_u32 s6, s7
	s_cbranch_scc1 .LBB236_28
; %bb.2:
	v_bfe_u32 v2, v0, 10, 10
	v_mov_b32_e32 v4, s4
	v_mov_b32_e32 v5, s5
	v_add_u32_e32 v26, s6, v2
	v_mov_b32_e32 v27, 0
	v_lshl_add_u64 v[4:5], v[26:27], 2, v[4:5]
	global_load_dword v1, v[4:5], off
	s_load_dwordx8 s[4:11], s[0:1], 0x30
	s_load_dwordx2 s[16:17], s[0:1], 0x10
	s_waitcnt lgkmcnt(0)
	s_lshl_b32 s11, s2, 7
	s_cmpk_lt_i32 s5, 0x100
	s_cbranch_scc1 .LBB236_18
; %bb.3:
	v_and_b32_e32 v24, 0x3ff, v0
	s_load_dwordx4 s[12:15], s[0:1], 0x0
	s_ashr_i32 s0, s5, 31
	v_and_b32_e32 v3, 31, v24
	s_lshr_b32 s0, s0, 24
	v_add_u16_e32 v4, -16, v3
	v_cmp_gt_u32_e32 vcc, 16, v3
	s_add_i32 s0, s5, s0
	s_ashr_i32 s24, s0, 8
	v_cndmask_b32_e32 v4, v4, v3, vcc
	s_ashr_i32 s0, s8, 31
	v_cmp_lt_u16_e32 vcc, 7, v4
	s_lshr_b32 s0, s0, 27
	s_add_i32 s0, s8, s0
	v_cndmask_b32_e64 v4, 0, 1, vcc
	v_cmp_lt_u32_e32 vcc, 15, v3
	v_lshlrev_b32_e32 v140, 1, v4
	s_ashr_i32 s8, s0, 5
	v_cndmask_b32_e64 v4, 0, 1, vcc
	s_not_b32 s0, s11
	v_lshlrev_b32_e32 v10, 5, v4
	s_add_i32 s2, s0, s6
	v_and_or_b32 v4, v24, 15, v10
	s_mul_i32 s18, s3, s4
	v_min_i32_e32 v5, s2, v2
	v_lshlrev_b32_e32 v4, 2, v4
	s_movk_i32 s3, 0x104
	v_mul_lo_u32 v11, v5, s24
	v_mad_u64_u32 v[26:27], s[0:1], v5, s3, v[4:5]
	v_add_u32_e32 v5, 8, v2
	v_min_i32_e32 v5, s2, v5
	v_mul_lo_u32 v12, v5, s24
	v_mad_u64_u32 v[28:29], s[0:1], v5, s3, v[4:5]
	v_add_u32_e32 v5, 16, v2
	v_min_i32_e32 v5, s2, v5
	;; [unrolled: 4-line block ×14, first 2 shown]
	v_mul_lo_u32 v94, v5, s24
	v_mad_u64_u32 v[54:55], s[0:1], v5, s3, v[4:5]
	v_add_u32_e32 v5, 0x78, v2
	v_lshlrev_b32_e32 v6, 5, v2
	v_min_i32_e32 v5, s2, v5
	v_add_u32_e32 v33, v6, v24
	v_mad_u64_u32 v[56:57], s[0:1], v5, s3, v[4:5]
	v_and_b32_e32 v4, 0x7f, v33
	v_min_i32_e32 v4, s2, v4
	v_mul_lo_u32 v82, v5, s24
	v_ashrrev_i32_e32 v5, 31, v4
	v_lshrrev_b32_e32 v5, 27, v5
	v_add_u32_e32 v5, v4, v5
	v_ashrrev_i32_e32 v5, 5, v5
	v_mul_lo_u32 v76, v4, s24
	v_lshlrev_b32_e32 v5, 2, v5
	v_lshlrev_b32_e32 v4, 2, v4
	s_mov_b32 s0, 0x8e40
	v_add3_u32 v29, v5, v4, s0
	v_lshrrev_b32_e32 v4, 2, v24
	v_lshl_add_u32 v7, v2, 3, v4
	v_and_b32_e32 v7, 0x7f, v7
	v_min_i32_e32 v31, s2, v7
	v_ashrrev_i32_e32 v35, 31, v31
	v_xor_b32_e32 v7, 64, v7
	v_lshrrev_b32_e32 v35, 29, v35
	v_min_i32_e32 v7, s2, v7
	v_mul_lo_u32 v70, v31, s24
	v_add_u32_e32 v35, v31, v35
	v_lshlrev_b32_e32 v133, 4, v31
	v_ashrrev_i32_e32 v31, 31, v7
	v_lshrrev_b32_e32 v31, 29, v31
	v_mov_b32_e32 v23, 0
	v_add_u32_e32 v31, v7, v31
	v_lshlrev_b32_e32 v60, 2, v24
	v_lshlrev_b32_e32 v22, 2, v3
	v_and_b32_e32 v4, 3, v24
	v_ashrrev_i32_e32 v35, 3, v35
	v_mul_lo_u32 v64, v7, s24
	v_ashrrev_i32_e32 v31, 3, v31
	v_lshlrev_b32_e32 v135, 4, v7
	v_or_b32_e32 v3, v6, v3
	v_and_b32_e32 v6, 28, v60
	v_mov_b32_e32 v7, v23
	v_lshlrev_b32_e32 v4, 2, v4
	v_lshlrev_b32_e32 v35, 2, v35
	s_mov_b32 s1, 0x8200
	v_lshlrev_b32_e32 v31, 2, v31
	s_waitcnt lgkmcnt(0)
	v_lshl_add_u64 v[58:59], s[14:15], 0, v[6:7]
	v_mov_b32_e32 v6, 0x8a40
	s_movk_i32 s2, 0xffe4
	v_add3_u32 v132, v35, v4, s1
	v_add3_u32 v134, v31, v4, s1
	v_lshl_add_u32 v31, v3, 2, v6
	v_mad_i32_i24 v3, v2, s2, v33
	v_mov_b32_e32 v7, 0x9050
	v_lshrrev_b32_e32 v35, 3, v24
	v_lshrrev_b32_e32 v8, 5, v24
	v_lshl_add_u32 v33, v3, 2, v7
	v_lshl_add_u32 v37, v2, 7, v6
	v_lshlrev_b32_e32 v39, 4, v2
	v_lshlrev_b32_e32 v2, 2, v35
	;; [unrolled: 1-line block ×3, first 2 shown]
	v_add3_u32 v41, v3, v2, s1
	v_lshlrev_b32_e32 v2, 2, v8
	v_add3_u32 v45, v2, v60, s0
	v_add_u32_e32 v2, 32, v24
	v_lshrrev_b32_e32 v47, 3, v2
	v_lshlrev_b32_e32 v3, 2, v47
	v_lshlrev_b32_e32 v2, 4, v2
	v_add3_u32 v49, v3, v2, s1
	v_and_b32_e32 v2, 60, v47
	v_add3_u32 v51, v60, v2, s0
	v_add_u32_e32 v2, 64, v24
	v_lshrrev_b32_e32 v3, 3, v2
	v_lshlrev_b32_e32 v6, 2, v3
	v_lshlrev_b32_e32 v2, 4, v2
	s_abs_i32 s2, s10
	v_add3_u32 v53, v6, v2, s1
	v_and_b32_e32 v2, 60, v3
	v_cvt_f32_u32_e32 v7, s2
	v_add3_u32 v55, v60, v2, s0
	v_add_u32_e32 v2, 0x60, v24
	v_lshrrev_b32_e32 v3, 3, v2
	v_lshlrev_b32_e32 v6, 2, v3
	v_lshlrev_b32_e32 v2, 4, v2
	v_add3_u32 v57, v6, v2, s1
	v_and_b32_e32 v2, 60, v3
	v_rcp_iflag_f32_e32 v3, v7
	v_add3_u32 v141, v60, v2, s0
	s_sub_i32 s0, 0, s2
	s_waitcnt vmcnt(0)
	v_sub_u32_e32 v6, 0, v1
	v_mul_f32_e32 v3, 0x4f7ffffe, v3
	v_cvt_u32_f32_e32 v3, v3
	v_max_i32_e32 v6, v1, v6
	v_xor_b32_e32 v2, s10, v1
	v_ashrrev_i32_e32 v2, 31, v2
	v_mul_lo_u32 v7, s0, v3
	v_mul_hi_u32 v7, v3, v7
	v_add_u32_e32 v3, v3, v7
	v_mul_hi_u32 v3, v6, v3
	v_mul_lo_u32 v7, v3, s2
	v_sub_u32_e32 v6, v6, v7
	v_add_u32_e32 v7, 1, v3
	v_cmp_le_u32_e64 s[0:1], s2, v6
	s_mul_i32 s4, s24, s11
	s_mul_hi_i32 s23, s4, 0xd2
	v_cndmask_b32_e64 v3, v3, v7, s[0:1]
	v_subrev_u32_e32 v7, s2, v6
	v_cndmask_b32_e64 v6, v6, v7, s[0:1]
	v_add_u32_e32 v7, 1, v3
	v_cmp_le_u32_e64 s[0:1], s2, v6
	s_mul_i32 s22, s4, 0xd2
	s_movk_i32 s6, 0xd2
	v_cndmask_b32_e64 v3, v3, v7, s[0:1]
	v_xor_b32_e32 v3, v3, v2
	v_sub_u32_e32 v2, v3, v2
	v_cmp_gt_i32_e64 s[0:1], s7, v2
	v_mul_lo_u32 v60, v2, s8
	v_mov_b64_e32 v[2:3], s[22:23]
	v_and_b32_e32 v9, 7, v24
	v_mad_u64_u32 v[2:3], s[2:3], v8, s6, v[2:3]
	v_mad_i64_i32 v[6:7], s[2:3], v11, s6, v[2:3]
	v_lshl_or_b32 v8, v9, 2, v10
	v_mov_b32_e32 v9, v23
	v_lshl_add_u64 v[10:11], v[6:7], 0, v[8:9]
	v_lshl_add_u64 v[10:11], v[10:11], 0, s[12:13]
	s_mov_b64 s[2:3], 0x80
	v_lshl_add_u64 v[62:63], v[10:11], 0, s[2:3]
	v_mad_i64_i32 v[10:11], s[26:27], v64, s6, 0
	v_mov_b32_e32 v71, 0xd2
	v_mov_b32_e32 v5, v23
	v_mad_i64_i32 v[10:11], s[26:27], s4, v71, v[10:11]
	v_lshl_add_u64 v[6:7], v[6:7], 0, v[22:23]
	v_lshl_add_u64 v[10:11], v[10:11], 0, v[4:5]
	;; [unrolled: 1-line block ×4, first 2 shown]
	s_mov_b64 s[26:27], 0xc0
	v_lshl_add_u64 v[66:67], v[6:7], 0, 2
	v_mad_i64_i32 v[6:7], s[28:29], v12, s6, v[2:3]
	v_lshl_add_u64 v[64:65], v[10:11], 0, s[26:27]
	v_lshl_add_u64 v[10:11], v[6:7], 0, v[8:9]
	;; [unrolled: 1-line block ×4, first 2 shown]
	v_mad_i64_i32 v[10:11], s[28:29], v70, s6, 0
	v_mad_i64_i32 v[10:11], s[28:29], s4, v71, v[10:11]
	v_lshl_add_u64 v[4:5], v[10:11], 0, v[4:5]
	v_lshl_add_u64 v[4:5], v[4:5], 0, s[12:13]
	s_ashr_i32 s19, s18, 31
	v_lshl_add_u64 v[70:71], v[4:5], 0, s[26:27]
	v_lshl_add_u64 v[4:5], v[6:7], 0, v[22:23]
	s_add_u32 s20, s14, 0x90
	v_lshl_add_u64 v[4:5], v[4:5], 0, s[12:13]
	s_addc_u32 s21, s15, 0
	v_lshl_add_u64 v[72:73], v[4:5], 0, 2
	v_mad_i64_i32 v[4:5], s[26:27], v13, s6, v[2:3]
	v_lshl_add_u64 v[6:7], v[4:5], 0, v[8:9]
	s_add_u32 s22, s12, s22
	v_lshl_add_u64 v[6:7], v[6:7], 0, s[12:13]
	s_addc_u32 s23, s13, s23
	v_lshl_add_u64 v[74:75], v[6:7], 0, s[2:3]
	v_mov_b64_e32 v[6:7], s[22:23]
	v_mad_i64_i32 v[6:7], s[22:23], v76, s6, v[6:7]
	v_lshl_add_u64 v[4:5], v[4:5], 0, v[22:23]
	s_mov_b64 s[22:23], 0xd0
	v_lshl_add_u64 v[4:5], v[4:5], 0, s[12:13]
	v_lshl_add_u64 v[76:77], v[6:7], 0, s[22:23]
	;; [unrolled: 1-line block ×3, first 2 shown]
	v_mad_i64_i32 v[4:5], s[22:23], v14, s6, v[2:3]
	v_lshl_add_u64 v[6:7], v[4:5], 0, v[8:9]
	v_lshl_add_u64 v[6:7], v[6:7], 0, s[12:13]
	;; [unrolled: 1-line block ×4, first 2 shown]
	v_mad_i64_i32 v[6:7], s[22:23], v82, s6, v[2:3]
	v_lshl_add_u64 v[4:5], v[4:5], 0, s[12:13]
	v_lshl_add_u64 v[10:11], v[6:7], 0, v[22:23]
	v_lshl_add_u64 v[84:85], v[4:5], 0, 2
	v_mad_i64_i32 v[4:5], s[22:23], v15, s6, v[2:3]
	v_lshl_add_u64 v[82:83], s[12:13], 0, v[10:11]
	v_lshl_add_u64 v[10:11], v[4:5], 0, v[8:9]
	v_lshl_add_u64 v[4:5], v[4:5], 0, v[22:23]
	v_lshl_add_u64 v[6:7], v[6:7], 0, v[8:9]
	v_lshl_add_u64 v[4:5], v[4:5], 0, s[12:13]
	v_lshl_add_u64 v[6:7], v[6:7], 0, s[12:13]
	v_lshl_add_u64 v[90:91], v[4:5], 0, 2
	v_mad_i64_i32 v[4:5], s[22:23], v16, s6, v[2:3]
	v_lshl_add_u64 v[88:89], v[6:7], 0, s[2:3]
	v_lshl_add_u64 v[6:7], v[4:5], 0, v[8:9]
	v_lshl_add_u64 v[6:7], v[6:7], 0, s[12:13]
	v_lshl_add_u64 v[4:5], v[4:5], 0, v[22:23]
	v_lshl_add_u64 v[10:11], v[10:11], 0, s[12:13]
	v_lshl_add_u64 v[92:93], v[6:7], 0, s[2:3]
	v_mad_i64_i32 v[6:7], s[22:23], v94, s6, v[2:3]
	v_lshl_add_u64 v[4:5], v[4:5], 0, s[12:13]
	v_lshl_add_u64 v[86:87], v[10:11], 0, s[2:3]
	v_lshl_add_u64 v[10:11], v[6:7], 0, v[22:23]
	v_lshl_add_u64 v[96:97], v[4:5], 0, 2
	v_mad_i64_i32 v[4:5], s[22:23], v17, s6, v[2:3]
	v_lshl_add_u64 v[94:95], s[12:13], 0, v[10:11]
	v_lshl_add_u64 v[10:11], v[4:5], 0, v[8:9]
	v_lshl_add_u64 v[4:5], v[4:5], 0, v[22:23]
	v_lshl_add_u64 v[6:7], v[6:7], 0, v[8:9]
	v_lshl_add_u64 v[4:5], v[4:5], 0, s[12:13]
	v_lshl_add_u64 v[6:7], v[6:7], 0, s[12:13]
	v_lshl_add_u64 v[102:103], v[4:5], 0, 2
	v_mad_i64_i32 v[4:5], s[22:23], v18, s6, v[2:3]
	v_lshl_add_u64 v[100:101], v[6:7], 0, s[2:3]
	v_lshl_add_u64 v[6:7], v[4:5], 0, v[8:9]
	v_lshl_add_u64 v[6:7], v[6:7], 0, s[12:13]
	v_lshl_add_u64 v[4:5], v[4:5], 0, v[22:23]
	v_lshl_add_u64 v[10:11], v[10:11], 0, s[12:13]
	v_lshl_add_u64 v[104:105], v[6:7], 0, s[2:3]
	v_mad_i64_i32 v[6:7], s[22:23], v106, s6, v[2:3]
	v_lshl_add_u64 v[4:5], v[4:5], 0, s[12:13]
	;; [unrolled: 20-line block ×3, first 2 shown]
	v_lshl_add_u64 v[110:111], v[10:11], 0, s[2:3]
	v_lshl_add_u64 v[10:11], v[6:7], 0, v[22:23]
	;; [unrolled: 1-line block ×3, first 2 shown]
	v_mad_i64_i32 v[4:5], s[22:23], v21, s6, v[2:3]
	v_lshl_add_u64 v[118:119], s[12:13], 0, v[10:11]
	v_lshl_add_u64 v[10:11], v[4:5], 0, v[8:9]
	;; [unrolled: 1-line block ×4, first 2 shown]
	v_mad_i64_i32 v[2:3], s[22:23], v25, s6, v[2:3]
	v_lshl_add_u64 v[6:7], v[6:7], 0, v[8:9]
	v_lshl_add_u64 v[126:127], v[4:5], 0, 2
	;; [unrolled: 1-line block ×8, first 2 shown]
	v_cmp_gt_u32_e32 vcc, 4, v24
	v_mul_u32_u24_e32 v43, 0x104, v24
	v_ashrrev_i32_e32 v61, 31, v60
	v_lshl_add_u64 v[122:123], v[10:11], 0, s[2:3]
	v_lshl_add_u64 v[124:125], v[6:7], 0, s[2:3]
	;; [unrolled: 1-line block ×4, first 2 shown]
	s_movk_i32 s4, 0x80
	s_mov_b32 s6, 0xf0f0f0f
	s_mov_b32 s25, 0x30303030
	s_movk_i32 s26, 0x3f00
	s_movk_i32 s27, 0xe000
	v_add_u32_e32 v143, v132, v133
	v_add_u32_e32 v144, v134, v135
	s_mov_b64 s[12:13], 0xd2
	v_mov_b32_e32 v145, 8
	v_mov_b32_e32 v142, v23
	;; [unrolled: 1-line block ×4, first 2 shown]
	s_branch .LBB236_6
.LBB236_4:                              ;   in Loop: Header=BB236_6 Depth=1
	s_or_b64 exec, exec, s[22:23]
	s_waitcnt lgkmcnt(0)
	s_barrier
	ds_read_b128 v[6:9], v37
	ds_read_b128 v[10:13], v37 offset:16
	ds_read_b128 v[14:17], v37 offset:32
	;; [unrolled: 1-line block ×3, first 2 shown]
	ds_read_b32 v25, v45
	ds_read2_b32 v[132:133], v43 offset0:38 offset1:39
	ds_read2_b32 v[136:137], v43 offset0:36 offset1:37
	;; [unrolled: 1-line block ×6, first 2 shown]
	ds_read_b128 v[2:5], v39 offset:36944
	ds_read2_b32 v[134:135], v41 offset0:2 offset1:3
	v_mov_b32_e32 v156, 0
	ds_read2_b32 v[152:153], v43 offset0:42 offset1:43
	ds_read2_b32 v[154:155], v43 offset0:40 offset1:41
	s_waitcnt lgkmcnt(4)
	v_dot4c_i32_i8_e32 v156, v150, v18
	v_dot4c_i32_i8_e32 v156, v151, v19
	;; [unrolled: 1-line block ×4, first 2 shown]
	v_mov_b32_e32 v149, 0
	v_dot4c_i32_i8_e32 v149, v136, v10
	v_dot4c_i32_i8_e32 v149, v137, v11
	;; [unrolled: 1-line block ×4, first 2 shown]
	v_mov_b32_e32 v133, 0
	v_dot4c_i32_i8_e32 v133, v146, v6
	v_dot4c_i32_i8_e32 v133, v147, v7
	s_waitcnt lgkmcnt(2)
	v_bfe_i32 v132, v134, 8, 8
	v_dot4c_i32_i8_e32 v133, v138, v8
	v_mul_lo_u32 v132, v149, v132
	v_dot4c_i32_i8_e32 v133, v139, v9
	v_bfe_i32 v136, v134, 0, 8
	v_mov_b32_e32 v148, 0
	s_waitcnt lgkmcnt(0)
	v_dot4c_i32_i8_e32 v148, v154, v14
	v_mad_u64_u32 v[132:133], s[2:3], v133, v136, v[132:133]
	v_cvt_f32_i32_e32 v132, v132
	v_dot4c_i32_i8_e32 v148, v155, v15
	v_dot4c_i32_i8_e32 v148, v152, v16
	;; [unrolled: 1-line block ×3, first 2 shown]
	v_fma_f32 v160, v2, v132, 0
	v_ashrrev_i32_e32 v132, 24, v134
	v_bfe_i32 v133, v134, 16, 8
	v_mul_lo_u32 v132, v156, v132
	v_mad_u64_u32 v[132:133], s[2:3], v148, v133, v[132:133]
	v_add_u32_e32 v136, 0x2110, v43
	v_add_u32_e32 v146, 0x2108, v43
	;; [unrolled: 1-line block ×5, first 2 shown]
	v_cvt_f32_i32_e32 v161, v132
	ds_read2_b32 v[132:133], v53 offset0:2 offset1:3
	ds_read_b32 v164, v51 offset:128
	ds_read2_b32 v[138:139], v49 offset0:2 offset1:3
	ds_read2_b32 v[136:137], v136 offset1:1
	ds_read2_b32 v[146:147], v146 offset1:1
	;; [unrolled: 1-line block ×5, first 2 shown]
	v_mov_b32_e32 v162, 0
	v_add_u32_e32 v134, 0x2118, v43
	v_add_u32_e32 v154, 0x2128, v43
	;; [unrolled: 1-line block ×3, first 2 shown]
	s_waitcnt lgkmcnt(0)
	v_dot4c_i32_i8_e32 v162, v152, v18
	v_dot4c_i32_i8_e32 v162, v153, v19
	v_add_u32_e32 v158, 0x4198, v43
	v_dot4c_i32_i8_e32 v162, v150, v20
	ds_read2_b32 v[154:155], v154 offset1:1
	ds_read2_b32 v[156:157], v156 offset1:1
	;; [unrolled: 1-line block ×3, first 2 shown]
	v_dot4c_i32_i8_e32 v162, v151, v21
	ds_read2_b32 v[150:151], v134 offset1:1
	v_mov_b32_e32 v153, 0
	v_dot4c_i32_i8_e32 v153, v136, v10
	v_dot4c_i32_i8_e32 v153, v137, v11
	v_mov_b32_e32 v137, 0
	v_dot4c_i32_i8_e32 v137, v148, v6
	s_waitcnt lgkmcnt(0)
	v_dot4c_i32_i8_e32 v153, v150, v12
	v_dot4c_i32_i8_e32 v137, v149, v7
	v_mov_b32_e32 v152, 0
	v_dot4c_i32_i8_e32 v153, v151, v13
	v_bfe_i32 v136, v138, 8, 8
	v_dot4c_i32_i8_e32 v137, v146, v8
	v_dot4c_i32_i8_e32 v152, v156, v14
	v_mul_lo_u32 v136, v153, v136
	v_dot4c_i32_i8_e32 v137, v147, v9
	v_bfe_i32 v146, v138, 0, 8
	v_dot4c_i32_i8_e32 v152, v157, v15
	v_dot4c_i32_i8_e32 v152, v154, v16
	v_mad_u64_u32 v[136:137], s[2:3], v137, v146, v[136:137]
	v_cvt_f32_i32_e32 v146, v136
	v_ashrrev_i32_e32 v136, 24, v138
	v_dot4c_i32_i8_e32 v152, v155, v17
	v_bfe_i32 v137, v138, 16, 8
	v_mul_lo_u32 v136, v162, v136
	v_add_u32_e32 v148, 0x4180, v43
	v_mad_u64_u32 v[136:137], s[2:3], v152, v137, v[136:137]
	v_cvt_f32_i32_e32 v136, v136
	v_fma_f32 v137, v2, v146, 0
	v_add_u32_e32 v146, 0x4188, v43
	v_add_u32_e32 v150, 0x41b8, v43
	v_fmac_f32_e32 v137, v3, v136
	v_add_u32_e32 v136, 0x4190, v43
	v_add_u32_e32 v152, 0x41b0, v43
	ds_read_b32 v134, v141 offset:384
	ds_read_b32 v138, v55 offset:256
	v_fmac_f32_e32 v142, v164, v137
	ds_read2_b32 v[136:137], v136 offset1:1
	ds_read2_b32 v[146:147], v146 offset1:1
	;; [unrolled: 1-line block ×5, first 2 shown]
	v_mov_b32_e32 v162, 0
	v_fmac_f32_e32 v160, v3, v161
	v_fmac_f32_e32 v23, v25, v160
	v_add_u32_e32 v154, 0x41a8, v43
	s_waitcnt lgkmcnt(0)
	v_dot4c_i32_i8_e32 v162, v152, v18
	v_dot4c_i32_i8_e32 v162, v153, v19
	;; [unrolled: 1-line block ×4, first 2 shown]
	v_mov_b32_e32 v151, 0
	v_dot4c_i32_i8_e32 v151, v136, v10
	v_dot4c_i32_i8_e32 v151, v137, v11
	v_mov_b32_e32 v137, 0
	v_dot4c_i32_i8_e32 v137, v148, v6
	v_dot4c_i32_i8_e32 v151, v158, v12
	;; [unrolled: 1-line block ×3, first 2 shown]
	v_add_u32_e32 v156, 0x41a0, v43
	v_add_u32_e32 v160, 0x6218, v43
	v_dot4c_i32_i8_e32 v151, v159, v13
	v_bfe_i32 v136, v132, 8, 8
	v_dot4c_i32_i8_e32 v137, v146, v8
	ds_read2_b32 v[154:155], v154 offset1:1
	ds_read2_b32 v[156:157], v156 offset1:1
	;; [unrolled: 1-line block ×3, first 2 shown]
	v_mul_lo_u32 v136, v151, v136
	v_dot4c_i32_i8_e32 v137, v147, v9
	v_bfe_i32 v146, v132, 0, 8
	v_mov_b32_e32 v150, 0
	s_waitcnt lgkmcnt(1)
	v_dot4c_i32_i8_e32 v150, v156, v14
	v_mad_u64_u32 v[136:137], s[2:3], v137, v146, v[136:137]
	v_cvt_f32_i32_e32 v136, v136
	v_dot4c_i32_i8_e32 v150, v157, v15
	v_dot4c_i32_i8_e32 v150, v154, v16
	;; [unrolled: 1-line block ×3, first 2 shown]
	v_fma_f32 v165, v2, v136, 0
	v_bfe_i32 v136, v132, 16, 8
	v_ashrrev_i32_e32 v132, 24, v132
	v_mul_lo_u32 v132, v162, v132
	v_mad_u64_u32 v[136:137], s[2:3], v150, v136, v[132:133]
	v_add_u32_e32 v146, 0x6210, v43
	v_add_u32_e32 v148, 0x6208, v43
	;; [unrolled: 1-line block ×5, first 2 shown]
	v_cvt_f32_i32_e32 v132, v136
	ds_read2_b32 v[136:137], v57 offset0:2 offset1:3
	ds_read2_b32 v[146:147], v146 offset1:1
	ds_read2_b32 v[148:149], v148 offset1:1
	;; [unrolled: 1-line block ×5, first 2 shown]
	v_add_u32_e32 v156, 0x6228, v43
	v_add_u32_e32 v158, 0x6220, v43
	;; [unrolled: 1-line block ×3, first 2 shown]
	ds_read2_b32 v[156:157], v156 offset1:1
	ds_read2_b32 v[158:159], v158 offset1:1
	;; [unrolled: 1-line block ×3, first 2 shown]
	v_mov_b32_e32 v166, 0
	s_waitcnt lgkmcnt(3)
	v_dot4c_i32_i8_e32 v166, v154, v18
	v_mov_b32_e32 v18, 0
	s_waitcnt lgkmcnt(1)
	v_dot4c_i32_i8_e32 v18, v158, v14
	v_mov_b32_e32 v14, 0
	v_dot4c_i32_i8_e32 v14, v146, v10
	v_dot4c_i32_i8_e32 v14, v147, v11
	v_mov_b32_e32 v11, 0
	v_dot4c_i32_i8_e32 v11, v150, v6
	v_dot4c_i32_i8_e32 v14, v160, v12
	;; [unrolled: 1-line block ×4, first 2 shown]
	v_bfe_i32 v10, v136, 8, 8
	v_dot4c_i32_i8_e32 v11, v148, v8
	v_dot4c_i32_i8_e32 v166, v155, v19
	v_mul_lo_u32 v10, v14, v10
	v_dot4c_i32_i8_e32 v11, v149, v9
	v_bfe_i32 v6, v136, 0, 8
	v_dot4c_i32_i8_e32 v166, v152, v20
	v_dot4c_i32_i8_e32 v18, v159, v15
	v_mad_u64_u32 v[6:7], s[2:3], v11, v6, v[10:11]
	v_dot4c_i32_i8_e32 v166, v153, v21
	v_dot4c_i32_i8_e32 v18, v156, v16
	v_cvt_f32_i32_e32 v8, v6
	v_ashrrev_i32_e32 v6, 24, v136
	v_dot4c_i32_i8_e32 v18, v157, v17
	v_bfe_i32 v7, v136, 16, 8
	v_mul_lo_u32 v6, v166, v6
	v_fma_f32 v2, v2, v8, 0
	v_mad_u64_u32 v[6:7], s[2:3], v18, v7, v[6:7]
	v_cvt_f32_i32_e32 v6, v6
	v_fmac_f32_e32 v165, v3, v132
	v_mov_b32_e32 v132, 0
	v_mov_b32_e32 v136, 0
	v_fmac_f32_e32 v2, v3, v6
	v_fmac_f32_e32 v27, v134, v2
	ds_read_b128 v[10:13], v37 offset:80
	ds_read_b128 v[6:9], v37 offset:64
	;; [unrolled: 1-line block ×4, first 2 shown]
	ds_read2_b32 v[2:3], v43 offset0:62 offset1:63
	ds_read2_b32 v[146:147], v43 offset0:60 offset1:61
	;; [unrolled: 1-line block ×6, first 2 shown]
	s_waitcnt lgkmcnt(4)
	v_dot4c_i32_i8_e32 v132, v146, v18
	v_dot4c_i32_i8_e32 v132, v147, v19
	;; [unrolled: 1-line block ×3, first 2 shown]
	v_mov_b32_e32 v2, 0
	s_waitcnt lgkmcnt(2)
	v_dot4c_i32_i8_e32 v2, v150, v10
	v_dot4c_i32_i8_e32 v2, v151, v11
	v_dot4c_i32_i8_e32 v2, v148, v12
	v_dot4c_i32_i8_e32 v132, v3, v21
	v_dot4c_i32_i8_e32 v2, v149, v13
	v_bfe_i32 v3, v135, 8, 8
	ds_read2_b32 v[156:157], v43 offset0:58 offset1:59
	ds_read2_b32 v[158:159], v43 offset0:56 offset1:57
	v_mul_lo_u32 v2, v2, v3
	v_mov_b32_e32 v3, 0
	s_waitcnt lgkmcnt(2)
	v_dot4c_i32_i8_e32 v3, v154, v6
	v_dot4c_i32_i8_e32 v3, v155, v7
	;; [unrolled: 1-line block ×4, first 2 shown]
	v_bfe_i32 v146, v135, 0, 8
	s_waitcnt lgkmcnt(0)
	v_dot4c_i32_i8_e32 v136, v158, v14
	v_dot4c_i32_i8_e32 v136, v159, v15
	v_mad_u64_u32 v[2:3], s[2:3], v3, v146, v[2:3]
	v_cvt_f32_i32_e32 v2, v2
	v_dot4c_i32_i8_e32 v136, v156, v16
	v_dot4c_i32_i8_e32 v136, v157, v17
	v_bfe_i32 v3, v135, 16, 8
	v_fma_f32 v160, v4, v2, 0
	v_ashrrev_i32_e32 v2, 24, v135
	v_mul_lo_u32 v2, v132, v2
	v_mad_u64_u32 v[2:3], s[2:3], v136, v3, v[2:3]
	v_cvt_f32_i32_e32 v132, v2
	v_add_u32_e32 v2, 0x2150, v43
	v_add_u32_e32 v135, 0x2148, v43
	;; [unrolled: 1-line block ×4, first 2 shown]
	ds_read2_b32 v[2:3], v2 offset1:1
	ds_read2_b32 v[146:147], v135 offset1:1
	ds_read2_b32 v[148:149], v136 offset1:1
	ds_read2_b32 v[150:151], v150 offset1:1
	v_add_u32_e32 v135, 0x2170, v43
	ds_read2_b32 v[152:153], v135 offset1:1
	v_mov_b32_e32 v136, 0
	v_add_u32_e32 v154, 0x2168, v43
	v_add_u32_e32 v156, 0x2160, v43
	;; [unrolled: 1-line block ×3, first 2 shown]
	s_waitcnt lgkmcnt(0)
	v_dot4c_i32_i8_e32 v136, v152, v18
	v_dot4c_i32_i8_e32 v136, v153, v19
	;; [unrolled: 1-line block ×3, first 2 shown]
	v_mov_b32_e32 v150, 0
	v_dot4c_i32_i8_e32 v150, v2, v10
	ds_read2_b32 v[154:155], v154 offset1:1
	ds_read2_b32 v[156:157], v156 offset1:1
	;; [unrolled: 1-line block ×3, first 2 shown]
	v_dot4c_i32_i8_e32 v150, v3, v11
	v_mov_b32_e32 v3, 0
	v_dot4c_i32_i8_e32 v3, v148, v6
	v_dot4c_i32_i8_e32 v150, v162, v12
	;; [unrolled: 1-line block ×3, first 2 shown]
	v_mov_b32_e32 v135, 0
	v_dot4c_i32_i8_e32 v150, v163, v13
	v_bfe_i32 v2, v139, 8, 8
	v_dot4c_i32_i8_e32 v3, v146, v8
	s_waitcnt lgkmcnt(1)
	v_dot4c_i32_i8_e32 v135, v156, v14
	v_mul_lo_u32 v2, v150, v2
	v_dot4c_i32_i8_e32 v3, v147, v9
	v_bfe_i32 v146, v139, 0, 8
	v_dot4c_i32_i8_e32 v135, v157, v15
	v_dot4c_i32_i8_e32 v136, v151, v21
	v_mad_u64_u32 v[2:3], s[2:3], v3, v146, v[2:3]
	v_dot4c_i32_i8_e32 v135, v154, v16
	v_cvt_f32_i32_e32 v146, v2
	v_ashrrev_i32_e32 v2, 24, v139
	v_dot4c_i32_i8_e32 v135, v155, v17
	v_bfe_i32 v3, v139, 16, 8
	v_mul_lo_u32 v2, v136, v2
	v_fmac_f32_e32 v160, v5, v132
	v_mad_u64_u32 v[2:3], s[2:3], v135, v3, v[2:3]
	v_cvt_f32_i32_e32 v2, v2
	v_fma_f32 v3, v4, v146, 0
	v_fmac_f32_e32 v23, v25, v160
	v_add_u32_e32 v25, 0x41c8, v43
	v_fmac_f32_e32 v3, v5, v2
	v_add_u32_e32 v2, 0x41d0, v43
	v_add_u32_e32 v135, 0x41f8, v43
	v_fmac_f32_e32 v142, v164, v3
	v_add_u32_e32 v132, 0x41c0, v43
	ds_read2_b32 v[2:3], v2 offset1:1
	ds_read2_b32 v[146:147], v25 offset1:1
	ds_read2_b32 v[148:149], v132 offset1:1
	ds_read2_b32 v[150:151], v135 offset1:1
	v_add_u32_e32 v25, 0x41f0, v43
	v_add_u32_e32 v135, 0x41e8, v43
	;; [unrolled: 1-line block ×3, first 2 shown]
	ds_read2_b32 v[152:153], v25 offset1:1
	v_add_u32_e32 v25, 0x6258, v43
	ds_read2_b32 v[154:155], v135 offset1:1
	ds_read2_b32 v[156:157], v136 offset1:1
	;; [unrolled: 1-line block ×3, first 2 shown]
	v_mov_b32_e32 v135, 0
	s_waitcnt lgkmcnt(7)
	v_dot4c_i32_i8_e32 v135, v2, v10
	v_dot4c_i32_i8_e32 v135, v3, v11
	v_mov_b32_e32 v3, 0
	s_waitcnt lgkmcnt(5)
	v_dot4c_i32_i8_e32 v3, v148, v6
	v_dot4c_i32_i8_e32 v135, v158, v12
	;; [unrolled: 1-line block ×4, first 2 shown]
	v_bfe_i32 v2, v133, 8, 8
	v_dot4c_i32_i8_e32 v3, v146, v8
	v_dot4c_i32_i8_e32 v3, v147, v9
	v_mul_lo_u32 v2, v135, v2
	v_bfe_i32 v135, v133, 0, 8
	v_mov_b32_e32 v132, 0
	v_mad_u64_u32 v[2:3], s[2:3], v3, v135, v[2:3]
	v_cvt_f32_i32_e32 v2, v2
	s_waitcnt lgkmcnt(3)
	v_dot4c_i32_i8_e32 v132, v152, v18
	v_mov_b32_e32 v25, 0
	v_dot4c_i32_i8_e32 v132, v153, v19
	s_waitcnt lgkmcnt(1)
	v_dot4c_i32_i8_e32 v25, v156, v14
	v_dot4c_i32_i8_e32 v132, v150, v20
	;; [unrolled: 1-line block ×5, first 2 shown]
	v_fma_f32 v135, v4, v2, 0
	v_ashrrev_i32_e32 v2, 24, v133
	v_dot4c_i32_i8_e32 v25, v155, v17
	v_bfe_i32 v3, v133, 16, 8
	v_mul_lo_u32 v2, v132, v2
	v_add_u32_e32 v132, 0x6248, v43
	v_mad_u64_u32 v[2:3], s[2:3], v25, v3, v[2:3]
	v_cvt_f32_i32_e32 v25, v2
	v_add_u32_e32 v2, 0x6250, v43
	v_add_u32_e32 v136, 0x6240, v43
	;; [unrolled: 1-line block ×3, first 2 shown]
	ds_read2_b32 v[2:3], v2 offset1:1
	ds_read2_b32 v[132:133], v132 offset1:1
	ds_read2_b32 v[146:147], v136 offset1:1
	ds_read2_b32 v[148:149], v139 offset1:1
	v_add_u32_e32 v136, 0x6270, v43
	ds_read2_b32 v[150:151], v136 offset1:1
	v_add_u32_e32 v136, 0x6268, v43
	v_add_u32_e32 v154, 0x6260, v43
	ds_read2_b32 v[152:153], v136 offset1:1
	ds_read2_b32 v[154:155], v154 offset1:1
	v_mov_b32_e32 v139, 0
	s_waitcnt lgkmcnt(2)
	v_dot4c_i32_i8_e32 v139, v150, v18
	v_mov_b32_e32 v18, 0
	v_dot4c_i32_i8_e32 v139, v151, v19
	s_waitcnt lgkmcnt(0)
	v_dot4c_i32_i8_e32 v18, v154, v14
	v_mov_b32_e32 v14, 0
	v_dot4c_i32_i8_e32 v14, v2, v10
	v_dot4c_i32_i8_e32 v14, v3, v11
	v_mov_b32_e32 v3, 0
	v_dot4c_i32_i8_e32 v3, v146, v6
	v_dot4c_i32_i8_e32 v14, v160, v12
	;; [unrolled: 1-line block ×4, first 2 shown]
	v_bfe_i32 v2, v137, 8, 8
	v_dot4c_i32_i8_e32 v3, v132, v8
	v_dot4c_i32_i8_e32 v3, v133, v9
	v_mul_lo_u32 v2, v14, v2
	v_bfe_i32 v6, v137, 0, 8
	v_dot4c_i32_i8_e32 v139, v148, v20
	v_dot4c_i32_i8_e32 v18, v155, v15
	v_mad_u64_u32 v[2:3], s[2:3], v3, v6, v[2:3]
	v_dot4c_i32_i8_e32 v139, v149, v21
	v_dot4c_i32_i8_e32 v18, v152, v16
	v_cvt_f32_i32_e32 v6, v2
	v_ashrrev_i32_e32 v2, 24, v137
	v_dot4c_i32_i8_e32 v18, v153, v17
	v_bfe_i32 v3, v137, 16, 8
	v_mul_lo_u32 v2, v139, v2
	v_fmac_f32_e32 v22, v138, v165
	v_mad_u64_u32 v[2:3], s[2:3], v18, v3, v[2:3]
	v_cvt_f32_i32_e32 v2, v2
	v_fma_f32 v3, v4, v6, 0
	v_fmac_f32_e32 v135, v5, v25
	v_fmac_f32_e32 v22, v138, v135
	;; [unrolled: 1-line block ×4, first 2 shown]
	s_barrier
.LBB236_5:                              ;   in Loop: Header=BB236_6 Depth=1
	s_add_i32 s24, s24, -1
	s_addk_i32 s4, 0x100
	v_add_u32_e32 v24, 8, v24
	v_add_u32_e32 v47, 8, v47
	;; [unrolled: 1-line block ×3, first 2 shown]
	v_lshl_add_u64 v[62:63], v[62:63], 0, s[12:13]
	v_lshl_add_u64 v[64:65], v[64:65], 0, s[12:13]
	;; [unrolled: 1-line block ×34, first 2 shown]
	s_cmp_eq_u32 s24, 0
	v_lshl_add_u64 v[130:131], v[130:131], 0, s[12:13]
	s_cbranch_scc1 .LBB236_19
.LBB236_6:                              ; =>This Inner Loop Header: Depth=1
	v_lshl_add_u64 v[2:3], v[66:67], 0, s[18:19]
	global_load_dword v10, v[2:3], off offset:-2
	v_lshl_add_u64 v[2:3], v[62:63], 0, s[18:19]
	global_load_dword v11, v[2:3], off
	v_lshl_add_u64 v[2:3], v[72:73], 0, s[18:19]
	global_load_dword v12, v[2:3], off offset:-2
	v_lshl_add_u64 v[2:3], v[68:69], 0, s[18:19]
	global_load_dword v13, v[2:3], off
	;; [unrolled: 4-line block ×3, first 2 shown]
	v_lshl_add_u64 v[2:3], v[84:85], 0, s[18:19]
	v_lshl_add_u64 v[4:5], v[80:81], 0, s[18:19]
	;; [unrolled: 1-line block ×4, first 2 shown]
	global_load_dword v16, v[2:3], off offset:-2
	s_nop 0
	global_load_dword v4, v[4:5], off
	s_nop 0
	global_load_dword v5, v[6:7], off offset:-2
	s_nop 0
	global_load_dword v6, v[8:9], off
	s_add_i32 s2, s4, 0xffffff80
	s_cmp_lt_i32 s2, s5
	s_waitcnt vmcnt(9)
	v_and_b32_e32 v2, 0xf0f0f0f, v10
	v_lshrrev_b32_e32 v3, 4, v10
	s_waitcnt vmcnt(8)
	v_ashrrev_i32_e32 v7, v140, v11
	s_waitcnt vmcnt(7)
	v_and_b32_e32 v8, 0xf0f0f0f, v12
	v_lshrrev_b32_e32 v9, 4, v12
	s_waitcnt vmcnt(6)
	v_ashrrev_i32_e32 v10, v140, v13
	;; [unrolled: 5-line block ×3, first 2 shown]
	v_lshlrev_b32_e32 v14, 4, v7
	v_and_b32_e32 v7, 0x30303030, v7
	v_lshlrev_b32_e32 v15, 4, v10
	v_and_b32_e32 v10, 0x30303030, v10
	v_lshlrev_b32_e32 v17, 4, v13
	v_and_or_b32 v2, v14, s25, v2
	v_and_or_b32 v3, v3, s6, v7
	;; [unrolled: 1-line block ×5, first 2 shown]
	v_and_b32_e32 v10, 0x3f00, v2
	v_lshlrev_b16_e32 v11, 8, v2
	v_and_b32_sdwa v14, v2, s26 dst_sel:DWORD dst_unused:UNUSED_PAD src0_sel:WORD_1 src1_sel:DWORD
	v_lshlrev_b16_sdwa v2, v145, v2 dst_sel:DWORD dst_unused:UNUSED_PAD src0_sel:DWORD src1_sel:WORD_1
	v_and_b32_e32 v15, 0x3f00, v3
	v_lshlrev_b16_e32 v17, 8, v3
	v_and_b32_sdwa v18, v3, s26 dst_sel:DWORD dst_unused:UNUSED_PAD src0_sel:WORD_1 src1_sel:DWORD
	v_lshlrev_b16_sdwa v3, v145, v3 dst_sel:DWORD dst_unused:UNUSED_PAD src0_sel:DWORD src1_sel:WORD_1
	v_and_b32_e32 v19, 0x3f00, v7
	v_lshlrev_b16_e32 v20, 8, v7
	v_and_b32_sdwa v21, v7, s26 dst_sel:DWORD dst_unused:UNUSED_PAD src0_sel:WORD_1 src1_sel:DWORD
	v_lshlrev_b16_sdwa v7, v145, v7 dst_sel:DWORD dst_unused:UNUSED_PAD src0_sel:DWORD src1_sel:WORD_1
	v_and_b32_e32 v25, 0x3f00, v8
	v_lshlrev_b16_e32 v132, 8, v8
	v_and_b32_sdwa v133, v8, s26 dst_sel:DWORD dst_unused:UNUSED_PAD src0_sel:WORD_1 src1_sel:DWORD
	v_lshlrev_b16_sdwa v8, v145, v8 dst_sel:DWORD dst_unused:UNUSED_PAD src0_sel:DWORD src1_sel:WORD_1
	v_add_u16_e32 v11, 0xe000, v11
	v_add_u16_e32 v2, 0xe000, v2
	;; [unrolled: 1-line block ×8, first 2 shown]
	v_or_b32_sdwa v10, v10, v11 dst_sel:DWORD dst_unused:UNUSED_PAD src0_sel:DWORD src1_sel:BYTE_1
	v_or_b32_sdwa v2, v14, v2 dst_sel:DWORD dst_unused:UNUSED_PAD src0_sel:DWORD src1_sel:BYTE_1
	;; [unrolled: 1-line block ×8, first 2 shown]
	v_add_u16_e32 v10, 0xe000, v10
	v_add_u16_sdwa v2, v2, s27 dst_sel:WORD_1 dst_unused:UNUSED_PAD src0_sel:DWORD src1_sel:DWORD
	v_add_u16_e32 v11, 0xe000, v11
	v_add_u16_sdwa v3, v3, s27 dst_sel:WORD_1 dst_unused:UNUSED_PAD src0_sel:DWORD src1_sel:DWORD
	;; [unrolled: 2-line block ×4, first 2 shown]
	v_or_b32_e32 v2, v10, v2
	v_or_b32_e32 v3, v11, v3
	;; [unrolled: 1-line block ×3, first 2 shown]
	v_lshlrev_b16_e32 v135, 8, v9
	v_or_b32_e32 v8, v15, v8
	ds_write2_b32 v26, v2, v3 offset1:16
	ds_write2_b32 v28, v7, v8 offset1:16
	v_lshlrev_b16_sdwa v7, v145, v9 dst_sel:DWORD dst_unused:UNUSED_PAD src0_sel:DWORD src1_sel:WORD_1
	v_and_b32_e32 v134, 0x3f00, v9
	v_add_u16_e32 v135, 0xe000, v135
	v_and_b32_sdwa v3, v9, s26 dst_sel:DWORD dst_unused:UNUSED_PAD src0_sel:WORD_1 src1_sel:DWORD
	v_add_u16_e32 v7, 0xe000, v7
	v_and_b32_e32 v13, 0x30303030, v13
	v_or_b32_sdwa v17, v134, v135 dst_sel:DWORD dst_unused:UNUSED_PAD src0_sel:DWORD src1_sel:BYTE_1
	v_or_b32_sdwa v3, v3, v7 dst_sel:DWORD dst_unused:UNUSED_PAD src0_sel:DWORD src1_sel:BYTE_1
	v_add_u16_e32 v2, 0xe000, v17
	v_add_u16_sdwa v3, v3, s27 dst_sel:WORD_1 dst_unused:UNUSED_PAD src0_sel:DWORD src1_sel:DWORD
	v_and_or_b32 v8, v12, s6, v13
	v_or_b32_e32 v7, v2, v3
	v_lshlrev_b16_e32 v2, 8, v8
	v_add_u16_e32 v10, 0xe000, v2
	v_lshl_add_u64 v[2:3], v[96:97], 0, s[18:19]
	global_load_dword v11, v[2:3], off offset:-2
	v_lshl_add_u64 v[2:3], v[92:93], 0, s[18:19]
	global_load_dword v12, v[2:3], off
	v_and_b32_e32 v9, 0x3f00, v8
	v_and_b32_sdwa v3, v8, s26 dst_sel:DWORD dst_unused:UNUSED_PAD src0_sel:WORD_1 src1_sel:DWORD
	v_lshlrev_b16_sdwa v8, v145, v8 dst_sel:DWORD dst_unused:UNUSED_PAD src0_sel:DWORD src1_sel:WORD_1
	v_add_u16_e32 v8, 0xe000, v8
	v_or_b32_sdwa v2, v9, v10 dst_sel:DWORD dst_unused:UNUSED_PAD src0_sel:DWORD src1_sel:BYTE_1
	v_or_b32_sdwa v3, v3, v8 dst_sel:DWORD dst_unused:UNUSED_PAD src0_sel:DWORD src1_sel:BYTE_1
	v_add_u16_e32 v2, 0xe000, v2
	v_add_u16_sdwa v3, v3, s27 dst_sel:WORD_1 dst_unused:UNUSED_PAD src0_sel:DWORD src1_sel:DWORD
	s_waitcnt vmcnt(4)
	v_ashrrev_i32_e32 v4, v140, v4
	v_or_b32_e32 v2, v2, v3
	ds_write2_b32 v30, v7, v2 offset1:16
	v_and_b32_e32 v2, 0xf0f0f0f, v16
	v_lshlrev_b32_e32 v7, 4, v4
	v_and_or_b32 v2, v7, s25, v2
	v_lshlrev_b16_e32 v8, 8, v2
	v_and_b32_e32 v7, 0x3f00, v2
	v_add_u16_e32 v8, 0xe000, v8
	v_or_b32_sdwa v7, v7, v8 dst_sel:DWORD dst_unused:UNUSED_PAD src0_sel:DWORD src1_sel:BYTE_1
	v_and_b32_sdwa v8, v2, s26 dst_sel:DWORD dst_unused:UNUSED_PAD src0_sel:WORD_1 src1_sel:DWORD
	v_lshlrev_b16_sdwa v2, v145, v2 dst_sel:DWORD dst_unused:UNUSED_PAD src0_sel:DWORD src1_sel:WORD_1
	v_add_u16_e32 v2, 0xe000, v2
	v_lshrrev_b32_e32 v3, 4, v16
	v_and_b32_e32 v4, 0x30303030, v4
	v_or_b32_sdwa v2, v8, v2 dst_sel:DWORD dst_unused:UNUSED_PAD src0_sel:DWORD src1_sel:BYTE_1
	v_add_u16_e32 v7, 0xe000, v7
	v_add_u16_sdwa v2, v2, s27 dst_sel:WORD_1 dst_unused:UNUSED_PAD src0_sel:DWORD src1_sel:DWORD
	v_and_or_b32 v4, v3, s6, v4
	v_or_b32_e32 v7, v7, v2
	v_lshlrev_b16_e32 v2, 8, v4
	v_add_u16_e32 v9, 0xe000, v2
	v_lshl_add_u64 v[2:3], v[102:103], 0, s[18:19]
	global_load_dword v10, v[2:3], off offset:-2
	v_lshl_add_u64 v[2:3], v[98:99], 0, s[18:19]
	v_and_b32_e32 v8, 0x3f00, v4
	global_load_dword v13, v[2:3], off
	v_and_b32_sdwa v3, v4, s26 dst_sel:DWORD dst_unused:UNUSED_PAD src0_sel:WORD_1 src1_sel:DWORD
	v_lshlrev_b16_sdwa v4, v145, v4 dst_sel:DWORD dst_unused:UNUSED_PAD src0_sel:DWORD src1_sel:WORD_1
	v_add_u16_e32 v4, 0xe000, v4
	v_or_b32_sdwa v2, v8, v9 dst_sel:DWORD dst_unused:UNUSED_PAD src0_sel:DWORD src1_sel:BYTE_1
	v_or_b32_sdwa v3, v3, v4 dst_sel:DWORD dst_unused:UNUSED_PAD src0_sel:DWORD src1_sel:BYTE_1
	v_add_u16_e32 v2, 0xe000, v2
	v_add_u16_sdwa v3, v3, s27 dst_sel:WORD_1 dst_unused:UNUSED_PAD src0_sel:DWORD src1_sel:DWORD
	s_waitcnt vmcnt(4)
	v_ashrrev_i32_e32 v4, v140, v6
	v_or_b32_e32 v2, v2, v3
	ds_write2_b32 v32, v7, v2 offset1:16
	v_and_b32_e32 v2, 0xf0f0f0f, v5
	v_lshrrev_b32_e32 v3, 4, v5
	v_lshlrev_b32_e32 v5, 4, v4
	v_and_or_b32 v2, v5, s25, v2
	v_lshlrev_b16_e32 v6, 8, v2
	v_and_b32_e32 v5, 0x3f00, v2
	v_add_u16_e32 v6, 0xe000, v6
	v_or_b32_sdwa v5, v5, v6 dst_sel:DWORD dst_unused:UNUSED_PAD src0_sel:DWORD src1_sel:BYTE_1
	v_and_b32_sdwa v6, v2, s26 dst_sel:DWORD dst_unused:UNUSED_PAD src0_sel:WORD_1 src1_sel:DWORD
	v_lshlrev_b16_sdwa v2, v145, v2 dst_sel:DWORD dst_unused:UNUSED_PAD src0_sel:DWORD src1_sel:WORD_1
	v_add_u16_e32 v2, 0xe000, v2
	v_and_b32_e32 v4, 0x30303030, v4
	v_or_b32_sdwa v2, v6, v2 dst_sel:DWORD dst_unused:UNUSED_PAD src0_sel:DWORD src1_sel:BYTE_1
	v_add_u16_e32 v5, 0xe000, v5
	v_add_u16_sdwa v2, v2, s27 dst_sel:WORD_1 dst_unused:UNUSED_PAD src0_sel:DWORD src1_sel:DWORD
	v_and_or_b32 v4, v3, s6, v4
	v_or_b32_e32 v5, v5, v2
	v_lshlrev_b16_e32 v2, 8, v4
	v_add_u16_e32 v7, 0xe000, v2
	v_lshl_add_u64 v[2:3], v[108:109], 0, s[18:19]
	global_load_dword v8, v[2:3], off offset:-2
	v_lshl_add_u64 v[2:3], v[104:105], 0, s[18:19]
	global_load_dword v9, v[2:3], off
	v_and_b32_e32 v6, 0x3f00, v4
	v_and_b32_sdwa v3, v4, s26 dst_sel:DWORD dst_unused:UNUSED_PAD src0_sel:WORD_1 src1_sel:DWORD
	v_lshlrev_b16_sdwa v4, v145, v4 dst_sel:DWORD dst_unused:UNUSED_PAD src0_sel:DWORD src1_sel:WORD_1
	v_add_u16_e32 v4, 0xe000, v4
	v_or_b32_sdwa v2, v6, v7 dst_sel:DWORD dst_unused:UNUSED_PAD src0_sel:DWORD src1_sel:BYTE_1
	v_or_b32_sdwa v3, v3, v4 dst_sel:DWORD dst_unused:UNUSED_PAD src0_sel:DWORD src1_sel:BYTE_1
	v_add_u16_e32 v2, 0xe000, v2
	v_add_u16_sdwa v3, v3, s27 dst_sel:WORD_1 dst_unused:UNUSED_PAD src0_sel:DWORD src1_sel:DWORD
	s_waitcnt vmcnt(4)
	v_ashrrev_i32_e32 v4, v140, v12
	v_or_b32_e32 v2, v2, v3
	ds_write2_b32 v34, v5, v2 offset1:16
	v_and_b32_e32 v2, 0xf0f0f0f, v11
	v_lshlrev_b32_e32 v5, 4, v4
	v_and_or_b32 v2, v5, s25, v2
	v_lshlrev_b16_e32 v6, 8, v2
	v_and_b32_e32 v5, 0x3f00, v2
	v_add_u16_e32 v6, 0xe000, v6
	v_or_b32_sdwa v5, v5, v6 dst_sel:DWORD dst_unused:UNUSED_PAD src0_sel:DWORD src1_sel:BYTE_1
	v_and_b32_sdwa v6, v2, s26 dst_sel:DWORD dst_unused:UNUSED_PAD src0_sel:WORD_1 src1_sel:DWORD
	v_lshlrev_b16_sdwa v2, v145, v2 dst_sel:DWORD dst_unused:UNUSED_PAD src0_sel:DWORD src1_sel:WORD_1
	v_add_u16_e32 v2, 0xe000, v2
	v_lshrrev_b32_e32 v3, 4, v11
	v_and_b32_e32 v4, 0x30303030, v4
	v_or_b32_sdwa v2, v6, v2 dst_sel:DWORD dst_unused:UNUSED_PAD src0_sel:DWORD src1_sel:BYTE_1
	v_add_u16_e32 v5, 0xe000, v5
	v_add_u16_sdwa v2, v2, s27 dst_sel:WORD_1 dst_unused:UNUSED_PAD src0_sel:DWORD src1_sel:DWORD
	v_and_or_b32 v4, v3, s6, v4
	v_or_b32_e32 v5, v5, v2
	v_lshlrev_b16_e32 v2, 8, v4
	v_add_u16_e32 v7, 0xe000, v2
	v_lshl_add_u64 v[2:3], v[114:115], 0, s[18:19]
	global_load_dword v11, v[2:3], off offset:-2
	v_lshl_add_u64 v[2:3], v[110:111], 0, s[18:19]
	global_load_dword v12, v[2:3], off
	v_and_b32_e32 v6, 0x3f00, v4
	v_and_b32_sdwa v3, v4, s26 dst_sel:DWORD dst_unused:UNUSED_PAD src0_sel:WORD_1 src1_sel:DWORD
	v_lshlrev_b16_sdwa v4, v145, v4 dst_sel:DWORD dst_unused:UNUSED_PAD src0_sel:DWORD src1_sel:WORD_1
	v_add_u16_e32 v4, 0xe000, v4
	v_or_b32_sdwa v2, v6, v7 dst_sel:DWORD dst_unused:UNUSED_PAD src0_sel:DWORD src1_sel:BYTE_1
	v_or_b32_sdwa v3, v3, v4 dst_sel:DWORD dst_unused:UNUSED_PAD src0_sel:DWORD src1_sel:BYTE_1
	v_add_u16_e32 v2, 0xe000, v2
	v_add_u16_sdwa v3, v3, s27 dst_sel:WORD_1 dst_unused:UNUSED_PAD src0_sel:DWORD src1_sel:DWORD
	s_waitcnt vmcnt(4)
	v_ashrrev_i32_e32 v4, v140, v13
	v_or_b32_e32 v2, v2, v3
	ds_write2_b32 v36, v5, v2 offset1:16
	v_and_b32_e32 v2, 0xf0f0f0f, v10
	v_lshlrev_b32_e32 v5, 4, v4
	v_and_or_b32 v2, v5, s25, v2
	v_lshlrev_b16_e32 v6, 8, v2
	v_and_b32_e32 v5, 0x3f00, v2
	v_add_u16_e32 v6, 0xe000, v6
	v_or_b32_sdwa v5, v5, v6 dst_sel:DWORD dst_unused:UNUSED_PAD src0_sel:DWORD src1_sel:BYTE_1
	v_and_b32_sdwa v6, v2, s26 dst_sel:DWORD dst_unused:UNUSED_PAD src0_sel:WORD_1 src1_sel:DWORD
	v_lshlrev_b16_sdwa v2, v145, v2 dst_sel:DWORD dst_unused:UNUSED_PAD src0_sel:DWORD src1_sel:WORD_1
	v_add_u16_e32 v2, 0xe000, v2
	v_lshrrev_b32_e32 v3, 4, v10
	v_and_b32_e32 v4, 0x30303030, v4
	v_or_b32_sdwa v2, v6, v2 dst_sel:DWORD dst_unused:UNUSED_PAD src0_sel:DWORD src1_sel:BYTE_1
	v_add_u16_e32 v5, 0xe000, v5
	v_add_u16_sdwa v2, v2, s27 dst_sel:WORD_1 dst_unused:UNUSED_PAD src0_sel:DWORD src1_sel:DWORD
	v_and_or_b32 v4, v3, s6, v4
	v_or_b32_e32 v5, v5, v2
	v_lshlrev_b16_e32 v2, 8, v4
	v_add_u16_e32 v7, 0xe000, v2
	v_lshl_add_u64 v[2:3], v[120:121], 0, s[18:19]
	global_load_dword v10, v[2:3], off offset:-2
	v_lshl_add_u64 v[2:3], v[116:117], 0, s[18:19]
	v_and_b32_e32 v6, 0x3f00, v4
	global_load_dword v13, v[2:3], off
	v_and_b32_sdwa v3, v4, s26 dst_sel:DWORD dst_unused:UNUSED_PAD src0_sel:WORD_1 src1_sel:DWORD
	v_lshlrev_b16_sdwa v4, v145, v4 dst_sel:DWORD dst_unused:UNUSED_PAD src0_sel:DWORD src1_sel:WORD_1
	v_add_u16_e32 v4, 0xe000, v4
	v_or_b32_sdwa v2, v6, v7 dst_sel:DWORD dst_unused:UNUSED_PAD src0_sel:DWORD src1_sel:BYTE_1
	v_or_b32_sdwa v3, v3, v4 dst_sel:DWORD dst_unused:UNUSED_PAD src0_sel:DWORD src1_sel:BYTE_1
	v_add_u16_e32 v2, 0xe000, v2
	v_add_u16_sdwa v3, v3, s27 dst_sel:WORD_1 dst_unused:UNUSED_PAD src0_sel:DWORD src1_sel:DWORD
	s_waitcnt vmcnt(4)
	v_ashrrev_i32_e32 v4, v140, v9
	v_or_b32_e32 v2, v2, v3
	ds_write2_b32 v38, v5, v2 offset1:16
	v_and_b32_e32 v2, 0xf0f0f0f, v8
	v_lshlrev_b32_e32 v5, 4, v4
	v_and_or_b32 v2, v5, s25, v2
	v_lshlrev_b16_e32 v6, 8, v2
	v_and_b32_e32 v5, 0x3f00, v2
	v_add_u16_e32 v6, 0xe000, v6
	v_or_b32_sdwa v5, v5, v6 dst_sel:DWORD dst_unused:UNUSED_PAD src0_sel:DWORD src1_sel:BYTE_1
	v_and_b32_sdwa v6, v2, s26 dst_sel:DWORD dst_unused:UNUSED_PAD src0_sel:WORD_1 src1_sel:DWORD
	v_lshlrev_b16_sdwa v2, v145, v2 dst_sel:DWORD dst_unused:UNUSED_PAD src0_sel:DWORD src1_sel:WORD_1
	v_add_u16_e32 v2, 0xe000, v2
	v_lshrrev_b32_e32 v3, 4, v8
	v_and_b32_e32 v4, 0x30303030, v4
	v_or_b32_sdwa v2, v6, v2 dst_sel:DWORD dst_unused:UNUSED_PAD src0_sel:DWORD src1_sel:BYTE_1
	v_add_u16_e32 v5, 0xe000, v5
	v_add_u16_sdwa v2, v2, s27 dst_sel:WORD_1 dst_unused:UNUSED_PAD src0_sel:DWORD src1_sel:DWORD
	v_and_or_b32 v4, v3, s6, v4
	v_or_b32_e32 v5, v5, v2
	v_lshlrev_b16_e32 v2, 8, v4
	v_add_u16_e32 v7, 0xe000, v2
	v_lshl_add_u64 v[2:3], v[126:127], 0, s[18:19]
	global_load_dword v8, v[2:3], off offset:-2
	v_lshl_add_u64 v[2:3], v[122:123], 0, s[18:19]
	global_load_dword v9, v[2:3], off
	v_and_b32_e32 v6, 0x3f00, v4
	v_and_b32_sdwa v3, v4, s26 dst_sel:DWORD dst_unused:UNUSED_PAD src0_sel:WORD_1 src1_sel:DWORD
	v_lshlrev_b16_sdwa v4, v145, v4 dst_sel:DWORD dst_unused:UNUSED_PAD src0_sel:DWORD src1_sel:WORD_1
	v_add_u16_e32 v4, 0xe000, v4
	v_or_b32_sdwa v2, v6, v7 dst_sel:DWORD dst_unused:UNUSED_PAD src0_sel:DWORD src1_sel:BYTE_1
	v_or_b32_sdwa v3, v3, v4 dst_sel:DWORD dst_unused:UNUSED_PAD src0_sel:DWORD src1_sel:BYTE_1
	v_add_u16_e32 v2, 0xe000, v2
	v_add_u16_sdwa v3, v3, s27 dst_sel:WORD_1 dst_unused:UNUSED_PAD src0_sel:DWORD src1_sel:DWORD
	s_waitcnt vmcnt(4)
	v_ashrrev_i32_e32 v4, v140, v12
	v_or_b32_e32 v2, v2, v3
	ds_write2_b32 v40, v5, v2 offset1:16
	v_and_b32_e32 v2, 0xf0f0f0f, v11
	v_lshlrev_b32_e32 v5, 4, v4
	v_and_or_b32 v2, v5, s25, v2
	v_lshlrev_b16_e32 v6, 8, v2
	v_and_b32_e32 v5, 0x3f00, v2
	v_add_u16_e32 v6, 0xe000, v6
	v_or_b32_sdwa v5, v5, v6 dst_sel:DWORD dst_unused:UNUSED_PAD src0_sel:DWORD src1_sel:BYTE_1
	v_and_b32_sdwa v6, v2, s26 dst_sel:DWORD dst_unused:UNUSED_PAD src0_sel:WORD_1 src1_sel:DWORD
	v_lshlrev_b16_sdwa v2, v145, v2 dst_sel:DWORD dst_unused:UNUSED_PAD src0_sel:DWORD src1_sel:WORD_1
	v_add_u16_e32 v2, 0xe000, v2
	v_lshrrev_b32_e32 v3, 4, v11
	v_and_b32_e32 v4, 0x30303030, v4
	v_or_b32_sdwa v2, v6, v2 dst_sel:DWORD dst_unused:UNUSED_PAD src0_sel:DWORD src1_sel:BYTE_1
	v_add_u16_e32 v5, 0xe000, v5
	v_add_u16_sdwa v2, v2, s27 dst_sel:WORD_1 dst_unused:UNUSED_PAD src0_sel:DWORD src1_sel:DWORD
	v_and_or_b32 v4, v3, s6, v4
	v_or_b32_e32 v5, v5, v2
	v_lshlrev_b16_e32 v2, 8, v4
	v_add_u16_e32 v7, 0xe000, v2
	v_lshl_add_u64 v[2:3], v[130:131], 0, s[18:19]
	global_load_dword v11, v[2:3], off offset:-2
	v_lshl_add_u64 v[2:3], v[128:129], 0, s[18:19]
	global_load_dword v12, v[2:3], off
	v_and_b32_e32 v6, 0x3f00, v4
	v_and_b32_sdwa v3, v4, s26 dst_sel:DWORD dst_unused:UNUSED_PAD src0_sel:WORD_1 src1_sel:DWORD
	v_lshlrev_b16_sdwa v4, v145, v4 dst_sel:DWORD dst_unused:UNUSED_PAD src0_sel:DWORD src1_sel:WORD_1
	v_add_u16_e32 v4, 0xe000, v4
	v_or_b32_sdwa v2, v6, v7 dst_sel:DWORD dst_unused:UNUSED_PAD src0_sel:DWORD src1_sel:BYTE_1
	v_or_b32_sdwa v3, v3, v4 dst_sel:DWORD dst_unused:UNUSED_PAD src0_sel:DWORD src1_sel:BYTE_1
	v_add_u16_e32 v2, 0xe000, v2
	v_add_u16_sdwa v3, v3, s27 dst_sel:WORD_1 dst_unused:UNUSED_PAD src0_sel:DWORD src1_sel:DWORD
	s_waitcnt vmcnt(4)
	v_ashrrev_i32_e32 v4, v140, v13
	v_or_b32_e32 v2, v2, v3
	ds_write2_b32 v42, v5, v2 offset1:16
	v_and_b32_e32 v2, 0xf0f0f0f, v10
	v_lshlrev_b32_e32 v5, 4, v4
	v_and_or_b32 v2, v5, s25, v2
	v_lshlrev_b16_e32 v6, 8, v2
	v_and_b32_e32 v5, 0x3f00, v2
	v_add_u16_e32 v6, 0xe000, v6
	v_or_b32_sdwa v5, v5, v6 dst_sel:DWORD dst_unused:UNUSED_PAD src0_sel:DWORD src1_sel:BYTE_1
	v_and_b32_sdwa v6, v2, s26 dst_sel:DWORD dst_unused:UNUSED_PAD src0_sel:WORD_1 src1_sel:DWORD
	v_lshlrev_b16_sdwa v2, v145, v2 dst_sel:DWORD dst_unused:UNUSED_PAD src0_sel:DWORD src1_sel:WORD_1
	v_add_u16_e32 v2, 0xe000, v2
	v_lshrrev_b32_e32 v3, 4, v10
	v_and_b32_e32 v4, 0x30303030, v4
	v_or_b32_sdwa v2, v6, v2 dst_sel:DWORD dst_unused:UNUSED_PAD src0_sel:DWORD src1_sel:BYTE_1
	v_add_u16_e32 v5, 0xe000, v5
	v_add_u16_sdwa v2, v2, s27 dst_sel:WORD_1 dst_unused:UNUSED_PAD src0_sel:DWORD src1_sel:DWORD
	v_and_or_b32 v4, v3, s6, v4
	v_or_b32_e32 v5, v5, v2
	v_lshlrev_b16_e32 v2, 8, v4
	v_add_u16_e32 v7, 0xe000, v2
	v_lshl_add_u64 v[2:3], v[118:119], 0, s[18:19]
	global_load_dword v10, v[2:3], off
	v_lshl_add_u64 v[2:3], v[124:125], 0, s[18:19]
	v_and_b32_e32 v6, 0x3f00, v4
	global_load_dword v13, v[2:3], off
	v_and_b32_sdwa v3, v4, s26 dst_sel:DWORD dst_unused:UNUSED_PAD src0_sel:WORD_1 src1_sel:DWORD
	v_lshlrev_b16_sdwa v4, v145, v4 dst_sel:DWORD dst_unused:UNUSED_PAD src0_sel:DWORD src1_sel:WORD_1
	v_add_u16_e32 v4, 0xe000, v4
	v_or_b32_sdwa v2, v6, v7 dst_sel:DWORD dst_unused:UNUSED_PAD src0_sel:DWORD src1_sel:BYTE_1
	v_or_b32_sdwa v3, v3, v4 dst_sel:DWORD dst_unused:UNUSED_PAD src0_sel:DWORD src1_sel:BYTE_1
	v_add_u16_e32 v2, 0xe000, v2
	v_add_u16_sdwa v3, v3, s27 dst_sel:WORD_1 dst_unused:UNUSED_PAD src0_sel:DWORD src1_sel:DWORD
	s_waitcnt vmcnt(4)
	v_ashrrev_i32_e32 v4, v140, v9
	v_or_b32_e32 v2, v2, v3
	ds_write2_b32 v44, v5, v2 offset1:16
	v_and_b32_e32 v2, 0xf0f0f0f, v8
	v_lshlrev_b32_e32 v5, 4, v4
	v_and_or_b32 v2, v5, s25, v2
	v_lshlrev_b16_e32 v6, 8, v2
	v_and_b32_e32 v5, 0x3f00, v2
	v_add_u16_e32 v6, 0xe000, v6
	v_or_b32_sdwa v5, v5, v6 dst_sel:DWORD dst_unused:UNUSED_PAD src0_sel:DWORD src1_sel:BYTE_1
	v_and_b32_sdwa v6, v2, s26 dst_sel:DWORD dst_unused:UNUSED_PAD src0_sel:WORD_1 src1_sel:DWORD
	v_lshlrev_b16_sdwa v2, v145, v2 dst_sel:DWORD dst_unused:UNUSED_PAD src0_sel:DWORD src1_sel:WORD_1
	v_add_u16_e32 v2, 0xe000, v2
	v_lshrrev_b32_e32 v3, 4, v8
	v_and_b32_e32 v4, 0x30303030, v4
	v_or_b32_sdwa v2, v6, v2 dst_sel:DWORD dst_unused:UNUSED_PAD src0_sel:DWORD src1_sel:BYTE_1
	v_add_u16_e32 v5, 0xe000, v5
	v_add_u16_sdwa v2, v2, s27 dst_sel:WORD_1 dst_unused:UNUSED_PAD src0_sel:DWORD src1_sel:DWORD
	v_and_or_b32 v4, v3, s6, v4
	v_or_b32_e32 v5, v5, v2
	v_lshlrev_b16_e32 v2, 8, v4
	v_add_u16_e32 v7, 0xe000, v2
	v_lshl_add_u64 v[2:3], v[106:107], 0, s[18:19]
	global_load_dword v8, v[2:3], off
	v_lshl_add_u64 v[2:3], v[112:113], 0, s[18:19]
	global_load_dword v9, v[2:3], off
	v_and_b32_e32 v6, 0x3f00, v4
	v_and_b32_sdwa v3, v4, s26 dst_sel:DWORD dst_unused:UNUSED_PAD src0_sel:WORD_1 src1_sel:DWORD
	v_lshlrev_b16_sdwa v4, v145, v4 dst_sel:DWORD dst_unused:UNUSED_PAD src0_sel:DWORD src1_sel:WORD_1
	v_add_u16_e32 v4, 0xe000, v4
	v_or_b32_sdwa v2, v6, v7 dst_sel:DWORD dst_unused:UNUSED_PAD src0_sel:DWORD src1_sel:BYTE_1
	v_or_b32_sdwa v3, v3, v4 dst_sel:DWORD dst_unused:UNUSED_PAD src0_sel:DWORD src1_sel:BYTE_1
	v_add_u16_e32 v2, 0xe000, v2
	v_add_u16_sdwa v3, v3, s27 dst_sel:WORD_1 dst_unused:UNUSED_PAD src0_sel:DWORD src1_sel:DWORD
	s_waitcnt vmcnt(4)
	v_ashrrev_i32_e32 v4, v140, v12
	v_or_b32_e32 v2, v2, v3
	ds_write2_b32 v46, v5, v2 offset1:16
	v_and_b32_e32 v2, 0xf0f0f0f, v11
	v_lshlrev_b32_e32 v5, 4, v4
	v_and_or_b32 v2, v5, s25, v2
	v_lshlrev_b16_e32 v6, 8, v2
	v_and_b32_e32 v5, 0x3f00, v2
	v_add_u16_e32 v6, 0xe000, v6
	v_or_b32_sdwa v5, v5, v6 dst_sel:DWORD dst_unused:UNUSED_PAD src0_sel:DWORD src1_sel:BYTE_1
	v_and_b32_sdwa v6, v2, s26 dst_sel:DWORD dst_unused:UNUSED_PAD src0_sel:WORD_1 src1_sel:DWORD
	v_lshlrev_b16_sdwa v2, v145, v2 dst_sel:DWORD dst_unused:UNUSED_PAD src0_sel:DWORD src1_sel:WORD_1
	v_lshrrev_b32_e32 v3, 4, v11
	v_and_b32_e32 v4, 0x30303030, v4
	v_add_u16_e32 v2, 0xe000, v2
	v_or_b32_sdwa v2, v6, v2 dst_sel:DWORD dst_unused:UNUSED_PAD src0_sel:DWORD src1_sel:BYTE_1
	v_and_or_b32 v4, v3, s6, v4
	v_add_u16_e32 v5, 0xe000, v5
	v_add_u16_sdwa v2, v2, s27 dst_sel:WORD_1 dst_unused:UNUSED_PAD src0_sel:DWORD src1_sel:DWORD
	v_lshlrev_b16_e32 v3, 8, v4
	v_or_b32_e32 v5, v5, v2
	v_and_b32_e32 v2, 0x3f00, v4
	v_add_u16_e32 v3, 0xe000, v3
	v_or_b32_sdwa v2, v2, v3 dst_sel:DWORD dst_unused:UNUSED_PAD src0_sel:DWORD src1_sel:BYTE_1
	v_add_u16_e32 v6, 0xe000, v2
	v_lshl_add_u64 v[2:3], v[94:95], 0, s[18:19]
	global_load_dword v7, v[2:3], off
	v_lshl_add_u64 v[2:3], v[100:101], 0, s[18:19]
	global_load_dword v11, v[2:3], off
	v_lshlrev_b16_sdwa v3, v145, v4 dst_sel:DWORD dst_unused:UNUSED_PAD src0_sel:DWORD src1_sel:WORD_1
	v_and_b32_sdwa v2, v4, s26 dst_sel:DWORD dst_unused:UNUSED_PAD src0_sel:WORD_1 src1_sel:DWORD
	v_add_u16_e32 v3, 0xe000, v3
	v_or_b32_sdwa v2, v2, v3 dst_sel:DWORD dst_unused:UNUSED_PAD src0_sel:DWORD src1_sel:BYTE_1
	v_add_u16_sdwa v2, v2, s27 dst_sel:WORD_1 dst_unused:UNUSED_PAD src0_sel:DWORD src1_sel:DWORD
	s_waitcnt vmcnt(5)
	v_lshrrev_b32_e32 v3, 4, v10
	v_or_b32_e32 v2, v6, v2
	ds_write2_b32 v48, v5, v2 offset1:16
	s_waitcnt vmcnt(4)
	v_ashrrev_i32_e32 v4, v140, v13
	v_and_b32_e32 v2, 0xf0f0f0f, v10
	v_lshlrev_b32_e32 v5, 4, v4
	v_and_or_b32 v2, v5, s25, v2
	v_lshlrev_b16_e32 v6, 8, v2
	v_and_b32_e32 v5, 0x3f00, v2
	v_add_u16_e32 v6, 0xe000, v6
	v_or_b32_sdwa v5, v5, v6 dst_sel:DWORD dst_unused:UNUSED_PAD src0_sel:DWORD src1_sel:BYTE_1
	v_and_b32_sdwa v6, v2, s26 dst_sel:DWORD dst_unused:UNUSED_PAD src0_sel:WORD_1 src1_sel:DWORD
	v_lshlrev_b16_sdwa v2, v145, v2 dst_sel:DWORD dst_unused:UNUSED_PAD src0_sel:DWORD src1_sel:WORD_1
	v_add_u16_e32 v2, 0xe000, v2
	v_or_b32_sdwa v2, v6, v2 dst_sel:DWORD dst_unused:UNUSED_PAD src0_sel:DWORD src1_sel:BYTE_1
	v_and_b32_e32 v4, 0x30303030, v4
	v_add_u16_e32 v5, 0xe000, v5
	v_add_u16_sdwa v2, v2, s27 dst_sel:WORD_1 dst_unused:UNUSED_PAD src0_sel:DWORD src1_sel:DWORD
	v_and_or_b32 v4, v3, s6, v4
	v_or_b32_e32 v5, v5, v2
	v_lshl_add_u64 v[2:3], v[82:83], 0, s[18:19]
	global_load_dword v10, v[2:3], off
	v_lshl_add_u64 v[2:3], v[88:89], 0, s[18:19]
	global_load_dword v12, v[2:3], off
	v_and_b32_e32 v6, 0x3f00, v4
	v_lshlrev_b16_e32 v2, 8, v4
	v_and_b32_sdwa v3, v4, s26 dst_sel:DWORD dst_unused:UNUSED_PAD src0_sel:WORD_1 src1_sel:DWORD
	v_lshlrev_b16_sdwa v4, v145, v4 dst_sel:DWORD dst_unused:UNUSED_PAD src0_sel:DWORD src1_sel:WORD_1
	v_add_u16_e32 v2, 0xe000, v2
	v_add_u16_e32 v4, 0xe000, v4
	v_or_b32_sdwa v2, v6, v2 dst_sel:DWORD dst_unused:UNUSED_PAD src0_sel:DWORD src1_sel:BYTE_1
	v_or_b32_sdwa v3, v3, v4 dst_sel:DWORD dst_unused:UNUSED_PAD src0_sel:DWORD src1_sel:BYTE_1
	v_add_u16_e32 v2, 0xe000, v2
	v_add_u16_sdwa v3, v3, s27 dst_sel:WORD_1 dst_unused:UNUSED_PAD src0_sel:DWORD src1_sel:DWORD
	s_waitcnt vmcnt(5)
	v_lshrrev_b32_e32 v4, 4, v8
	v_or_b32_e32 v2, v2, v3
	s_waitcnt vmcnt(4)
	v_ashrrev_i32_e32 v3, v140, v9
	ds_write2_b32 v50, v5, v2 offset1:16
	v_and_b32_e32 v2, 0xf0f0f0f, v8
	v_lshlrev_b32_e32 v5, 4, v3
	v_and_or_b32 v5, v5, s25, v2
	v_and_b32_e32 v6, 0x30303030, v3
	v_lshlrev_b16_e32 v3, 8, v5
	v_and_b32_e32 v2, 0x3f00, v5
	v_add_u16_e32 v3, 0xe000, v3
	v_or_b32_sdwa v2, v2, v3 dst_sel:DWORD dst_unused:UNUSED_PAD src0_sel:DWORD src1_sel:BYTE_1
	v_add_u16_e32 v8, 0xe000, v2
	v_lshl_add_u64 v[2:3], v[76:77], 0, s[18:19]
	global_load_ushort v13, v[2:3], off
	v_lshlrev_b16_sdwa v2, v145, v5 dst_sel:DWORD dst_unused:UNUSED_PAD src0_sel:DWORD src1_sel:WORD_1
	v_and_b32_sdwa v9, v5, s26 dst_sel:DWORD dst_unused:UNUSED_PAD src0_sel:WORD_1 src1_sel:DWORD
	v_add_u16_e32 v2, 0xe000, v2
	v_or_b32_sdwa v5, v9, v2 dst_sel:DWORD dst_unused:UNUSED_PAD src0_sel:DWORD src1_sel:BYTE_1
	v_lshl_add_u64 v[2:3], v[70:71], 0, s[18:19]
	global_load_dword v9, v[2:3], off
	v_lshl_add_u64 v[2:3], v[64:65], 0, s[18:19]
	global_load_dword v2, v[2:3], off
	v_and_or_b32 v4, v4, s6, v6
	v_add_u16_sdwa v5, v5, s27 dst_sel:WORD_1 dst_unused:UNUSED_PAD src0_sel:DWORD src1_sel:DWORD
	v_lshlrev_b16_e32 v6, 8, v4
	v_or_b32_e32 v3, v8, v5
	v_and_b32_e32 v5, 0x3f00, v4
	v_add_u16_e32 v6, 0xe000, v6
	v_or_b32_sdwa v5, v5, v6 dst_sel:DWORD dst_unused:UNUSED_PAD src0_sel:DWORD src1_sel:BYTE_1
	v_and_b32_sdwa v6, v4, s26 dst_sel:DWORD dst_unused:UNUSED_PAD src0_sel:WORD_1 src1_sel:DWORD
	v_lshlrev_b16_sdwa v4, v145, v4 dst_sel:DWORD dst_unused:UNUSED_PAD src0_sel:DWORD src1_sel:WORD_1
	v_add_u16_e32 v4, 0xe000, v4
	v_or_b32_sdwa v4, v6, v4 dst_sel:DWORD dst_unused:UNUSED_PAD src0_sel:DWORD src1_sel:BYTE_1
	v_add_u16_e32 v5, 0xe000, v5
	v_add_u16_sdwa v4, v4, s27 dst_sel:WORD_1 dst_unused:UNUSED_PAD src0_sel:DWORD src1_sel:DWORD
	s_nop 0
	v_or_b32_e32 v4, v5, v4
	ds_write2_b32 v52, v3, v4 offset1:16
	s_waitcnt vmcnt(6)
	v_and_b32_e32 v3, 0xf0f0f0f, v7
	s_waitcnt vmcnt(5)
	v_ashrrev_i32_e32 v5, v140, v11
	v_lshlrev_b32_e32 v6, 4, v5
	v_and_or_b32 v3, v6, s25, v3
	v_lshrrev_b32_e32 v4, 4, v7
	v_lshlrev_b16_e32 v7, 8, v3
	v_and_b32_e32 v6, 0x3f00, v3
	v_add_u16_e32 v7, 0xe000, v7
	v_or_b32_sdwa v6, v6, v7 dst_sel:DWORD dst_unused:UNUSED_PAD src0_sel:DWORD src1_sel:BYTE_1
	v_and_b32_sdwa v7, v3, s26 dst_sel:DWORD dst_unused:UNUSED_PAD src0_sel:WORD_1 src1_sel:DWORD
	v_lshlrev_b16_sdwa v3, v145, v3 dst_sel:DWORD dst_unused:UNUSED_PAD src0_sel:DWORD src1_sel:WORD_1
	v_add_u16_e32 v3, 0xe000, v3
	v_and_b32_e32 v5, 0x30303030, v5
	v_or_b32_sdwa v3, v7, v3 dst_sel:DWORD dst_unused:UNUSED_PAD src0_sel:DWORD src1_sel:BYTE_1
	v_add_u16_e32 v6, 0xe000, v6
	v_add_u16_sdwa v3, v3, s27 dst_sel:WORD_1 dst_unused:UNUSED_PAD src0_sel:DWORD src1_sel:DWORD
	v_and_or_b32 v4, v4, s6, v5
	v_or_b32_e32 v3, v6, v3
	v_lshlrev_b16_e32 v6, 8, v4
	v_and_b32_e32 v5, 0x3f00, v4
	v_add_u16_e32 v6, 0xe000, v6
	v_or_b32_sdwa v5, v5, v6 dst_sel:DWORD dst_unused:UNUSED_PAD src0_sel:DWORD src1_sel:BYTE_1
	v_and_b32_sdwa v6, v4, s26 dst_sel:DWORD dst_unused:UNUSED_PAD src0_sel:WORD_1 src1_sel:DWORD
	v_lshlrev_b16_sdwa v4, v145, v4 dst_sel:DWORD dst_unused:UNUSED_PAD src0_sel:DWORD src1_sel:WORD_1
	v_add_u16_e32 v4, 0xe000, v4
	v_or_b32_sdwa v4, v6, v4 dst_sel:DWORD dst_unused:UNUSED_PAD src0_sel:DWORD src1_sel:BYTE_1
	v_add_u16_e32 v5, 0xe000, v5
	v_add_u16_sdwa v4, v4, s27 dst_sel:WORD_1 dst_unused:UNUSED_PAD src0_sel:DWORD src1_sel:DWORD
	s_nop 0
	v_or_b32_e32 v4, v5, v4
	s_waitcnt vmcnt(3)
	v_ashrrev_i32_e32 v5, v140, v12
	ds_write2_b32 v54, v3, v4 offset1:16
	v_and_b32_e32 v3, 0xf0f0f0f, v10
	v_lshlrev_b32_e32 v6, 4, v5
	v_and_or_b32 v3, v6, s25, v3
	v_lshlrev_b16_e32 v7, 8, v3
	v_and_b32_e32 v6, 0x3f00, v3
	v_add_u16_e32 v7, 0xe000, v7
	v_or_b32_sdwa v6, v6, v7 dst_sel:DWORD dst_unused:UNUSED_PAD src0_sel:DWORD src1_sel:BYTE_1
	v_and_b32_sdwa v7, v3, s26 dst_sel:DWORD dst_unused:UNUSED_PAD src0_sel:WORD_1 src1_sel:DWORD
	v_lshlrev_b16_sdwa v3, v145, v3 dst_sel:DWORD dst_unused:UNUSED_PAD src0_sel:DWORD src1_sel:WORD_1
	v_add_u16_e32 v3, 0xe000, v3
	v_lshrrev_b32_e32 v4, 4, v10
	v_and_b32_e32 v5, 0x30303030, v5
	v_or_b32_sdwa v3, v7, v3 dst_sel:DWORD dst_unused:UNUSED_PAD src0_sel:DWORD src1_sel:BYTE_1
	v_add_u16_e32 v6, 0xe000, v6
	v_add_u16_sdwa v3, v3, s27 dst_sel:WORD_1 dst_unused:UNUSED_PAD src0_sel:DWORD src1_sel:DWORD
	v_and_or_b32 v4, v4, s6, v5
	v_or_b32_e32 v3, v6, v3
	v_lshlrev_b16_e32 v6, 8, v4
	v_and_b32_e32 v5, 0x3f00, v4
	v_add_u16_e32 v6, 0xe000, v6
	v_or_b32_sdwa v5, v5, v6 dst_sel:DWORD dst_unused:UNUSED_PAD src0_sel:DWORD src1_sel:BYTE_1
	v_and_b32_sdwa v6, v4, s26 dst_sel:DWORD dst_unused:UNUSED_PAD src0_sel:WORD_1 src1_sel:DWORD
	v_lshlrev_b16_sdwa v4, v145, v4 dst_sel:DWORD dst_unused:UNUSED_PAD src0_sel:DWORD src1_sel:WORD_1
	v_add_u16_e32 v4, 0xe000, v4
	v_or_b32_sdwa v4, v6, v4 dst_sel:DWORD dst_unused:UNUSED_PAD src0_sel:DWORD src1_sel:BYTE_1
	s_waitcnt vmcnt(2)
	v_cvt_f32_f16_e32 v6, v13
	v_add_u16_e32 v5, 0xe000, v5
	v_add_u16_sdwa v4, v4, s27 dst_sel:WORD_1 dst_unused:UNUSED_PAD src0_sel:DWORD src1_sel:DWORD
	s_nop 0
	v_or_b32_e32 v4, v5, v4
	ds_write2_b32 v56, v3, v4 offset1:16
	ds_write_b32 v29, v6
	s_waitcnt vmcnt(1)
	ds_write_b32 v143, v9
	s_waitcnt vmcnt(0)
	ds_write_b32 v144, v2
	s_cbranch_scc0 .LBB236_5
; %bb.7:                                ;   in Loop: Header=BB236_6 Depth=1
	v_cmp_gt_i32_e64 s[2:3], s8, v35
	s_and_b64 s[22:23], s[0:1], s[2:3]
	s_and_saveexec_b64 s[2:3], s[22:23]
	s_cbranch_execz .LBB236_9
; %bb.8:                                ;   in Loop: Header=BB236_6 Depth=1
	v_add_u32_e32 v2, v60, v35
	v_mad_i64_i32 v[2:3], s[22:23], v2, 36, v[58:59]
	global_load_dword v2, v[2:3], off offset:4
	s_waitcnt vmcnt(0)
	ds_write_b32 v31, v2
.LBB236_9:                              ;   in Loop: Header=BB236_6 Depth=1
	s_or_b64 exec, exec, s[2:3]
	s_and_saveexec_b64 s[22:23], vcc
	s_cbranch_execz .LBB236_12
; %bb.10:                               ;   in Loop: Header=BB236_6 Depth=1
	v_cmp_gt_i32_e64 s[2:3], s8, v24
	s_and_b64 s[2:3], s[0:1], s[2:3]
	s_and_b64 exec, exec, s[2:3]
	s_cbranch_execz .LBB236_12
; %bb.11:                               ;   in Loop: Header=BB236_6 Depth=1
	v_add_u32_e32 v2, v60, v24
	v_mad_i64_i32 v[2:3], s[2:3], v2, 36, s[14:15]
	global_load_dword v2, v[2:3], off
	s_waitcnt vmcnt(0)
	v_cvt_f32_f16_e32 v2, v2
	ds_write_b32 v33, v2
.LBB236_12:                             ;   in Loop: Header=BB236_6 Depth=1
	s_or_b64 exec, exec, s[22:23]
	s_waitcnt lgkmcnt(0)
	s_barrier
	ds_read_b128 v[6:9], v37
	ds_read_b128 v[10:13], v37 offset:16
	ds_read_b128 v[14:17], v37 offset:32
	;; [unrolled: 1-line block ×3, first 2 shown]
	ds_read_b32 v25, v45
	ds_read2_b32 v[132:133], v43 offset0:6 offset1:7
	ds_read2_b32 v[136:137], v43 offset0:4 offset1:5
	;; [unrolled: 1-line block ×3, first 2 shown]
	ds_read2_b32 v[146:147], v43 offset1:1
	ds_read2_b32 v[148:149], v43 offset0:14 offset1:15
	ds_read2_b32 v[150:151], v43 offset0:12 offset1:13
	ds_read_b128 v[2:5], v39 offset:36944
	ds_read2_b32 v[134:135], v41 offset1:1
	v_mov_b32_e32 v156, 0
	ds_read2_b32 v[152:153], v43 offset0:10 offset1:11
	ds_read2_b32 v[154:155], v43 offset0:8 offset1:9
	s_waitcnt lgkmcnt(4)
	v_dot4c_i32_i8_e32 v156, v150, v18
	v_dot4c_i32_i8_e32 v156, v151, v19
	;; [unrolled: 1-line block ×4, first 2 shown]
	v_mov_b32_e32 v149, 0
	v_dot4c_i32_i8_e32 v149, v136, v10
	v_dot4c_i32_i8_e32 v149, v137, v11
	;; [unrolled: 1-line block ×4, first 2 shown]
	v_mov_b32_e32 v133, 0
	v_dot4c_i32_i8_e32 v133, v146, v6
	v_dot4c_i32_i8_e32 v133, v147, v7
	s_waitcnt lgkmcnt(2)
	v_bfe_i32 v132, v134, 8, 8
	v_dot4c_i32_i8_e32 v133, v138, v8
	v_mul_lo_u32 v132, v149, v132
	v_dot4c_i32_i8_e32 v133, v139, v9
	v_bfe_i32 v136, v134, 0, 8
	v_mov_b32_e32 v148, 0
	s_waitcnt lgkmcnt(0)
	v_dot4c_i32_i8_e32 v148, v154, v14
	v_mad_u64_u32 v[132:133], s[2:3], v133, v136, v[132:133]
	v_cvt_f32_i32_e32 v132, v132
	v_dot4c_i32_i8_e32 v148, v155, v15
	v_dot4c_i32_i8_e32 v148, v152, v16
	;; [unrolled: 1-line block ×3, first 2 shown]
	v_fma_f32 v160, v2, v132, 0
	v_ashrrev_i32_e32 v132, 24, v134
	v_bfe_i32 v133, v134, 16, 8
	v_mul_lo_u32 v132, v156, v132
	v_mad_u64_u32 v[132:133], s[2:3], v148, v133, v[132:133]
	v_add_u32_e32 v136, 0x2090, v43
	v_add_u32_e32 v146, 0x2088, v43
	v_add_u32_e32 v148, 0x2080, v43
	v_add_u32_e32 v150, 0x20b8, v43
	v_add_u32_e32 v152, 0x20b0, v43
	v_cvt_f32_i32_e32 v161, v132
	ds_read2_b32 v[132:133], v53 offset1:1
	ds_read_b32 v164, v51 offset:128
	ds_read2_b32 v[138:139], v49 offset1:1
	ds_read2_b32 v[136:137], v136 offset1:1
	;; [unrolled: 1-line block ×6, first 2 shown]
	v_mov_b32_e32 v162, 0
	v_add_u32_e32 v134, 0x2098, v43
	v_add_u32_e32 v154, 0x20a8, v43
	;; [unrolled: 1-line block ×3, first 2 shown]
	s_waitcnt lgkmcnt(0)
	v_dot4c_i32_i8_e32 v162, v152, v18
	v_dot4c_i32_i8_e32 v162, v153, v19
	v_add_u32_e32 v158, 0x4118, v43
	v_dot4c_i32_i8_e32 v162, v150, v20
	ds_read2_b32 v[154:155], v154 offset1:1
	ds_read2_b32 v[156:157], v156 offset1:1
	ds_read2_b32 v[158:159], v158 offset1:1
	v_dot4c_i32_i8_e32 v162, v151, v21
	ds_read2_b32 v[150:151], v134 offset1:1
	v_mov_b32_e32 v153, 0
	v_dot4c_i32_i8_e32 v153, v136, v10
	v_dot4c_i32_i8_e32 v153, v137, v11
	v_mov_b32_e32 v137, 0
	v_dot4c_i32_i8_e32 v137, v148, v6
	s_waitcnt lgkmcnt(0)
	v_dot4c_i32_i8_e32 v153, v150, v12
	v_dot4c_i32_i8_e32 v137, v149, v7
	v_mov_b32_e32 v152, 0
	v_dot4c_i32_i8_e32 v153, v151, v13
	v_bfe_i32 v136, v138, 8, 8
	v_dot4c_i32_i8_e32 v137, v146, v8
	v_dot4c_i32_i8_e32 v152, v156, v14
	v_mul_lo_u32 v136, v153, v136
	v_dot4c_i32_i8_e32 v137, v147, v9
	v_bfe_i32 v146, v138, 0, 8
	v_dot4c_i32_i8_e32 v152, v157, v15
	v_dot4c_i32_i8_e32 v152, v154, v16
	v_mad_u64_u32 v[136:137], s[2:3], v137, v146, v[136:137]
	v_cvt_f32_i32_e32 v146, v136
	v_ashrrev_i32_e32 v136, 24, v138
	v_dot4c_i32_i8_e32 v152, v155, v17
	v_bfe_i32 v137, v138, 16, 8
	v_mul_lo_u32 v136, v162, v136
	v_add_u32_e32 v148, 0x4100, v43
	v_mad_u64_u32 v[136:137], s[2:3], v152, v137, v[136:137]
	v_cvt_f32_i32_e32 v136, v136
	v_fma_f32 v137, v2, v146, 0
	v_add_u32_e32 v146, 0x4108, v43
	v_add_u32_e32 v150, 0x4138, v43
	v_fmac_f32_e32 v137, v3, v136
	v_add_u32_e32 v136, 0x4110, v43
	v_add_u32_e32 v152, 0x4130, v43
	ds_read_b32 v134, v141 offset:384
	ds_read_b32 v138, v55 offset:256
	v_fmac_f32_e32 v142, v164, v137
	ds_read2_b32 v[136:137], v136 offset1:1
	ds_read2_b32 v[146:147], v146 offset1:1
	;; [unrolled: 1-line block ×5, first 2 shown]
	v_mov_b32_e32 v162, 0
	v_fmac_f32_e32 v160, v3, v161
	v_fmac_f32_e32 v23, v25, v160
	v_add_u32_e32 v154, 0x4128, v43
	s_waitcnt lgkmcnt(0)
	v_dot4c_i32_i8_e32 v162, v152, v18
	v_dot4c_i32_i8_e32 v162, v153, v19
	;; [unrolled: 1-line block ×4, first 2 shown]
	v_mov_b32_e32 v151, 0
	v_dot4c_i32_i8_e32 v151, v136, v10
	v_dot4c_i32_i8_e32 v151, v137, v11
	v_mov_b32_e32 v137, 0
	v_dot4c_i32_i8_e32 v137, v148, v6
	v_dot4c_i32_i8_e32 v151, v158, v12
	;; [unrolled: 1-line block ×3, first 2 shown]
	v_add_u32_e32 v156, 0x4120, v43
	v_add_u32_e32 v160, 0x6198, v43
	v_dot4c_i32_i8_e32 v151, v159, v13
	v_bfe_i32 v136, v132, 8, 8
	v_dot4c_i32_i8_e32 v137, v146, v8
	ds_read2_b32 v[154:155], v154 offset1:1
	ds_read2_b32 v[156:157], v156 offset1:1
	ds_read2_b32 v[160:161], v160 offset1:1
	v_mul_lo_u32 v136, v151, v136
	v_dot4c_i32_i8_e32 v137, v147, v9
	v_bfe_i32 v146, v132, 0, 8
	v_mov_b32_e32 v150, 0
	s_waitcnt lgkmcnt(1)
	v_dot4c_i32_i8_e32 v150, v156, v14
	v_mad_u64_u32 v[136:137], s[2:3], v137, v146, v[136:137]
	v_cvt_f32_i32_e32 v136, v136
	v_dot4c_i32_i8_e32 v150, v157, v15
	v_dot4c_i32_i8_e32 v150, v154, v16
	;; [unrolled: 1-line block ×3, first 2 shown]
	v_fma_f32 v165, v2, v136, 0
	v_bfe_i32 v136, v132, 16, 8
	v_ashrrev_i32_e32 v132, 24, v132
	v_mul_lo_u32 v132, v162, v132
	v_mad_u64_u32 v[136:137], s[2:3], v150, v136, v[132:133]
	v_add_u32_e32 v146, 0x6190, v43
	v_add_u32_e32 v148, 0x6188, v43
	;; [unrolled: 1-line block ×5, first 2 shown]
	v_cvt_f32_i32_e32 v132, v136
	ds_read2_b32 v[136:137], v57 offset1:1
	ds_read2_b32 v[146:147], v146 offset1:1
	;; [unrolled: 1-line block ×6, first 2 shown]
	v_add_u32_e32 v156, 0x61a8, v43
	v_add_u32_e32 v158, 0x61a0, v43
	;; [unrolled: 1-line block ×3, first 2 shown]
	ds_read2_b32 v[156:157], v156 offset1:1
	ds_read2_b32 v[158:159], v158 offset1:1
	;; [unrolled: 1-line block ×3, first 2 shown]
	v_mov_b32_e32 v166, 0
	s_waitcnt lgkmcnt(3)
	v_dot4c_i32_i8_e32 v166, v154, v18
	v_mov_b32_e32 v18, 0
	s_waitcnt lgkmcnt(1)
	v_dot4c_i32_i8_e32 v18, v158, v14
	v_mov_b32_e32 v14, 0
	v_dot4c_i32_i8_e32 v14, v146, v10
	v_dot4c_i32_i8_e32 v14, v147, v11
	v_mov_b32_e32 v11, 0
	v_dot4c_i32_i8_e32 v11, v150, v6
	v_dot4c_i32_i8_e32 v14, v160, v12
	;; [unrolled: 1-line block ×4, first 2 shown]
	v_bfe_i32 v10, v136, 8, 8
	v_dot4c_i32_i8_e32 v11, v148, v8
	v_dot4c_i32_i8_e32 v166, v155, v19
	v_mul_lo_u32 v10, v14, v10
	v_dot4c_i32_i8_e32 v11, v149, v9
	v_bfe_i32 v6, v136, 0, 8
	v_dot4c_i32_i8_e32 v166, v152, v20
	v_dot4c_i32_i8_e32 v18, v159, v15
	v_mad_u64_u32 v[6:7], s[2:3], v11, v6, v[10:11]
	v_dot4c_i32_i8_e32 v166, v153, v21
	v_dot4c_i32_i8_e32 v18, v156, v16
	v_cvt_f32_i32_e32 v8, v6
	v_ashrrev_i32_e32 v6, 24, v136
	v_dot4c_i32_i8_e32 v18, v157, v17
	v_bfe_i32 v7, v136, 16, 8
	v_mul_lo_u32 v6, v166, v6
	v_fma_f32 v2, v2, v8, 0
	v_mad_u64_u32 v[6:7], s[2:3], v18, v7, v[6:7]
	v_cvt_f32_i32_e32 v6, v6
	v_fmac_f32_e32 v165, v3, v132
	v_mov_b32_e32 v132, 0
	v_mov_b32_e32 v136, 0
	v_fmac_f32_e32 v2, v3, v6
	v_fmac_f32_e32 v27, v134, v2
	ds_read_b128 v[10:13], v37 offset:80
	ds_read_b128 v[6:9], v37 offset:64
	;; [unrolled: 1-line block ×4, first 2 shown]
	ds_read2_b32 v[2:3], v43 offset0:30 offset1:31
	ds_read2_b32 v[146:147], v43 offset0:28 offset1:29
	;; [unrolled: 1-line block ×6, first 2 shown]
	s_waitcnt lgkmcnt(4)
	v_dot4c_i32_i8_e32 v132, v146, v18
	v_dot4c_i32_i8_e32 v132, v147, v19
	;; [unrolled: 1-line block ×3, first 2 shown]
	v_mov_b32_e32 v2, 0
	s_waitcnt lgkmcnt(2)
	v_dot4c_i32_i8_e32 v2, v150, v10
	v_dot4c_i32_i8_e32 v2, v151, v11
	;; [unrolled: 1-line block ×5, first 2 shown]
	v_bfe_i32 v3, v135, 8, 8
	ds_read2_b32 v[156:157], v43 offset0:26 offset1:27
	ds_read2_b32 v[158:159], v43 offset0:24 offset1:25
	v_mul_lo_u32 v2, v2, v3
	v_mov_b32_e32 v3, 0
	s_waitcnt lgkmcnt(2)
	v_dot4c_i32_i8_e32 v3, v154, v6
	v_dot4c_i32_i8_e32 v3, v155, v7
	;; [unrolled: 1-line block ×4, first 2 shown]
	v_bfe_i32 v146, v135, 0, 8
	s_waitcnt lgkmcnt(0)
	v_dot4c_i32_i8_e32 v136, v158, v14
	v_dot4c_i32_i8_e32 v136, v159, v15
	v_mad_u64_u32 v[2:3], s[2:3], v3, v146, v[2:3]
	v_cvt_f32_i32_e32 v2, v2
	v_dot4c_i32_i8_e32 v136, v156, v16
	v_dot4c_i32_i8_e32 v136, v157, v17
	v_bfe_i32 v3, v135, 16, 8
	v_fma_f32 v160, v4, v2, 0
	v_ashrrev_i32_e32 v2, 24, v135
	v_mul_lo_u32 v2, v132, v2
	v_mad_u64_u32 v[2:3], s[2:3], v136, v3, v[2:3]
	v_cvt_f32_i32_e32 v132, v2
	v_add_u32_e32 v2, 0x20d0, v43
	v_add_u32_e32 v135, 0x20c8, v43
	;; [unrolled: 1-line block ×4, first 2 shown]
	ds_read2_b32 v[2:3], v2 offset1:1
	ds_read2_b32 v[146:147], v135 offset1:1
	;; [unrolled: 1-line block ×4, first 2 shown]
	v_add_u32_e32 v135, 0x20f0, v43
	ds_read2_b32 v[152:153], v135 offset1:1
	v_mov_b32_e32 v136, 0
	v_add_u32_e32 v154, 0x20e8, v43
	v_add_u32_e32 v156, 0x20e0, v43
	;; [unrolled: 1-line block ×3, first 2 shown]
	s_waitcnt lgkmcnt(0)
	v_dot4c_i32_i8_e32 v136, v152, v18
	v_dot4c_i32_i8_e32 v136, v153, v19
	;; [unrolled: 1-line block ×3, first 2 shown]
	v_mov_b32_e32 v150, 0
	v_dot4c_i32_i8_e32 v150, v2, v10
	ds_read2_b32 v[154:155], v154 offset1:1
	ds_read2_b32 v[156:157], v156 offset1:1
	;; [unrolled: 1-line block ×3, first 2 shown]
	v_dot4c_i32_i8_e32 v150, v3, v11
	v_mov_b32_e32 v3, 0
	v_dot4c_i32_i8_e32 v3, v148, v6
	v_dot4c_i32_i8_e32 v150, v162, v12
	;; [unrolled: 1-line block ×3, first 2 shown]
	v_mov_b32_e32 v135, 0
	v_dot4c_i32_i8_e32 v150, v163, v13
	v_bfe_i32 v2, v139, 8, 8
	v_dot4c_i32_i8_e32 v3, v146, v8
	s_waitcnt lgkmcnt(1)
	v_dot4c_i32_i8_e32 v135, v156, v14
	v_mul_lo_u32 v2, v150, v2
	v_dot4c_i32_i8_e32 v3, v147, v9
	v_bfe_i32 v146, v139, 0, 8
	v_dot4c_i32_i8_e32 v135, v157, v15
	v_dot4c_i32_i8_e32 v136, v151, v21
	v_mad_u64_u32 v[2:3], s[2:3], v3, v146, v[2:3]
	v_dot4c_i32_i8_e32 v135, v154, v16
	v_cvt_f32_i32_e32 v146, v2
	v_ashrrev_i32_e32 v2, 24, v139
	v_dot4c_i32_i8_e32 v135, v155, v17
	v_bfe_i32 v3, v139, 16, 8
	v_mul_lo_u32 v2, v136, v2
	v_fmac_f32_e32 v160, v5, v132
	v_mad_u64_u32 v[2:3], s[2:3], v135, v3, v[2:3]
	v_cvt_f32_i32_e32 v2, v2
	v_fma_f32 v3, v4, v146, 0
	v_fmac_f32_e32 v23, v25, v160
	v_add_u32_e32 v25, 0x4148, v43
	v_fmac_f32_e32 v3, v5, v2
	v_add_u32_e32 v2, 0x4150, v43
	v_add_u32_e32 v135, 0x4178, v43
	v_fmac_f32_e32 v142, v164, v3
	v_add_u32_e32 v132, 0x4140, v43
	ds_read2_b32 v[2:3], v2 offset1:1
	ds_read2_b32 v[146:147], v25 offset1:1
	ds_read2_b32 v[148:149], v132 offset1:1
	ds_read2_b32 v[150:151], v135 offset1:1
	v_add_u32_e32 v25, 0x4170, v43
	v_add_u32_e32 v135, 0x4168, v43
	v_add_u32_e32 v136, 0x4160, v43
	ds_read2_b32 v[152:153], v25 offset1:1
	v_add_u32_e32 v25, 0x61d8, v43
	ds_read2_b32 v[154:155], v135 offset1:1
	ds_read2_b32 v[156:157], v136 offset1:1
	ds_read2_b32 v[160:161], v25 offset1:1
	v_mov_b32_e32 v135, 0
	s_waitcnt lgkmcnt(7)
	v_dot4c_i32_i8_e32 v135, v2, v10
	v_dot4c_i32_i8_e32 v135, v3, v11
	v_mov_b32_e32 v3, 0
	s_waitcnt lgkmcnt(5)
	v_dot4c_i32_i8_e32 v3, v148, v6
	v_dot4c_i32_i8_e32 v135, v158, v12
	;; [unrolled: 1-line block ×4, first 2 shown]
	v_bfe_i32 v2, v133, 8, 8
	v_dot4c_i32_i8_e32 v3, v146, v8
	v_dot4c_i32_i8_e32 v3, v147, v9
	v_mul_lo_u32 v2, v135, v2
	v_bfe_i32 v135, v133, 0, 8
	v_mov_b32_e32 v132, 0
	v_mad_u64_u32 v[2:3], s[2:3], v3, v135, v[2:3]
	v_cvt_f32_i32_e32 v2, v2
	s_waitcnt lgkmcnt(3)
	v_dot4c_i32_i8_e32 v132, v152, v18
	v_mov_b32_e32 v25, 0
	v_dot4c_i32_i8_e32 v132, v153, v19
	s_waitcnt lgkmcnt(1)
	v_dot4c_i32_i8_e32 v25, v156, v14
	v_dot4c_i32_i8_e32 v132, v150, v20
	v_dot4c_i32_i8_e32 v25, v157, v15
	v_dot4c_i32_i8_e32 v132, v151, v21
	v_dot4c_i32_i8_e32 v25, v154, v16
	v_fma_f32 v135, v4, v2, 0
	v_ashrrev_i32_e32 v2, 24, v133
	v_dot4c_i32_i8_e32 v25, v155, v17
	v_bfe_i32 v3, v133, 16, 8
	v_mul_lo_u32 v2, v132, v2
	v_add_u32_e32 v132, 0x61c8, v43
	v_mad_u64_u32 v[2:3], s[2:3], v25, v3, v[2:3]
	v_cvt_f32_i32_e32 v25, v2
	v_add_u32_e32 v2, 0x61d0, v43
	v_add_u32_e32 v136, 0x61c0, v43
	;; [unrolled: 1-line block ×3, first 2 shown]
	ds_read2_b32 v[2:3], v2 offset1:1
	ds_read2_b32 v[132:133], v132 offset1:1
	ds_read2_b32 v[146:147], v136 offset1:1
	ds_read2_b32 v[148:149], v139 offset1:1
	v_add_u32_e32 v136, 0x61f0, v43
	ds_read2_b32 v[150:151], v136 offset1:1
	v_add_u32_e32 v136, 0x61e8, v43
	v_add_u32_e32 v154, 0x61e0, v43
	ds_read2_b32 v[152:153], v136 offset1:1
	ds_read2_b32 v[154:155], v154 offset1:1
	v_mov_b32_e32 v139, 0
	s_waitcnt lgkmcnt(2)
	v_dot4c_i32_i8_e32 v139, v150, v18
	v_mov_b32_e32 v18, 0
	v_dot4c_i32_i8_e32 v139, v151, v19
	s_waitcnt lgkmcnt(0)
	v_dot4c_i32_i8_e32 v18, v154, v14
	v_mov_b32_e32 v14, 0
	v_dot4c_i32_i8_e32 v14, v2, v10
	v_dot4c_i32_i8_e32 v14, v3, v11
	v_mov_b32_e32 v3, 0
	v_dot4c_i32_i8_e32 v3, v146, v6
	v_dot4c_i32_i8_e32 v14, v160, v12
	;; [unrolled: 1-line block ×4, first 2 shown]
	v_bfe_i32 v2, v137, 8, 8
	v_dot4c_i32_i8_e32 v3, v132, v8
	v_dot4c_i32_i8_e32 v3, v133, v9
	v_mul_lo_u32 v2, v14, v2
	v_bfe_i32 v6, v137, 0, 8
	v_dot4c_i32_i8_e32 v139, v148, v20
	v_dot4c_i32_i8_e32 v18, v155, v15
	v_mad_u64_u32 v[2:3], s[2:3], v3, v6, v[2:3]
	v_dot4c_i32_i8_e32 v139, v149, v21
	v_dot4c_i32_i8_e32 v18, v152, v16
	v_cvt_f32_i32_e32 v6, v2
	v_ashrrev_i32_e32 v2, 24, v137
	v_dot4c_i32_i8_e32 v18, v153, v17
	v_bfe_i32 v3, v137, 16, 8
	v_mul_lo_u32 v2, v139, v2
	v_fmac_f32_e32 v22, v138, v165
	v_mad_u64_u32 v[2:3], s[2:3], v18, v3, v[2:3]
	v_cvt_f32_i32_e32 v2, v2
	v_fma_f32 v3, v4, v6, 0
	v_fmac_f32_e32 v135, v5, v25
	v_fmac_f32_e32 v22, v138, v135
	;; [unrolled: 1-line block ×4, first 2 shown]
	s_cmp_ge_i32 s4, s5
	s_barrier
	s_cbranch_scc1 .LBB236_5
; %bb.13:                               ;   in Loop: Header=BB236_6 Depth=1
	v_cmp_gt_i32_e64 s[2:3], s8, v47
	s_and_b64 s[22:23], s[0:1], s[2:3]
	s_and_saveexec_b64 s[2:3], s[22:23]
	s_cbranch_execz .LBB236_15
; %bb.14:                               ;   in Loop: Header=BB236_6 Depth=1
	v_add_u32_e32 v2, v60, v47
	v_mad_i64_i32 v[2:3], s[22:23], v2, 36, v[58:59]
	global_load_dword v2, v[2:3], off offset:4
	s_waitcnt vmcnt(0)
	ds_write_b32 v31, v2
.LBB236_15:                             ;   in Loop: Header=BB236_6 Depth=1
	s_or_b64 exec, exec, s[2:3]
	s_and_saveexec_b64 s[22:23], vcc
	s_cbranch_execz .LBB236_4
; %bb.16:                               ;   in Loop: Header=BB236_6 Depth=1
	v_add_u32_e32 v2, 4, v24
	v_cmp_gt_i32_e64 s[2:3], s8, v2
	s_and_b64 s[2:3], s[0:1], s[2:3]
	s_and_b64 exec, exec, s[2:3]
	s_cbranch_execz .LBB236_4
; %bb.17:                               ;   in Loop: Header=BB236_6 Depth=1
	v_ashrrev_i32_e32 v25, 31, v24
	v_lshl_add_u64 v[2:3], v[60:61], 0, v[24:25]
	v_mad_u64_u32 v[4:5], s[2:3], v2, 36, s[20:21]
	v_mad_i32_i24 v5, v3, 36, v5
	global_load_dword v2, v[4:5], off
	s_waitcnt vmcnt(0)
	v_cvt_f32_f16_e32 v2, v2
	ds_write_b32 v33, v2
	s_branch .LBB236_4
.LBB236_18:
	v_mov_b32_e32 v22, 0
	v_mov_b32_e32 v142, 0
	;; [unrolled: 1-line block ×3, first 2 shown]
.LBB236_19:
	s_mul_i32 s0, s10, s7
	s_waitcnt vmcnt(0)
	v_cmp_gt_i32_e32 vcc, s0, v1
	s_and_saveexec_b64 s[0:1], vcc
	s_cbranch_execz .LBB236_28
; %bb.20:
	v_and_b32_e32 v0, 0x3ff, v0
	v_add_u32_e32 v2, s11, v0
	v_mul_lo_u32 v0, v1, s9
	v_cmp_gt_u32_e32 vcc, s9, v2
	s_and_saveexec_b64 s[0:1], vcc
	s_cbranch_execz .LBB236_22
; %bb.21:
	v_bfe_u32 v1, v23, 16, 1
	s_movk_i32 s2, 0x7fff
	v_add3_u32 v1, v23, v1, s2
	v_lshrrev_b32_e32 v1, 16, v1
	v_mov_b32_e32 v3, 0x7fc0
	v_cmp_o_f32_e32 vcc, v23, v23
	v_add_u32_e32 v4, v0, v2
	v_mov_b32_e32 v5, 0
	v_cndmask_b32_e32 v1, v3, v1, vcc
	v_lshl_add_u64 v[4:5], v[4:5], 1, s[16:17]
	global_store_short v[4:5], v1, off
.LBB236_22:
	s_or_b64 exec, exec, s[0:1]
	v_add_u32_e32 v1, 32, v2
	v_cmp_gt_u32_e32 vcc, s9, v1
	s_and_saveexec_b64 s[0:1], vcc
	s_cbranch_execz .LBB236_24
; %bb.23:
	v_bfe_u32 v3, v142, 16, 1
	s_movk_i32 s2, 0x7fff
	v_add3_u32 v3, v142, v3, s2
	v_lshrrev_b32_e32 v3, 16, v3
	v_mov_b32_e32 v4, 0x7fc0
	v_cmp_o_f32_e32 vcc, v142, v142
	v_mov_b32_e32 v5, 0
	s_nop 0
	v_cndmask_b32_e32 v3, v4, v3, vcc
	v_add_u32_e32 v4, v0, v1
	v_lshl_add_u64 v[4:5], v[4:5], 1, s[16:17]
	global_store_short v[4:5], v3, off
.LBB236_24:
	s_or_b64 exec, exec, s[0:1]
	v_add_u32_e32 v1, 64, v2
	v_cmp_gt_u32_e32 vcc, s9, v1
	s_and_saveexec_b64 s[0:1], vcc
	s_cbranch_execz .LBB236_26
; %bb.25:
	v_bfe_u32 v3, v22, 16, 1
	s_movk_i32 s2, 0x7fff
	v_add3_u32 v3, v22, v3, s2
	v_lshrrev_b32_e32 v3, 16, v3
	v_mov_b32_e32 v4, 0x7fc0
	v_cmp_o_f32_e32 vcc, v22, v22
	v_mov_b32_e32 v5, 0
	s_nop 0
	v_cndmask_b32_e32 v3, v4, v3, vcc
	v_add_u32_e32 v4, v0, v1
	v_lshl_add_u64 v[4:5], v[4:5], 1, s[16:17]
	global_store_short v[4:5], v3, off
.LBB236_26:
	s_or_b64 exec, exec, s[0:1]
	v_add_u32_e32 v1, 0x60, v2
	v_cmp_gt_u32_e32 vcc, s9, v1
	s_and_b64 exec, exec, vcc
	s_cbranch_execz .LBB236_28
; %bb.27:
	v_bfe_u32 v2, v27, 16, 1
	s_movk_i32 s0, 0x7fff
	v_add3_u32 v2, v27, v2, s0
	v_lshrrev_b32_e32 v2, 16, v2
	v_mov_b32_e32 v3, 0x7fc0
	v_cmp_o_f32_e32 vcc, v27, v27
	v_add_u32_e32 v0, v0, v1
	v_mov_b32_e32 v1, 0
	v_cndmask_b32_e32 v2, v3, v2, vcc
	v_lshl_add_u64 v[0:1], v[0:1], 1, s[16:17]
	global_store_short v[0:1], v2, off
.LBB236_28:
	s_endpgm
	.section	.rodata,"a",@progbits
	.p2align	6, 0x0
	.amdhsa_kernel _ZL8moe_q6_KIN3c108BFloat16ELb1EEvPKvS3_PT_PKiS7_S7_iiiiiii
		.amdhsa_group_segment_fixed_size 37072
		.amdhsa_private_segment_fixed_size 0
		.amdhsa_kernarg_size 76
		.amdhsa_user_sgpr_count 2
		.amdhsa_user_sgpr_dispatch_ptr 0
		.amdhsa_user_sgpr_queue_ptr 0
		.amdhsa_user_sgpr_kernarg_segment_ptr 1
		.amdhsa_user_sgpr_dispatch_id 0
		.amdhsa_user_sgpr_kernarg_preload_length 0
		.amdhsa_user_sgpr_kernarg_preload_offset 0
		.amdhsa_user_sgpr_private_segment_size 0
		.amdhsa_uses_dynamic_stack 0
		.amdhsa_enable_private_segment 0
		.amdhsa_system_sgpr_workgroup_id_x 1
		.amdhsa_system_sgpr_workgroup_id_y 1
		.amdhsa_system_sgpr_workgroup_id_z 0
		.amdhsa_system_sgpr_workgroup_info 0
		.amdhsa_system_vgpr_workitem_id 1
		.amdhsa_next_free_vgpr 167
		.amdhsa_next_free_sgpr 30
		.amdhsa_accum_offset 168
		.amdhsa_reserve_vcc 1
		.amdhsa_float_round_mode_32 0
		.amdhsa_float_round_mode_16_64 0
		.amdhsa_float_denorm_mode_32 3
		.amdhsa_float_denorm_mode_16_64 3
		.amdhsa_dx10_clamp 1
		.amdhsa_ieee_mode 1
		.amdhsa_fp16_overflow 0
		.amdhsa_tg_split 0
		.amdhsa_exception_fp_ieee_invalid_op 0
		.amdhsa_exception_fp_denorm_src 0
		.amdhsa_exception_fp_ieee_div_zero 0
		.amdhsa_exception_fp_ieee_overflow 0
		.amdhsa_exception_fp_ieee_underflow 0
		.amdhsa_exception_fp_ieee_inexact 0
		.amdhsa_exception_int_div_zero 0
	.end_amdhsa_kernel
	.section	.text._ZL8moe_q6_KIN3c108BFloat16ELb1EEvPKvS3_PT_PKiS7_S7_iiiiiii,"axG",@progbits,_ZL8moe_q6_KIN3c108BFloat16ELb1EEvPKvS3_PT_PKiS7_S7_iiiiiii,comdat
.Lfunc_end236:
	.size	_ZL8moe_q6_KIN3c108BFloat16ELb1EEvPKvS3_PT_PKiS7_S7_iiiiiii, .Lfunc_end236-_ZL8moe_q6_KIN3c108BFloat16ELb1EEvPKvS3_PT_PKiS7_S7_iiiiiii
                                        ; -- End function
	.section	.AMDGPU.csdata,"",@progbits
; Kernel info:
; codeLenInByte = 12432
; NumSgprs: 36
; NumVgprs: 167
; NumAgprs: 0
; TotalNumVgprs: 167
; ScratchSize: 0
; MemoryBound: 0
; FloatMode: 240
; IeeeMode: 1
; LDSByteSize: 37072 bytes/workgroup (compile time only)
; SGPRBlocks: 4
; VGPRBlocks: 20
; NumSGPRsForWavesPerEU: 36
; NumVGPRsForWavesPerEU: 167
; AccumOffset: 168
; Occupancy: 1
; WaveLimiterHint : 1
; COMPUTE_PGM_RSRC2:SCRATCH_EN: 0
; COMPUTE_PGM_RSRC2:USER_SGPR: 2
; COMPUTE_PGM_RSRC2:TRAP_HANDLER: 0
; COMPUTE_PGM_RSRC2:TGID_X_EN: 1
; COMPUTE_PGM_RSRC2:TGID_Y_EN: 1
; COMPUTE_PGM_RSRC2:TGID_Z_EN: 0
; COMPUTE_PGM_RSRC2:TIDIG_COMP_CNT: 1
; COMPUTE_PGM_RSRC3_GFX90A:ACCUM_OFFSET: 41
; COMPUTE_PGM_RSRC3_GFX90A:TG_SPLIT: 0
	.section	.text._ZL9moe_vec_qIfLi32ELi4E10block_q4_0Li2EXadL_ZL17vec_dot_q4_0_q8_1PKvPK10block_q8_1RKiEEEvS2_S2_PT_PS6_iiii,"axG",@progbits,_ZL9moe_vec_qIfLi32ELi4E10block_q4_0Li2EXadL_ZL17vec_dot_q4_0_q8_1PKvPK10block_q8_1RKiEEEvS2_S2_PT_PS6_iiii,comdat
	.globl	_ZL9moe_vec_qIfLi32ELi4E10block_q4_0Li2EXadL_ZL17vec_dot_q4_0_q8_1PKvPK10block_q8_1RKiEEEvS2_S2_PT_PS6_iiii ; -- Begin function _ZL9moe_vec_qIfLi32ELi4E10block_q4_0Li2EXadL_ZL17vec_dot_q4_0_q8_1PKvPK10block_q8_1RKiEEEvS2_S2_PT_PS6_iiii
	.p2align	8
	.type	_ZL9moe_vec_qIfLi32ELi4E10block_q4_0Li2EXadL_ZL17vec_dot_q4_0_q8_1PKvPK10block_q8_1RKiEEEvS2_S2_PT_PS6_iiii,@function
_ZL9moe_vec_qIfLi32ELi4E10block_q4_0Li2EXadL_ZL17vec_dot_q4_0_q8_1PKvPK10block_q8_1RKiEEEvS2_S2_PT_PS6_iiii: ; @_ZL9moe_vec_qIfLi32ELi4E10block_q4_0Li2EXadL_ZL17vec_dot_q4_0_q8_1PKvPK10block_q8_1RKiEEEvS2_S2_PT_PS6_iiii
; %bb.0:
	s_mov_b32 s8, s3
	s_load_dword s3, s[0:1], 0x3c
	s_load_dwordx4 s[4:7], s[0:1], 0x20
	v_bfe_u32 v1, v0, 10, 10
	s_waitcnt lgkmcnt(0)
	s_lshr_b32 s3, s3, 16
	s_mul_i32 s2, s2, s3
	v_add_u32_e32 v4, s2, v1
	v_cmp_gt_u32_e32 vcc, s6, v4
	s_and_saveexec_b64 s[2:3], vcc
	s_cbranch_execz .LBB237_7
; %bb.1:
	v_cvt_f32_u32_e32 v1, s4
	v_and_b32_e32 v5, 0x3ff, v0
	s_load_dwordx2 s[2:3], s[0:1], 0x10
	s_ashr_i32 s9, s5, 31
	v_rcp_iflag_f32_e32 v1, v1
	s_lshr_b32 s9, s9, 27
	s_add_i32 s5, s5, s9
	v_lshrrev_b32_e32 v6, 1, v5
	v_mul_f32_e32 v0, 0x4f7ffffe, v1
	v_cvt_u32_f32_e32 v0, v0
	s_ashr_i32 s14, s5, 5
	v_cmp_gt_u32_e32 vcc, s14, v6
	v_mov_b32_e32 v7, 0
	v_readfirstlane_b32 s5, v0
	s_and_saveexec_b64 s[10:11], vcc
	s_cbranch_execz .LBB237_5
; %bb.2:
	s_sub_i32 s12, 0, s4
	s_mul_i32 s15, s12, s5
	s_load_dwordx4 s[16:19], s[0:1], 0x0
	s_load_dwordx2 s[12:13], s[0:1], 0x18
	s_mov_b32 s9, 0
	s_mul_hi_u32 s0, s5, s15
	s_add_i32 s5, s5, s0
	s_lshl_b64 s[0:1], s[8:9], 2
	s_waitcnt lgkmcnt(0)
	s_add_u32 s0, s12, s0
	s_mul_hi_u32 s5, s8, s5
	s_addc_u32 s1, s13, s1
	s_load_dword s0, s[0:1], 0x0
	s_mul_i32 s1, s5, s4
	s_sub_i32 s1, s8, s1
	s_add_i32 s12, s5, 1
	s_sub_i32 s13, s1, s4
	s_cmp_ge_u32 s1, s4
	s_cselect_b32 s5, s12, s5
	s_cselect_b32 s1, s13, s1
	s_add_i32 s12, s5, 1
	s_cmp_ge_u32 s1, s4
	s_mul_i32 s1, s14, s6
	s_waitcnt lgkmcnt(0)
	s_mul_i32 s0, s1, s0
	s_cselect_b32 s4, s12, s5
	s_mul_hi_i32 s1, s0, 18
	s_mul_i32 s0, s0, 18
	s_add_u32 s0, s16, s0
	s_mul_i32 s4, s4, s7
	s_mov_b32 s5, s9
	s_addc_u32 s1, s17, s1
	s_lshl_b64 s[4:5], s[4:5], 2
	s_add_u32 s4, s18, s4
	v_lshlrev_b32_e32 v0, 3, v5
	v_mov_b32_e32 v1, 0
	s_addc_u32 s5, s19, s5
	v_mul_lo_u32 v8, v4, s14
	v_and_b32_e32 v0, 8, v0
	s_mov_b64 s[12:13], 0
	v_mov_b32_e32 v3, 4.0
	v_mov_b32_e32 v7, v1
.LBB237_3:                              ; =>This Inner Loop Header: Depth=1
	v_add_u32_e32 v2, v8, v6
	v_mad_i64_i32 v[10:11], s[16:17], v6, 36, s[4:5]
	v_mad_i64_i32 v[12:13], s[16:17], v2, 18, s[0:1]
	v_lshl_add_u64 v[14:15], v[10:11], 0, v[0:1]
	v_lshl_add_u64 v[16:17], v[12:13], 0, v[0:1]
	global_load_dwordx2 v[18:19], v[14:15], off offset:4
	global_load_dwordx2 v[20:21], v[14:15], off offset:20
	global_load_dword v2, v[16:17], off offset:2
	global_load_dword v9, v[16:17], off offset:6
	global_load_dword v22, v[10:11], off
	global_load_ushort v23, v[12:13], off
	v_mov_b32_e32 v12, 0
	v_add_u32_e32 v6, 32, v6
	v_cmp_le_u32_e32 vcc, s14, v6
	s_or_b64 s[12:13], vcc, s[12:13]
	s_waitcnt vmcnt(3)
	v_and_b32_e32 v13, 0xf0f0f0f, v2
	v_lshrrev_b32_e32 v2, 4, v2
	v_and_b32_e32 v2, 0xf0f0f0f, v2
	v_dot4c_i32_i8_e32 v12, v13, v18
	s_waitcnt vmcnt(2)
	v_and_b32_e32 v14, 0xf0f0f0f, v9
	v_lshrrev_b32_e32 v9, 4, v9
	v_dot4c_i32_i8_e32 v12, v2, v20
	v_and_b32_e32 v9, 0xf0f0f0f, v9
	v_dot4c_i32_i8_e32 v12, v14, v19
	v_dot4c_i32_i8_e32 v12, v9, v21
	s_waitcnt vmcnt(1)
	v_cvt_f32_f16_e32 v10, v22
	v_cvt_f32_f16_sdwa v11, v22 dst_sel:DWORD dst_unused:UNUSED_PAD src0_sel:WORD_1
	v_cvt_f32_i32_e32 v2, v12
	v_pk_mul_f32 v[10:11], v[2:3], v[10:11]
	s_nop 0
	v_sub_f32_e32 v2, v10, v11
	s_waitcnt vmcnt(0)
	v_fma_mix_f32 v7, v2, v23, v7 op_sel_hi:[0,1,0]
	s_andn2_b64 exec, exec, s[12:13]
	s_cbranch_execnz .LBB237_3
; %bb.4:
	s_or_b64 exec, exec, s[12:13]
.LBB237_5:
	s_or_b64 exec, exec, s[10:11]
	v_mbcnt_lo_u32_b32 v0, -1, 0
	v_mbcnt_hi_u32_b32 v1, -1, v0
	v_and_b32_e32 v0, 64, v1
	v_add_u32_e32 v2, 64, v0
	v_xor_b32_e32 v0, 32, v1
	v_cmp_lt_i32_e32 vcc, v0, v2
	v_xor_b32_e32 v3, 16, v1
	v_xor_b32_e32 v6, 8, v1
	v_cndmask_b32_e32 v0, v1, v0, vcc
	v_lshlrev_b32_e32 v0, 2, v0
	ds_bpermute_b32 v0, v0, v7
	v_cmp_lt_i32_e32 vcc, v3, v2
	s_waitcnt lgkmcnt(0)
	v_add_f32_e32 v0, v7, v0
	v_cndmask_b32_e32 v3, v1, v3, vcc
	v_lshlrev_b32_e32 v3, 2, v3
	ds_bpermute_b32 v3, v3, v0
	v_cmp_lt_i32_e32 vcc, v6, v2
	s_waitcnt lgkmcnt(0)
	v_add_f32_e32 v0, v0, v3
	v_cndmask_b32_e32 v3, v1, v6, vcc
	v_lshlrev_b32_e32 v3, 2, v3
	ds_bpermute_b32 v3, v3, v0
	v_xor_b32_e32 v6, 4, v1
	v_cmp_lt_i32_e32 vcc, v6, v2
	s_waitcnt lgkmcnt(0)
	v_add_f32_e32 v0, v0, v3
	v_cndmask_b32_e32 v3, v1, v6, vcc
	v_lshlrev_b32_e32 v3, 2, v3
	ds_bpermute_b32 v3, v3, v0
	v_xor_b32_e32 v6, 2, v1
	;; [unrolled: 7-line block ×3, first 2 shown]
	v_cmp_lt_i32_e32 vcc, v6, v2
	s_waitcnt lgkmcnt(0)
	v_add_f32_e32 v0, v0, v3
	v_cndmask_b32_e32 v1, v1, v6, vcc
	v_lshlrev_b32_e32 v1, 2, v1
	ds_bpermute_b32 v1, v1, v0
	v_cmp_eq_u32_e32 vcc, 0, v5
	s_and_b64 exec, exec, vcc
	s_cbranch_execz .LBB237_7
; %bb.6:
	s_mul_i32 s0, s8, s6
	s_waitcnt lgkmcnt(0)
	v_add_f32_e32 v2, v0, v1
	v_add_u32_e32 v0, s0, v4
	v_mov_b32_e32 v1, 0
	v_lshl_add_u64 v[0:1], v[0:1], 2, s[2:3]
	global_store_dword v[0:1], v2, off
.LBB237_7:
	s_endpgm
	.section	.rodata,"a",@progbits
	.p2align	6, 0x0
	.amdhsa_kernel _ZL9moe_vec_qIfLi32ELi4E10block_q4_0Li2EXadL_ZL17vec_dot_q4_0_q8_1PKvPK10block_q8_1RKiEEEvS2_S2_PT_PS6_iiii
		.amdhsa_group_segment_fixed_size 0
		.amdhsa_private_segment_fixed_size 0
		.amdhsa_kernarg_size 304
		.amdhsa_user_sgpr_count 2
		.amdhsa_user_sgpr_dispatch_ptr 0
		.amdhsa_user_sgpr_queue_ptr 0
		.amdhsa_user_sgpr_kernarg_segment_ptr 1
		.amdhsa_user_sgpr_dispatch_id 0
		.amdhsa_user_sgpr_kernarg_preload_length 0
		.amdhsa_user_sgpr_kernarg_preload_offset 0
		.amdhsa_user_sgpr_private_segment_size 0
		.amdhsa_uses_dynamic_stack 0
		.amdhsa_enable_private_segment 0
		.amdhsa_system_sgpr_workgroup_id_x 1
		.amdhsa_system_sgpr_workgroup_id_y 0
		.amdhsa_system_sgpr_workgroup_id_z 1
		.amdhsa_system_sgpr_workgroup_info 0
		.amdhsa_system_vgpr_workitem_id 1
		.amdhsa_next_free_vgpr 24
		.amdhsa_next_free_sgpr 20
		.amdhsa_accum_offset 24
		.amdhsa_reserve_vcc 1
		.amdhsa_float_round_mode_32 0
		.amdhsa_float_round_mode_16_64 0
		.amdhsa_float_denorm_mode_32 3
		.amdhsa_float_denorm_mode_16_64 3
		.amdhsa_dx10_clamp 1
		.amdhsa_ieee_mode 1
		.amdhsa_fp16_overflow 0
		.amdhsa_tg_split 0
		.amdhsa_exception_fp_ieee_invalid_op 0
		.amdhsa_exception_fp_denorm_src 0
		.amdhsa_exception_fp_ieee_div_zero 0
		.amdhsa_exception_fp_ieee_overflow 0
		.amdhsa_exception_fp_ieee_underflow 0
		.amdhsa_exception_fp_ieee_inexact 0
		.amdhsa_exception_int_div_zero 0
	.end_amdhsa_kernel
	.section	.text._ZL9moe_vec_qIfLi32ELi4E10block_q4_0Li2EXadL_ZL17vec_dot_q4_0_q8_1PKvPK10block_q8_1RKiEEEvS2_S2_PT_PS6_iiii,"axG",@progbits,_ZL9moe_vec_qIfLi32ELi4E10block_q4_0Li2EXadL_ZL17vec_dot_q4_0_q8_1PKvPK10block_q8_1RKiEEEvS2_S2_PT_PS6_iiii,comdat
.Lfunc_end237:
	.size	_ZL9moe_vec_qIfLi32ELi4E10block_q4_0Li2EXadL_ZL17vec_dot_q4_0_q8_1PKvPK10block_q8_1RKiEEEvS2_S2_PT_PS6_iiii, .Lfunc_end237-_ZL9moe_vec_qIfLi32ELi4E10block_q4_0Li2EXadL_ZL17vec_dot_q4_0_q8_1PKvPK10block_q8_1RKiEEEvS2_S2_PT_PS6_iiii
                                        ; -- End function
	.section	.AMDGPU.csdata,"",@progbits
; Kernel info:
; codeLenInByte = 804
; NumSgprs: 26
; NumVgprs: 24
; NumAgprs: 0
; TotalNumVgprs: 24
; ScratchSize: 0
; MemoryBound: 0
; FloatMode: 240
; IeeeMode: 1
; LDSByteSize: 0 bytes/workgroup (compile time only)
; SGPRBlocks: 3
; VGPRBlocks: 2
; NumSGPRsForWavesPerEU: 26
; NumVGPRsForWavesPerEU: 24
; AccumOffset: 24
; Occupancy: 8
; WaveLimiterHint : 1
; COMPUTE_PGM_RSRC2:SCRATCH_EN: 0
; COMPUTE_PGM_RSRC2:USER_SGPR: 2
; COMPUTE_PGM_RSRC2:TRAP_HANDLER: 0
; COMPUTE_PGM_RSRC2:TGID_X_EN: 1
; COMPUTE_PGM_RSRC2:TGID_Y_EN: 0
; COMPUTE_PGM_RSRC2:TGID_Z_EN: 1
; COMPUTE_PGM_RSRC2:TIDIG_COMP_CNT: 1
; COMPUTE_PGM_RSRC3_GFX90A:ACCUM_OFFSET: 5
; COMPUTE_PGM_RSRC3_GFX90A:TG_SPLIT: 0
	.section	.text._ZL9moe_vec_qIfLi32ELi4E10block_q4_1Li2EXadL_ZL17vec_dot_q4_1_q8_1PKvPK10block_q8_1RKiEEEvS2_S2_PT_PS6_iiii,"axG",@progbits,_ZL9moe_vec_qIfLi32ELi4E10block_q4_1Li2EXadL_ZL17vec_dot_q4_1_q8_1PKvPK10block_q8_1RKiEEEvS2_S2_PT_PS6_iiii,comdat
	.globl	_ZL9moe_vec_qIfLi32ELi4E10block_q4_1Li2EXadL_ZL17vec_dot_q4_1_q8_1PKvPK10block_q8_1RKiEEEvS2_S2_PT_PS6_iiii ; -- Begin function _ZL9moe_vec_qIfLi32ELi4E10block_q4_1Li2EXadL_ZL17vec_dot_q4_1_q8_1PKvPK10block_q8_1RKiEEEvS2_S2_PT_PS6_iiii
	.p2align	8
	.type	_ZL9moe_vec_qIfLi32ELi4E10block_q4_1Li2EXadL_ZL17vec_dot_q4_1_q8_1PKvPK10block_q8_1RKiEEEvS2_S2_PT_PS6_iiii,@function
_ZL9moe_vec_qIfLi32ELi4E10block_q4_1Li2EXadL_ZL17vec_dot_q4_1_q8_1PKvPK10block_q8_1RKiEEEvS2_S2_PT_PS6_iiii: ; @_ZL9moe_vec_qIfLi32ELi4E10block_q4_1Li2EXadL_ZL17vec_dot_q4_1_q8_1PKvPK10block_q8_1RKiEEEvS2_S2_PT_PS6_iiii
; %bb.0:
	s_mov_b32 s8, s3
	s_load_dword s3, s[0:1], 0x3c
	s_load_dwordx4 s[4:7], s[0:1], 0x20
	v_bfe_u32 v1, v0, 10, 10
	s_waitcnt lgkmcnt(0)
	s_lshr_b32 s3, s3, 16
	s_mul_i32 s2, s2, s3
	v_add_u32_e32 v2, s2, v1
	v_cmp_gt_u32_e32 vcc, s6, v2
	s_and_saveexec_b64 s[2:3], vcc
	s_cbranch_execz .LBB238_7
; %bb.1:
	v_cvt_f32_u32_e32 v1, s4
	v_and_b32_e32 v3, 0x3ff, v0
	s_load_dwordx2 s[2:3], s[0:1], 0x10
	s_ashr_i32 s9, s5, 31
	v_rcp_iflag_f32_e32 v1, v1
	s_lshr_b32 s9, s9, 27
	s_add_i32 s5, s5, s9
	v_lshrrev_b32_e32 v4, 1, v3
	v_mul_f32_e32 v0, 0x4f7ffffe, v1
	v_cvt_u32_f32_e32 v0, v0
	s_ashr_i32 s14, s5, 5
	v_cmp_gt_u32_e32 vcc, s14, v4
	v_mov_b32_e32 v5, 0
	v_readfirstlane_b32 s5, v0
	s_and_saveexec_b64 s[10:11], vcc
	s_cbranch_execz .LBB238_5
; %bb.2:
	s_sub_i32 s12, 0, s4
	s_mul_i32 s15, s12, s5
	s_load_dwordx4 s[16:19], s[0:1], 0x0
	s_load_dwordx2 s[12:13], s[0:1], 0x18
	s_mov_b32 s9, 0
	s_mul_hi_u32 s0, s5, s15
	s_add_i32 s5, s5, s0
	s_lshl_b64 s[0:1], s[8:9], 2
	s_waitcnt lgkmcnt(0)
	s_add_u32 s0, s12, s0
	s_mul_hi_u32 s5, s8, s5
	s_addc_u32 s1, s13, s1
	s_load_dword s0, s[0:1], 0x0
	s_mul_i32 s1, s5, s4
	s_sub_i32 s1, s8, s1
	s_add_i32 s12, s5, 1
	s_sub_i32 s13, s1, s4
	s_cmp_ge_u32 s1, s4
	s_cselect_b32 s5, s12, s5
	s_cselect_b32 s1, s13, s1
	s_add_i32 s12, s5, 1
	s_cmp_ge_u32 s1, s4
	s_mul_i32 s1, s14, s6
	s_waitcnt lgkmcnt(0)
	s_mul_i32 s0, s1, s0
	s_cselect_b32 s4, s12, s5
	s_mul_hi_i32 s1, s0, 20
	s_mul_i32 s0, s0, 20
	s_add_u32 s0, s16, s0
	s_mul_i32 s4, s4, s7
	s_mov_b32 s5, s9
	s_addc_u32 s1, s17, s1
	s_lshl_b64 s[4:5], s[4:5], 2
	s_add_u32 s4, s18, s4
	v_lshlrev_b32_e32 v0, 3, v3
	v_mov_b32_e32 v1, 0
	s_addc_u32 s5, s19, s5
	v_mul_lo_u32 v6, v2, s14
	v_and_b32_e32 v0, 8, v0
	s_mov_b64 s[12:13], 0
	s_mov_b32 s7, 0.5
	v_mov_b32_e32 v5, v1
.LBB238_3:                              ; =>This Inner Loop Header: Depth=1
	v_add_u32_e32 v7, v6, v4
	v_mad_i64_i32 v[8:9], s[16:17], v4, 36, s[4:5]
	v_mad_i64_i32 v[10:11], s[16:17], v7, 20, s[0:1]
	v_lshl_add_u64 v[12:13], v[8:9], 0, v[0:1]
	global_load_dword v7, v[8:9], off
	v_lshl_add_u64 v[8:9], v[10:11], 0, v[0:1]
	global_load_dwordx2 v[14:15], v[12:13], off offset:4
	global_load_dwordx2 v[16:17], v[12:13], off offset:20
	;; [unrolled: 1-line block ×3, first 2 shown]
	global_load_dword v20, v[10:11], off
	v_mov_b32_e32 v8, 0
	v_add_u32_e32 v4, 32, v4
	v_cmp_le_u32_e32 vcc, s14, v4
	s_or_b64 s[12:13], vcc, s[12:13]
	s_waitcnt vmcnt(1)
	v_and_b32_e32 v9, 0xf0f0f0f, v18
	v_lshrrev_b32_e32 v10, 4, v18
	v_and_b32_e32 v10, 0xf0f0f0f, v10
	v_dot4c_i32_i8_e32 v8, v9, v14
	v_and_b32_e32 v11, 0xf0f0f0f, v19
	v_lshrrev_b32_e32 v12, 4, v19
	v_dot4c_i32_i8_e32 v8, v10, v16
	v_and_b32_e32 v9, 0xf0f0f0f, v12
	v_dot4c_i32_i8_e32 v8, v11, v15
	s_waitcnt vmcnt(0)
	v_pk_mul_f16 v7, v20, v7
	v_dot4c_i32_i8_e32 v8, v9, v17
	v_cvt_f32_f16_e32 v13, v7
	s_nop 1
	v_cvt_f32_i32_e32 v8, v8
	v_mul_f32_e32 v8, v8, v13
	v_fma_mix_f32 v7, v7, s7, v8 op_sel:[1,0,0] op_sel_hi:[1,0,0]
	s_nop 0
	v_add_f32_e32 v5, v5, v7
	s_andn2_b64 exec, exec, s[12:13]
	s_cbranch_execnz .LBB238_3
; %bb.4:
	s_or_b64 exec, exec, s[12:13]
.LBB238_5:
	s_or_b64 exec, exec, s[10:11]
	v_mbcnt_lo_u32_b32 v0, -1, 0
	v_mbcnt_hi_u32_b32 v1, -1, v0
	v_and_b32_e32 v0, 64, v1
	v_add_u32_e32 v4, 64, v0
	v_xor_b32_e32 v0, 32, v1
	v_cmp_lt_i32_e32 vcc, v0, v4
	v_xor_b32_e32 v6, 16, v1
	s_nop 0
	v_cndmask_b32_e32 v0, v1, v0, vcc
	v_lshlrev_b32_e32 v0, 2, v0
	ds_bpermute_b32 v0, v0, v5
	v_cmp_lt_i32_e32 vcc, v6, v4
	s_waitcnt lgkmcnt(0)
	v_add_f32_e32 v0, v5, v0
	v_cndmask_b32_e32 v5, v1, v6, vcc
	v_lshlrev_b32_e32 v5, 2, v5
	ds_bpermute_b32 v5, v5, v0
	v_xor_b32_e32 v6, 8, v1
	v_cmp_lt_i32_e32 vcc, v6, v4
	s_waitcnt lgkmcnt(0)
	v_add_f32_e32 v0, v0, v5
	v_cndmask_b32_e32 v5, v1, v6, vcc
	v_lshlrev_b32_e32 v5, 2, v5
	ds_bpermute_b32 v5, v5, v0
	v_xor_b32_e32 v6, 4, v1
	;; [unrolled: 7-line block ×4, first 2 shown]
	v_cmp_lt_i32_e32 vcc, v6, v4
	s_waitcnt lgkmcnt(0)
	v_add_f32_e32 v0, v0, v5
	v_cndmask_b32_e32 v1, v1, v6, vcc
	v_lshlrev_b32_e32 v1, 2, v1
	ds_bpermute_b32 v1, v1, v0
	v_cmp_eq_u32_e32 vcc, 0, v3
	s_and_b64 exec, exec, vcc
	s_cbranch_execz .LBB238_7
; %bb.6:
	s_mul_i32 s0, s8, s6
	s_waitcnt lgkmcnt(0)
	v_add_f32_e32 v3, v0, v1
	v_add_u32_e32 v0, s0, v2
	v_mov_b32_e32 v1, 0
	v_lshl_add_u64 v[0:1], v[0:1], 2, s[2:3]
	global_store_dword v[0:1], v3, off
.LBB238_7:
	s_endpgm
	.section	.rodata,"a",@progbits
	.p2align	6, 0x0
	.amdhsa_kernel _ZL9moe_vec_qIfLi32ELi4E10block_q4_1Li2EXadL_ZL17vec_dot_q4_1_q8_1PKvPK10block_q8_1RKiEEEvS2_S2_PT_PS6_iiii
		.amdhsa_group_segment_fixed_size 0
		.amdhsa_private_segment_fixed_size 0
		.amdhsa_kernarg_size 304
		.amdhsa_user_sgpr_count 2
		.amdhsa_user_sgpr_dispatch_ptr 0
		.amdhsa_user_sgpr_queue_ptr 0
		.amdhsa_user_sgpr_kernarg_segment_ptr 1
		.amdhsa_user_sgpr_dispatch_id 0
		.amdhsa_user_sgpr_kernarg_preload_length 0
		.amdhsa_user_sgpr_kernarg_preload_offset 0
		.amdhsa_user_sgpr_private_segment_size 0
		.amdhsa_uses_dynamic_stack 0
		.amdhsa_enable_private_segment 0
		.amdhsa_system_sgpr_workgroup_id_x 1
		.amdhsa_system_sgpr_workgroup_id_y 0
		.amdhsa_system_sgpr_workgroup_id_z 1
		.amdhsa_system_sgpr_workgroup_info 0
		.amdhsa_system_vgpr_workitem_id 1
		.amdhsa_next_free_vgpr 21
		.amdhsa_next_free_sgpr 20
		.amdhsa_accum_offset 24
		.amdhsa_reserve_vcc 1
		.amdhsa_float_round_mode_32 0
		.amdhsa_float_round_mode_16_64 0
		.amdhsa_float_denorm_mode_32 3
		.amdhsa_float_denorm_mode_16_64 3
		.amdhsa_dx10_clamp 1
		.amdhsa_ieee_mode 1
		.amdhsa_fp16_overflow 0
		.amdhsa_tg_split 0
		.amdhsa_exception_fp_ieee_invalid_op 0
		.amdhsa_exception_fp_denorm_src 0
		.amdhsa_exception_fp_ieee_div_zero 0
		.amdhsa_exception_fp_ieee_overflow 0
		.amdhsa_exception_fp_ieee_underflow 0
		.amdhsa_exception_fp_ieee_inexact 0
		.amdhsa_exception_int_div_zero 0
	.end_amdhsa_kernel
	.section	.text._ZL9moe_vec_qIfLi32ELi4E10block_q4_1Li2EXadL_ZL17vec_dot_q4_1_q8_1PKvPK10block_q8_1RKiEEEvS2_S2_PT_PS6_iiii,"axG",@progbits,_ZL9moe_vec_qIfLi32ELi4E10block_q4_1Li2EXadL_ZL17vec_dot_q4_1_q8_1PKvPK10block_q8_1RKiEEEvS2_S2_PT_PS6_iiii,comdat
.Lfunc_end238:
	.size	_ZL9moe_vec_qIfLi32ELi4E10block_q4_1Li2EXadL_ZL17vec_dot_q4_1_q8_1PKvPK10block_q8_1RKiEEEvS2_S2_PT_PS6_iiii, .Lfunc_end238-_ZL9moe_vec_qIfLi32ELi4E10block_q4_1Li2EXadL_ZL17vec_dot_q4_1_q8_1PKvPK10block_q8_1RKiEEEvS2_S2_PT_PS6_iiii
                                        ; -- End function
	.section	.AMDGPU.csdata,"",@progbits
; Kernel info:
; codeLenInByte = 792
; NumSgprs: 26
; NumVgprs: 21
; NumAgprs: 0
; TotalNumVgprs: 21
; ScratchSize: 0
; MemoryBound: 0
; FloatMode: 240
; IeeeMode: 1
; LDSByteSize: 0 bytes/workgroup (compile time only)
; SGPRBlocks: 3
; VGPRBlocks: 2
; NumSGPRsForWavesPerEU: 26
; NumVGPRsForWavesPerEU: 21
; AccumOffset: 24
; Occupancy: 8
; WaveLimiterHint : 1
; COMPUTE_PGM_RSRC2:SCRATCH_EN: 0
; COMPUTE_PGM_RSRC2:USER_SGPR: 2
; COMPUTE_PGM_RSRC2:TRAP_HANDLER: 0
; COMPUTE_PGM_RSRC2:TGID_X_EN: 1
; COMPUTE_PGM_RSRC2:TGID_Y_EN: 0
; COMPUTE_PGM_RSRC2:TGID_Z_EN: 1
; COMPUTE_PGM_RSRC2:TIDIG_COMP_CNT: 1
; COMPUTE_PGM_RSRC3_GFX90A:ACCUM_OFFSET: 5
; COMPUTE_PGM_RSRC3_GFX90A:TG_SPLIT: 0
	.section	.text._ZL9moe_vec_qIfLi32ELi4E10block_q5_0Li2EXadL_ZL17vec_dot_q5_0_q8_1PKvPK10block_q8_1RKiEEEvS2_S2_PT_PS6_iiii,"axG",@progbits,_ZL9moe_vec_qIfLi32ELi4E10block_q5_0Li2EXadL_ZL17vec_dot_q5_0_q8_1PKvPK10block_q8_1RKiEEEvS2_S2_PT_PS6_iiii,comdat
	.globl	_ZL9moe_vec_qIfLi32ELi4E10block_q5_0Li2EXadL_ZL17vec_dot_q5_0_q8_1PKvPK10block_q8_1RKiEEEvS2_S2_PT_PS6_iiii ; -- Begin function _ZL9moe_vec_qIfLi32ELi4E10block_q5_0Li2EXadL_ZL17vec_dot_q5_0_q8_1PKvPK10block_q8_1RKiEEEvS2_S2_PT_PS6_iiii
	.p2align	8
	.type	_ZL9moe_vec_qIfLi32ELi4E10block_q5_0Li2EXadL_ZL17vec_dot_q5_0_q8_1PKvPK10block_q8_1RKiEEEvS2_S2_PT_PS6_iiii,@function
_ZL9moe_vec_qIfLi32ELi4E10block_q5_0Li2EXadL_ZL17vec_dot_q5_0_q8_1PKvPK10block_q8_1RKiEEEvS2_S2_PT_PS6_iiii: ; @_ZL9moe_vec_qIfLi32ELi4E10block_q5_0Li2EXadL_ZL17vec_dot_q5_0_q8_1PKvPK10block_q8_1RKiEEEvS2_S2_PT_PS6_iiii
; %bb.0:
	s_mov_b32 s8, s3
	s_load_dword s3, s[0:1], 0x3c
	s_load_dwordx4 s[4:7], s[0:1], 0x20
	v_bfe_u32 v1, v0, 10, 10
	s_waitcnt lgkmcnt(0)
	s_lshr_b32 s3, s3, 16
	s_mul_i32 s2, s2, s3
	v_add_u32_e32 v4, s2, v1
	v_cmp_gt_u32_e32 vcc, s6, v4
	s_and_saveexec_b64 s[2:3], vcc
	s_cbranch_execz .LBB239_7
; %bb.1:
	v_cvt_f32_u32_e32 v1, s4
	v_and_b32_e32 v5, 0x3ff, v0
	s_load_dwordx2 s[2:3], s[0:1], 0x10
	s_ashr_i32 s9, s5, 31
	v_rcp_iflag_f32_e32 v1, v1
	s_lshr_b32 s9, s9, 27
	s_add_i32 s5, s5, s9
	v_lshrrev_b32_e32 v6, 1, v5
	v_mul_f32_e32 v0, 0x4f7ffffe, v1
	v_cvt_u32_f32_e32 v0, v0
	s_ashr_i32 s14, s5, 5
	v_cmp_gt_u32_e32 vcc, s14, v6
	v_mov_b32_e32 v7, 0
	v_readfirstlane_b32 s5, v0
	s_and_saveexec_b64 s[10:11], vcc
	s_cbranch_execz .LBB239_5
; %bb.2:
	s_sub_i32 s12, 0, s4
	s_mul_i32 s15, s12, s5
	s_load_dwordx4 s[16:19], s[0:1], 0x0
	s_load_dwordx2 s[12:13], s[0:1], 0x18
	s_mov_b32 s9, 0
	s_mul_hi_u32 s0, s5, s15
	s_add_i32 s5, s5, s0
	s_lshl_b64 s[0:1], s[8:9], 2
	s_waitcnt lgkmcnt(0)
	s_add_u32 s0, s12, s0
	s_mul_hi_u32 s5, s8, s5
	s_addc_u32 s1, s13, s1
	s_load_dword s0, s[0:1], 0x0
	s_mul_i32 s1, s5, s4
	s_sub_i32 s1, s8, s1
	s_add_i32 s12, s5, 1
	s_sub_i32 s13, s1, s4
	s_cmp_ge_u32 s1, s4
	s_cselect_b32 s5, s12, s5
	s_cselect_b32 s1, s13, s1
	s_add_i32 s12, s5, 1
	s_cmp_ge_u32 s1, s4
	s_mul_i32 s1, s14, s6
	s_waitcnt lgkmcnt(0)
	s_mul_i32 s0, s1, s0
	s_cselect_b32 s4, s12, s5
	s_mul_hi_i32 s1, s0, 22
	s_mul_i32 s0, s0, 22
	s_add_u32 s0, s16, s0
	s_mul_i32 s4, s4, s7
	s_mov_b32 s5, s9
	s_addc_u32 s1, s17, s1
	s_lshl_b64 s[4:5], s[4:5], 2
	v_lshlrev_b32_e32 v0, 3, v5
	s_add_u32 s4, s18, s4
	v_and_b32_e32 v0, 8, v0
	v_mov_b32_e32 v1, 0
	s_addc_u32 s5, s19, s5
	v_mul_lo_u32 v8, v4, s14
	v_or_b32_e32 v9, 4, v0
	s_mov_b64 s[12:13], 0
	s_mov_b32 s7, 0x1000706
	v_mov_b32_e32 v3, 0x41000000
	v_mov_b32_e32 v7, v1
.LBB239_3:                              ; =>This Inner Loop Header: Depth=1
	v_add_u32_e32 v2, v8, v6
	v_mad_i64_i32 v[12:13], s[16:17], v2, 22, s[0:1]
	v_mad_i64_i32 v[10:11], s[16:17], v6, 36, s[4:5]
	global_load_dword v20, v[12:13], off
	global_load_ushort v2, v[12:13], off offset:4
	v_lshl_add_u64 v[14:15], v[10:11], 0, v[0:1]
	v_lshl_add_u64 v[12:13], v[12:13], 0, v[0:1]
	global_load_dwordx2 v[16:17], v[14:15], off offset:4
	global_load_dwordx2 v[18:19], v[14:15], off offset:20
	global_load_dword v21, v[12:13], off offset:6
	global_load_dword v22, v[12:13], off offset:10
	global_load_dword v23, v[10:11], off
	v_mov_b32_e32 v12, 0
	v_add_u32_e32 v6, 32, v6
	v_cmp_le_u32_e32 vcc, s14, v6
	s_or_b64 s[12:13], vcc, s[12:13]
	s_waitcnt vmcnt(5)
	v_perm_b32 v2, v20, v2, s7
	v_ashrrev_i32_e32 v13, v0, v2
	v_lshlrev_b32_e32 v24, 11, v13
	s_waitcnt vmcnt(0)
	v_cvt_f32_f16_e32 v10, v23
	v_cvt_f32_f16_sdwa v11, v23 dst_sel:DWORD dst_unused:UNUSED_PAD src0_sel:WORD_1
	v_lshlrev_b32_e32 v23, 4, v13
	v_ashrrev_i32_e32 v2, v9, v2
	v_and_b32_e32 v14, 0xf0f0f0f, v21
	v_lshlrev_b32_e32 v25, 18, v13
	v_lshlrev_b32_e32 v26, 25, v13
	v_lshrrev_b32_e32 v27, 12, v13
	v_lshrrev_b32_e32 v28, 5, v13
	v_lshlrev_b32_e32 v29, 2, v13
	v_and_b32_e32 v23, 16, v23
	v_and_b32_e32 v24, 0x1000, v24
	v_lshrrev_b32_e32 v15, 4, v21
	v_lshlrev_b32_e32 v13, 9, v13
	v_lshlrev_b32_e32 v30, 4, v2
	;; [unrolled: 1-line block ×4, first 2 shown]
	v_and_b32_e32 v25, 0x100000, v25
	v_and_b32_e32 v26, 0x10000000, v26
	;; [unrolled: 1-line block ×5, first 2 shown]
	v_or3_b32 v14, v23, v14, v24
	v_and_b32_e32 v15, 0xf0f0f0f, v15
	v_lshlrev_b32_e32 v33, 25, v2
	v_lshrrev_b32_e32 v34, 12, v2
	v_lshrrev_b32_e32 v35, 5, v2
	v_lshlrev_b32_e32 v36, 2, v2
	v_and_b32_e32 v13, 0x10000000, v13
	v_and_b32_e32 v30, 16, v30
	;; [unrolled: 1-line block ×4, first 2 shown]
	v_or3_b32 v23, v28, v27, v29
	v_or3_b32 v14, v14, v25, v26
	v_and_b32_e32 v21, 0xf0f0f0f, v22
	v_lshrrev_b32_e32 v22, 4, v22
	v_lshlrev_b32_e32 v2, 9, v2
	v_and_b32_e32 v33, 0x10000000, v33
	v_and_b32_e32 v34, 16, v34
	;; [unrolled: 1-line block ×4, first 2 shown]
	v_or3_b32 v24, v31, v30, v32
	v_or3_b32 v13, v23, v13, v15
	v_dot4c_i32_i8_e32 v12, v14, v16
	v_and_b32_e32 v22, 0xf0f0f0f, v22
	v_and_b32_e32 v2, 0x10000000, v2
	v_or3_b32 v27, v35, v34, v36
	v_or3_b32 v15, v24, v33, v21
	v_dot4c_i32_i8_e32 v12, v13, v18
	v_or3_b32 v2, v27, v2, v22
	v_dot4c_i32_i8_e32 v12, v15, v17
	v_dot4c_i32_i8_e32 v12, v2, v19
	s_nop 2
	v_cvt_f32_i32_e32 v2, v12
	v_pk_mul_f32 v[10:11], v[2:3], v[10:11]
	s_nop 0
	v_sub_f32_e32 v2, v10, v11
	v_fma_mix_f32 v7, v2, v20, v7 op_sel_hi:[0,1,0]
	s_andn2_b64 exec, exec, s[12:13]
	s_cbranch_execnz .LBB239_3
; %bb.4:
	s_or_b64 exec, exec, s[12:13]
.LBB239_5:
	s_or_b64 exec, exec, s[10:11]
	v_mbcnt_lo_u32_b32 v0, -1, 0
	v_mbcnt_hi_u32_b32 v1, -1, v0
	v_and_b32_e32 v0, 64, v1
	v_add_u32_e32 v2, 64, v0
	v_xor_b32_e32 v0, 32, v1
	v_cmp_lt_i32_e32 vcc, v0, v2
	v_xor_b32_e32 v3, 16, v1
	v_xor_b32_e32 v6, 8, v1
	v_cndmask_b32_e32 v0, v1, v0, vcc
	v_lshlrev_b32_e32 v0, 2, v0
	ds_bpermute_b32 v0, v0, v7
	v_cmp_lt_i32_e32 vcc, v3, v2
	s_waitcnt lgkmcnt(0)
	v_add_f32_e32 v0, v7, v0
	v_cndmask_b32_e32 v3, v1, v3, vcc
	v_lshlrev_b32_e32 v3, 2, v3
	ds_bpermute_b32 v3, v3, v0
	v_cmp_lt_i32_e32 vcc, v6, v2
	s_waitcnt lgkmcnt(0)
	v_add_f32_e32 v0, v0, v3
	v_cndmask_b32_e32 v3, v1, v6, vcc
	v_lshlrev_b32_e32 v3, 2, v3
	ds_bpermute_b32 v3, v3, v0
	v_xor_b32_e32 v6, 4, v1
	v_cmp_lt_i32_e32 vcc, v6, v2
	s_waitcnt lgkmcnt(0)
	v_add_f32_e32 v0, v0, v3
	v_cndmask_b32_e32 v3, v1, v6, vcc
	v_lshlrev_b32_e32 v3, 2, v3
	ds_bpermute_b32 v3, v3, v0
	v_xor_b32_e32 v6, 2, v1
	;; [unrolled: 7-line block ×3, first 2 shown]
	v_cmp_lt_i32_e32 vcc, v6, v2
	s_waitcnt lgkmcnt(0)
	v_add_f32_e32 v0, v0, v3
	v_cndmask_b32_e32 v1, v1, v6, vcc
	v_lshlrev_b32_e32 v1, 2, v1
	ds_bpermute_b32 v1, v1, v0
	v_cmp_eq_u32_e32 vcc, 0, v5
	s_and_b64 exec, exec, vcc
	s_cbranch_execz .LBB239_7
; %bb.6:
	s_mul_i32 s0, s8, s6
	s_waitcnt lgkmcnt(0)
	v_add_f32_e32 v2, v0, v1
	v_add_u32_e32 v0, s0, v4
	v_mov_b32_e32 v1, 0
	v_lshl_add_u64 v[0:1], v[0:1], 2, s[2:3]
	global_store_dword v[0:1], v2, off
.LBB239_7:
	s_endpgm
	.section	.rodata,"a",@progbits
	.p2align	6, 0x0
	.amdhsa_kernel _ZL9moe_vec_qIfLi32ELi4E10block_q5_0Li2EXadL_ZL17vec_dot_q5_0_q8_1PKvPK10block_q8_1RKiEEEvS2_S2_PT_PS6_iiii
		.amdhsa_group_segment_fixed_size 0
		.amdhsa_private_segment_fixed_size 0
		.amdhsa_kernarg_size 304
		.amdhsa_user_sgpr_count 2
		.amdhsa_user_sgpr_dispatch_ptr 0
		.amdhsa_user_sgpr_queue_ptr 0
		.amdhsa_user_sgpr_kernarg_segment_ptr 1
		.amdhsa_user_sgpr_dispatch_id 0
		.amdhsa_user_sgpr_kernarg_preload_length 0
		.amdhsa_user_sgpr_kernarg_preload_offset 0
		.amdhsa_user_sgpr_private_segment_size 0
		.amdhsa_uses_dynamic_stack 0
		.amdhsa_enable_private_segment 0
		.amdhsa_system_sgpr_workgroup_id_x 1
		.amdhsa_system_sgpr_workgroup_id_y 0
		.amdhsa_system_sgpr_workgroup_id_z 1
		.amdhsa_system_sgpr_workgroup_info 0
		.amdhsa_system_vgpr_workitem_id 1
		.amdhsa_next_free_vgpr 37
		.amdhsa_next_free_sgpr 20
		.amdhsa_accum_offset 40
		.amdhsa_reserve_vcc 1
		.amdhsa_float_round_mode_32 0
		.amdhsa_float_round_mode_16_64 0
		.amdhsa_float_denorm_mode_32 3
		.amdhsa_float_denorm_mode_16_64 3
		.amdhsa_dx10_clamp 1
		.amdhsa_ieee_mode 1
		.amdhsa_fp16_overflow 0
		.amdhsa_tg_split 0
		.amdhsa_exception_fp_ieee_invalid_op 0
		.amdhsa_exception_fp_denorm_src 0
		.amdhsa_exception_fp_ieee_div_zero 0
		.amdhsa_exception_fp_ieee_overflow 0
		.amdhsa_exception_fp_ieee_underflow 0
		.amdhsa_exception_fp_ieee_inexact 0
		.amdhsa_exception_int_div_zero 0
	.end_amdhsa_kernel
	.section	.text._ZL9moe_vec_qIfLi32ELi4E10block_q5_0Li2EXadL_ZL17vec_dot_q5_0_q8_1PKvPK10block_q8_1RKiEEEvS2_S2_PT_PS6_iiii,"axG",@progbits,_ZL9moe_vec_qIfLi32ELi4E10block_q5_0Li2EXadL_ZL17vec_dot_q5_0_q8_1PKvPK10block_q8_1RKiEEEvS2_S2_PT_PS6_iiii,comdat
.Lfunc_end239:
	.size	_ZL9moe_vec_qIfLi32ELi4E10block_q5_0Li2EXadL_ZL17vec_dot_q5_0_q8_1PKvPK10block_q8_1RKiEEEvS2_S2_PT_PS6_iiii, .Lfunc_end239-_ZL9moe_vec_qIfLi32ELi4E10block_q5_0Li2EXadL_ZL17vec_dot_q5_0_q8_1PKvPK10block_q8_1RKiEEEvS2_S2_PT_PS6_iiii
                                        ; -- End function
	.section	.AMDGPU.csdata,"",@progbits
; Kernel info:
; codeLenInByte = 1080
; NumSgprs: 26
; NumVgprs: 37
; NumAgprs: 0
; TotalNumVgprs: 37
; ScratchSize: 0
; MemoryBound: 0
; FloatMode: 240
; IeeeMode: 1
; LDSByteSize: 0 bytes/workgroup (compile time only)
; SGPRBlocks: 3
; VGPRBlocks: 4
; NumSGPRsForWavesPerEU: 26
; NumVGPRsForWavesPerEU: 37
; AccumOffset: 40
; Occupancy: 8
; WaveLimiterHint : 1
; COMPUTE_PGM_RSRC2:SCRATCH_EN: 0
; COMPUTE_PGM_RSRC2:USER_SGPR: 2
; COMPUTE_PGM_RSRC2:TRAP_HANDLER: 0
; COMPUTE_PGM_RSRC2:TGID_X_EN: 1
; COMPUTE_PGM_RSRC2:TGID_Y_EN: 0
; COMPUTE_PGM_RSRC2:TGID_Z_EN: 1
; COMPUTE_PGM_RSRC2:TIDIG_COMP_CNT: 1
; COMPUTE_PGM_RSRC3_GFX90A:ACCUM_OFFSET: 9
; COMPUTE_PGM_RSRC3_GFX90A:TG_SPLIT: 0
	.section	.text._ZL9moe_vec_qIfLi32ELi4E10block_q5_1Li2EXadL_ZL17vec_dot_q5_1_q8_1PKvPK10block_q8_1RKiEEEvS2_S2_PT_PS6_iiii,"axG",@progbits,_ZL9moe_vec_qIfLi32ELi4E10block_q5_1Li2EXadL_ZL17vec_dot_q5_1_q8_1PKvPK10block_q8_1RKiEEEvS2_S2_PT_PS6_iiii,comdat
	.globl	_ZL9moe_vec_qIfLi32ELi4E10block_q5_1Li2EXadL_ZL17vec_dot_q5_1_q8_1PKvPK10block_q8_1RKiEEEvS2_S2_PT_PS6_iiii ; -- Begin function _ZL9moe_vec_qIfLi32ELi4E10block_q5_1Li2EXadL_ZL17vec_dot_q5_1_q8_1PKvPK10block_q8_1RKiEEEvS2_S2_PT_PS6_iiii
	.p2align	8
	.type	_ZL9moe_vec_qIfLi32ELi4E10block_q5_1Li2EXadL_ZL17vec_dot_q5_1_q8_1PKvPK10block_q8_1RKiEEEvS2_S2_PT_PS6_iiii,@function
_ZL9moe_vec_qIfLi32ELi4E10block_q5_1Li2EXadL_ZL17vec_dot_q5_1_q8_1PKvPK10block_q8_1RKiEEEvS2_S2_PT_PS6_iiii: ; @_ZL9moe_vec_qIfLi32ELi4E10block_q5_1Li2EXadL_ZL17vec_dot_q5_1_q8_1PKvPK10block_q8_1RKiEEEvS2_S2_PT_PS6_iiii
; %bb.0:
	s_mov_b32 s8, s3
	s_load_dword s3, s[0:1], 0x3c
	s_load_dwordx4 s[4:7], s[0:1], 0x20
	v_bfe_u32 v1, v0, 10, 10
	s_waitcnt lgkmcnt(0)
	s_lshr_b32 s3, s3, 16
	s_mul_i32 s2, s2, s3
	v_add_u32_e32 v2, s2, v1
	v_cmp_gt_u32_e32 vcc, s6, v2
	s_and_saveexec_b64 s[2:3], vcc
	s_cbranch_execz .LBB240_7
; %bb.1:
	v_cvt_f32_u32_e32 v1, s4
	v_and_b32_e32 v3, 0x3ff, v0
	s_load_dwordx2 s[2:3], s[0:1], 0x10
	s_ashr_i32 s9, s5, 31
	v_rcp_iflag_f32_e32 v1, v1
	s_lshr_b32 s9, s9, 27
	s_add_i32 s5, s5, s9
	v_lshrrev_b32_e32 v4, 1, v3
	v_mul_f32_e32 v0, 0x4f7ffffe, v1
	v_cvt_u32_f32_e32 v0, v0
	s_ashr_i32 s14, s5, 5
	v_cmp_gt_u32_e32 vcc, s14, v4
	v_mov_b32_e32 v5, 0
	v_readfirstlane_b32 s5, v0
	s_and_saveexec_b64 s[10:11], vcc
	s_cbranch_execz .LBB240_5
; %bb.2:
	s_sub_i32 s12, 0, s4
	s_mul_i32 s15, s12, s5
	s_load_dwordx4 s[16:19], s[0:1], 0x0
	s_load_dwordx2 s[12:13], s[0:1], 0x18
	s_mov_b32 s9, 0
	s_mul_hi_u32 s0, s5, s15
	s_add_i32 s5, s5, s0
	s_lshl_b64 s[0:1], s[8:9], 2
	s_waitcnt lgkmcnt(0)
	s_add_u32 s0, s12, s0
	s_mul_hi_u32 s5, s8, s5
	s_addc_u32 s1, s13, s1
	s_load_dword s0, s[0:1], 0x0
	s_mul_i32 s1, s5, s4
	s_sub_i32 s1, s8, s1
	s_add_i32 s12, s5, 1
	s_sub_i32 s13, s1, s4
	s_cmp_ge_u32 s1, s4
	s_cselect_b32 s5, s12, s5
	s_cselect_b32 s1, s13, s1
	s_add_i32 s12, s5, 1
	s_cmp_ge_u32 s1, s4
	s_mul_i32 s1, s14, s6
	s_waitcnt lgkmcnt(0)
	s_mul_i32 s0, s1, s0
	s_cselect_b32 s4, s12, s5
	s_mul_hi_i32 s1, s0, 24
	s_mul_i32 s0, s0, 24
	s_add_u32 s0, s16, s0
	s_mul_i32 s4, s4, s7
	s_mov_b32 s5, s9
	s_addc_u32 s1, s17, s1
	s_lshl_b64 s[4:5], s[4:5], 2
	v_lshlrev_b32_e32 v0, 3, v3
	s_add_u32 s4, s18, s4
	v_and_b32_e32 v0, 8, v0
	v_mov_b32_e32 v1, 0
	s_addc_u32 s5, s19, s5
	v_mul_lo_u32 v6, v2, s14
	v_or_b32_e32 v7, 4, v0
	s_mov_b64 s[12:13], 0
	s_mov_b32 s7, 0.5
	v_mov_b32_e32 v5, v1
.LBB240_3:                              ; =>This Inner Loop Header: Depth=1
	v_add_u32_e32 v10, v6, v4
	v_mad_i64_i32 v[8:9], s[16:17], v4, 36, s[4:5]
	v_mad_i64_i32 v[10:11], s[16:17], v10, 24, s[0:1]
	v_lshl_add_u64 v[12:13], v[8:9], 0, v[0:1]
	global_load_dwordx2 v[14:15], v[10:11], off
	v_lshl_add_u64 v[10:11], v[10:11], 0, v[0:1]
	global_load_dwordx2 v[16:17], v[12:13], off offset:4
	global_load_dwordx2 v[18:19], v[12:13], off offset:20
	;; [unrolled: 1-line block ×3, first 2 shown]
	global_load_dword v22, v[8:9], off
	v_mov_b32_e32 v8, 0
	v_add_u32_e32 v4, 32, v4
	v_cmp_le_u32_e32 vcc, s14, v4
	s_or_b64 s[12:13], vcc, s[12:13]
	s_waitcnt vmcnt(4)
	v_ashrrev_i32_e32 v9, v0, v15
	v_lshlrev_b32_e32 v13, 4, v9
	s_waitcnt vmcnt(0)
	v_pk_mul_f16 v11, v14, v22
	v_lshlrev_b32_e32 v14, 11, v9
	v_ashrrev_i32_e32 v10, v7, v15
	v_and_b32_e32 v12, 0xf0f0f0f, v20
	v_lshlrev_b32_e32 v15, 18, v9
	v_lshlrev_b32_e32 v22, 25, v9
	v_lshrrev_b32_e32 v23, 12, v9
	v_lshrrev_b32_e32 v24, 5, v9
	v_lshlrev_b32_e32 v25, 2, v9
	v_and_b32_e32 v13, 16, v13
	v_and_b32_e32 v14, 0x1000, v14
	v_lshrrev_b32_e32 v20, 4, v20
	v_lshlrev_b32_e32 v9, 9, v9
	v_lshlrev_b32_e32 v27, 4, v10
	;; [unrolled: 1-line block ×4, first 2 shown]
	v_and_b32_e32 v15, 0x100000, v15
	v_and_b32_e32 v22, 0x10000000, v22
	;; [unrolled: 1-line block ×5, first 2 shown]
	v_or3_b32 v12, v13, v12, v14
	v_lshlrev_b32_e32 v30, 25, v10
	v_lshrrev_b32_e32 v31, 12, v10
	v_lshrrev_b32_e32 v32, 5, v10
	v_lshlrev_b32_e32 v33, 2, v10
	v_and_b32_e32 v20, 0xf0f0f0f, v20
	v_and_b32_e32 v9, 0x10000000, v9
	;; [unrolled: 1-line block ×5, first 2 shown]
	v_or3_b32 v13, v24, v23, v25
	v_or3_b32 v12, v12, v15, v22
	v_and_b32_e32 v26, 0xf0f0f0f, v21
	v_lshrrev_b32_e32 v21, 4, v21
	v_lshlrev_b32_e32 v10, 9, v10
	v_and_b32_e32 v30, 0x10000000, v30
	v_and_b32_e32 v31, 16, v31
	;; [unrolled: 1-line block ×4, first 2 shown]
	v_or3_b32 v14, v28, v27, v29
	v_or3_b32 v9, v13, v9, v20
	v_dot4c_i32_i8_e32 v8, v12, v16
	v_and_b32_e32 v21, 0xf0f0f0f, v21
	v_and_b32_e32 v10, 0x10000000, v10
	v_or3_b32 v23, v32, v31, v33
	v_or3_b32 v13, v14, v30, v26
	v_dot4c_i32_i8_e32 v8, v9, v18
	v_or3_b32 v10, v23, v10, v21
	v_dot4c_i32_i8_e32 v8, v13, v17
	v_dot4c_i32_i8_e32 v8, v10, v19
	v_cvt_f32_f16_e32 v34, v11
	s_nop 1
	v_cvt_f32_i32_e32 v8, v8
	v_mul_f32_e32 v8, v34, v8
	v_fma_mix_f32 v8, v11, s7, v8 op_sel:[1,0,0] op_sel_hi:[1,0,0]
	s_nop 0
	v_add_f32_e32 v5, v5, v8
	s_andn2_b64 exec, exec, s[12:13]
	s_cbranch_execnz .LBB240_3
; %bb.4:
	s_or_b64 exec, exec, s[12:13]
.LBB240_5:
	s_or_b64 exec, exec, s[10:11]
	v_mbcnt_lo_u32_b32 v0, -1, 0
	v_mbcnt_hi_u32_b32 v1, -1, v0
	v_and_b32_e32 v0, 64, v1
	v_add_u32_e32 v4, 64, v0
	v_xor_b32_e32 v0, 32, v1
	v_cmp_lt_i32_e32 vcc, v0, v4
	v_xor_b32_e32 v6, 16, v1
	s_nop 0
	v_cndmask_b32_e32 v0, v1, v0, vcc
	v_lshlrev_b32_e32 v0, 2, v0
	ds_bpermute_b32 v0, v0, v5
	v_cmp_lt_i32_e32 vcc, v6, v4
	s_waitcnt lgkmcnt(0)
	v_add_f32_e32 v0, v5, v0
	v_cndmask_b32_e32 v5, v1, v6, vcc
	v_lshlrev_b32_e32 v5, 2, v5
	ds_bpermute_b32 v5, v5, v0
	v_xor_b32_e32 v6, 8, v1
	v_cmp_lt_i32_e32 vcc, v6, v4
	s_waitcnt lgkmcnt(0)
	v_add_f32_e32 v0, v0, v5
	v_cndmask_b32_e32 v5, v1, v6, vcc
	v_lshlrev_b32_e32 v5, 2, v5
	ds_bpermute_b32 v5, v5, v0
	v_xor_b32_e32 v6, 4, v1
	;; [unrolled: 7-line block ×4, first 2 shown]
	v_cmp_lt_i32_e32 vcc, v6, v4
	s_waitcnt lgkmcnt(0)
	v_add_f32_e32 v0, v0, v5
	v_cndmask_b32_e32 v1, v1, v6, vcc
	v_lshlrev_b32_e32 v1, 2, v1
	ds_bpermute_b32 v1, v1, v0
	v_cmp_eq_u32_e32 vcc, 0, v3
	s_and_b64 exec, exec, vcc
	s_cbranch_execz .LBB240_7
; %bb.6:
	s_mul_i32 s0, s8, s6
	s_waitcnt lgkmcnt(0)
	v_add_f32_e32 v3, v0, v1
	v_add_u32_e32 v0, s0, v2
	v_mov_b32_e32 v1, 0
	v_lshl_add_u64 v[0:1], v[0:1], 2, s[2:3]
	global_store_dword v[0:1], v3, off
.LBB240_7:
	s_endpgm
	.section	.rodata,"a",@progbits
	.p2align	6, 0x0
	.amdhsa_kernel _ZL9moe_vec_qIfLi32ELi4E10block_q5_1Li2EXadL_ZL17vec_dot_q5_1_q8_1PKvPK10block_q8_1RKiEEEvS2_S2_PT_PS6_iiii
		.amdhsa_group_segment_fixed_size 0
		.amdhsa_private_segment_fixed_size 0
		.amdhsa_kernarg_size 304
		.amdhsa_user_sgpr_count 2
		.amdhsa_user_sgpr_dispatch_ptr 0
		.amdhsa_user_sgpr_queue_ptr 0
		.amdhsa_user_sgpr_kernarg_segment_ptr 1
		.amdhsa_user_sgpr_dispatch_id 0
		.amdhsa_user_sgpr_kernarg_preload_length 0
		.amdhsa_user_sgpr_kernarg_preload_offset 0
		.amdhsa_user_sgpr_private_segment_size 0
		.amdhsa_uses_dynamic_stack 0
		.amdhsa_enable_private_segment 0
		.amdhsa_system_sgpr_workgroup_id_x 1
		.amdhsa_system_sgpr_workgroup_id_y 0
		.amdhsa_system_sgpr_workgroup_id_z 1
		.amdhsa_system_sgpr_workgroup_info 0
		.amdhsa_system_vgpr_workitem_id 1
		.amdhsa_next_free_vgpr 35
		.amdhsa_next_free_sgpr 20
		.amdhsa_accum_offset 36
		.amdhsa_reserve_vcc 1
		.amdhsa_float_round_mode_32 0
		.amdhsa_float_round_mode_16_64 0
		.amdhsa_float_denorm_mode_32 3
		.amdhsa_float_denorm_mode_16_64 3
		.amdhsa_dx10_clamp 1
		.amdhsa_ieee_mode 1
		.amdhsa_fp16_overflow 0
		.amdhsa_tg_split 0
		.amdhsa_exception_fp_ieee_invalid_op 0
		.amdhsa_exception_fp_denorm_src 0
		.amdhsa_exception_fp_ieee_div_zero 0
		.amdhsa_exception_fp_ieee_overflow 0
		.amdhsa_exception_fp_ieee_underflow 0
		.amdhsa_exception_fp_ieee_inexact 0
		.amdhsa_exception_int_div_zero 0
	.end_amdhsa_kernel
	.section	.text._ZL9moe_vec_qIfLi32ELi4E10block_q5_1Li2EXadL_ZL17vec_dot_q5_1_q8_1PKvPK10block_q8_1RKiEEEvS2_S2_PT_PS6_iiii,"axG",@progbits,_ZL9moe_vec_qIfLi32ELi4E10block_q5_1Li2EXadL_ZL17vec_dot_q5_1_q8_1PKvPK10block_q8_1RKiEEEvS2_S2_PT_PS6_iiii,comdat
.Lfunc_end240:
	.size	_ZL9moe_vec_qIfLi32ELi4E10block_q5_1Li2EXadL_ZL17vec_dot_q5_1_q8_1PKvPK10block_q8_1RKiEEEvS2_S2_PT_PS6_iiii, .Lfunc_end240-_ZL9moe_vec_qIfLi32ELi4E10block_q5_1Li2EXadL_ZL17vec_dot_q5_1_q8_1PKvPK10block_q8_1RKiEEEvS2_S2_PT_PS6_iiii
                                        ; -- End function
	.section	.AMDGPU.csdata,"",@progbits
; Kernel info:
; codeLenInByte = 1044
; NumSgprs: 26
; NumVgprs: 35
; NumAgprs: 0
; TotalNumVgprs: 35
; ScratchSize: 0
; MemoryBound: 0
; FloatMode: 240
; IeeeMode: 1
; LDSByteSize: 0 bytes/workgroup (compile time only)
; SGPRBlocks: 3
; VGPRBlocks: 4
; NumSGPRsForWavesPerEU: 26
; NumVGPRsForWavesPerEU: 35
; AccumOffset: 36
; Occupancy: 8
; WaveLimiterHint : 1
; COMPUTE_PGM_RSRC2:SCRATCH_EN: 0
; COMPUTE_PGM_RSRC2:USER_SGPR: 2
; COMPUTE_PGM_RSRC2:TRAP_HANDLER: 0
; COMPUTE_PGM_RSRC2:TGID_X_EN: 1
; COMPUTE_PGM_RSRC2:TGID_Y_EN: 0
; COMPUTE_PGM_RSRC2:TGID_Z_EN: 1
; COMPUTE_PGM_RSRC2:TIDIG_COMP_CNT: 1
; COMPUTE_PGM_RSRC3_GFX90A:ACCUM_OFFSET: 8
; COMPUTE_PGM_RSRC3_GFX90A:TG_SPLIT: 0
	.section	.text._ZL9moe_vec_qIfLi32ELi8E10block_q8_0Li2EXadL_ZL17vec_dot_q8_0_q8_1PKvPK10block_q8_1RKiEEEvS2_S2_PT_PS6_iiii,"axG",@progbits,_ZL9moe_vec_qIfLi32ELi8E10block_q8_0Li2EXadL_ZL17vec_dot_q8_0_q8_1PKvPK10block_q8_1RKiEEEvS2_S2_PT_PS6_iiii,comdat
	.globl	_ZL9moe_vec_qIfLi32ELi8E10block_q8_0Li2EXadL_ZL17vec_dot_q8_0_q8_1PKvPK10block_q8_1RKiEEEvS2_S2_PT_PS6_iiii ; -- Begin function _ZL9moe_vec_qIfLi32ELi8E10block_q8_0Li2EXadL_ZL17vec_dot_q8_0_q8_1PKvPK10block_q8_1RKiEEEvS2_S2_PT_PS6_iiii
	.p2align	8
	.type	_ZL9moe_vec_qIfLi32ELi8E10block_q8_0Li2EXadL_ZL17vec_dot_q8_0_q8_1PKvPK10block_q8_1RKiEEEvS2_S2_PT_PS6_iiii,@function
_ZL9moe_vec_qIfLi32ELi8E10block_q8_0Li2EXadL_ZL17vec_dot_q8_0_q8_1PKvPK10block_q8_1RKiEEEvS2_S2_PT_PS6_iiii: ; @_ZL9moe_vec_qIfLi32ELi8E10block_q8_0Li2EXadL_ZL17vec_dot_q8_0_q8_1PKvPK10block_q8_1RKiEEEvS2_S2_PT_PS6_iiii
; %bb.0:
	s_mov_b32 s8, s3
	s_load_dword s3, s[0:1], 0x3c
	s_load_dwordx4 s[4:7], s[0:1], 0x20
	v_bfe_u32 v1, v0, 10, 10
	s_waitcnt lgkmcnt(0)
	s_lshr_b32 s3, s3, 16
	s_mul_i32 s2, s2, s3
	v_add_u32_e32 v2, s2, v1
	v_cmp_gt_u32_e32 vcc, s6, v2
	s_and_saveexec_b64 s[2:3], vcc
	s_cbranch_execz .LBB241_7
; %bb.1:
	v_cvt_f32_u32_e32 v1, s4
	v_and_b32_e32 v3, 0x3ff, v0
	s_load_dwordx2 s[2:3], s[0:1], 0x10
	s_ashr_i32 s9, s5, 31
	v_rcp_iflag_f32_e32 v1, v1
	s_lshr_b32 s9, s9, 27
	s_add_i32 s5, s5, s9
	v_lshrrev_b32_e32 v4, 2, v3
	v_mul_f32_e32 v0, 0x4f7ffffe, v1
	v_cvt_u32_f32_e32 v0, v0
	s_ashr_i32 s14, s5, 5
	v_cmp_gt_u32_e32 vcc, s14, v4
	v_mov_b32_e32 v5, 0
	v_readfirstlane_b32 s5, v0
	s_and_saveexec_b64 s[10:11], vcc
	s_cbranch_execz .LBB241_5
; %bb.2:
	s_sub_i32 s12, 0, s4
	s_mul_i32 s15, s12, s5
	s_load_dwordx4 s[16:19], s[0:1], 0x0
	s_load_dwordx2 s[12:13], s[0:1], 0x18
	s_mov_b32 s9, 0
	s_mul_hi_u32 s0, s5, s15
	s_add_i32 s5, s5, s0
	s_lshl_b64 s[0:1], s[8:9], 2
	s_waitcnt lgkmcnt(0)
	s_add_u32 s0, s12, s0
	s_mul_hi_u32 s5, s8, s5
	s_addc_u32 s1, s13, s1
	s_load_dword s0, s[0:1], 0x0
	s_mul_i32 s1, s5, s4
	s_sub_i32 s1, s8, s1
	s_add_i32 s12, s5, 1
	s_sub_i32 s13, s1, s4
	s_cmp_ge_u32 s1, s4
	s_cselect_b32 s5, s12, s5
	s_cselect_b32 s1, s13, s1
	s_add_i32 s12, s5, 1
	s_cmp_ge_u32 s1, s4
	s_mul_i32 s1, s14, s6
	s_waitcnt lgkmcnt(0)
	s_mul_i32 s0, s1, s0
	s_cselect_b32 s4, s12, s5
	s_mul_hi_i32 s1, s0, 34
	s_mul_i32 s0, s0, 34
	s_add_u32 s0, s16, s0
	s_mul_i32 s4, s4, s7
	s_mov_b32 s5, s9
	s_addc_u32 s1, s17, s1
	s_lshl_b64 s[4:5], s[4:5], 2
	s_add_u32 s4, s18, s4
	v_lshlrev_b32_e32 v0, 3, v3
	v_mov_b32_e32 v1, 0
	s_addc_u32 s5, s19, s5
	v_mul_lo_u32 v6, v2, s14
	v_and_b32_e32 v0, 24, v0
	s_mov_b64 s[12:13], 0
	v_mov_b32_e32 v5, v1
.LBB241_3:                              ; =>This Inner Loop Header: Depth=1
	v_add_u32_e32 v7, v6, v4
	v_mad_i64_i32 v[8:9], s[16:17], v4, 36, s[4:5]
	v_mad_i64_i32 v[10:11], s[16:17], v7, 34, s[0:1]
	v_lshl_add_u64 v[12:13], v[8:9], 0, v[0:1]
	global_load_dword v7, v[8:9], off
	v_lshl_add_u64 v[8:9], v[10:11], 0, v[0:1]
	global_load_dwordx2 v[14:15], v[12:13], off offset:4
	global_load_dwordx2 v[16:17], v[8:9], off offset:2
	global_load_ushort v18, v[10:11], off
	v_mov_b32_e32 v8, 0
	v_add_u32_e32 v4, 16, v4
	v_cmp_le_u32_e32 vcc, s14, v4
	s_or_b64 s[12:13], vcc, s[12:13]
	s_waitcnt vmcnt(3)
	v_cvt_f32_f16_e32 v7, v7
	s_waitcnt vmcnt(1)
	v_dot4c_i32_i8_e32 v8, v16, v14
	s_waitcnt vmcnt(0)
	v_cvt_f32_f16_e32 v9, v18
	v_dot4c_i32_i8_e32 v8, v17, v15
	v_mul_f32_e32 v7, v9, v7
	s_nop 1
	v_cvt_f32_i32_e32 v8, v8
	v_fmac_f32_e32 v5, v7, v8
	s_andn2_b64 exec, exec, s[12:13]
	s_cbranch_execnz .LBB241_3
; %bb.4:
	s_or_b64 exec, exec, s[12:13]
.LBB241_5:
	s_or_b64 exec, exec, s[10:11]
	v_mbcnt_lo_u32_b32 v0, -1, 0
	v_mbcnt_hi_u32_b32 v1, -1, v0
	v_and_b32_e32 v0, 64, v1
	v_add_u32_e32 v4, 64, v0
	v_xor_b32_e32 v0, 32, v1
	v_cmp_lt_i32_e32 vcc, v0, v4
	v_xor_b32_e32 v6, 16, v1
	s_nop 0
	v_cndmask_b32_e32 v0, v1, v0, vcc
	v_lshlrev_b32_e32 v0, 2, v0
	ds_bpermute_b32 v0, v0, v5
	v_cmp_lt_i32_e32 vcc, v6, v4
	s_waitcnt lgkmcnt(0)
	v_add_f32_e32 v0, v5, v0
	v_cndmask_b32_e32 v5, v1, v6, vcc
	v_lshlrev_b32_e32 v5, 2, v5
	ds_bpermute_b32 v5, v5, v0
	v_xor_b32_e32 v6, 8, v1
	v_cmp_lt_i32_e32 vcc, v6, v4
	s_waitcnt lgkmcnt(0)
	v_add_f32_e32 v0, v0, v5
	v_cndmask_b32_e32 v5, v1, v6, vcc
	v_lshlrev_b32_e32 v5, 2, v5
	ds_bpermute_b32 v5, v5, v0
	v_xor_b32_e32 v6, 4, v1
	;; [unrolled: 7-line block ×4, first 2 shown]
	v_cmp_lt_i32_e32 vcc, v6, v4
	s_waitcnt lgkmcnt(0)
	v_add_f32_e32 v0, v0, v5
	v_cndmask_b32_e32 v1, v1, v6, vcc
	v_lshlrev_b32_e32 v1, 2, v1
	ds_bpermute_b32 v1, v1, v0
	v_cmp_eq_u32_e32 vcc, 0, v3
	s_and_b64 exec, exec, vcc
	s_cbranch_execz .LBB241_7
; %bb.6:
	s_mul_i32 s0, s8, s6
	s_waitcnt lgkmcnt(0)
	v_add_f32_e32 v3, v0, v1
	v_add_u32_e32 v0, s0, v2
	v_mov_b32_e32 v1, 0
	v_lshl_add_u64 v[0:1], v[0:1], 2, s[2:3]
	global_store_dword v[0:1], v3, off
.LBB241_7:
	s_endpgm
	.section	.rodata,"a",@progbits
	.p2align	6, 0x0
	.amdhsa_kernel _ZL9moe_vec_qIfLi32ELi8E10block_q8_0Li2EXadL_ZL17vec_dot_q8_0_q8_1PKvPK10block_q8_1RKiEEEvS2_S2_PT_PS6_iiii
		.amdhsa_group_segment_fixed_size 0
		.amdhsa_private_segment_fixed_size 0
		.amdhsa_kernarg_size 304
		.amdhsa_user_sgpr_count 2
		.amdhsa_user_sgpr_dispatch_ptr 0
		.amdhsa_user_sgpr_queue_ptr 0
		.amdhsa_user_sgpr_kernarg_segment_ptr 1
		.amdhsa_user_sgpr_dispatch_id 0
		.amdhsa_user_sgpr_kernarg_preload_length 0
		.amdhsa_user_sgpr_kernarg_preload_offset 0
		.amdhsa_user_sgpr_private_segment_size 0
		.amdhsa_uses_dynamic_stack 0
		.amdhsa_enable_private_segment 0
		.amdhsa_system_sgpr_workgroup_id_x 1
		.amdhsa_system_sgpr_workgroup_id_y 0
		.amdhsa_system_sgpr_workgroup_id_z 1
		.amdhsa_system_sgpr_workgroup_info 0
		.amdhsa_system_vgpr_workitem_id 1
		.amdhsa_next_free_vgpr 19
		.amdhsa_next_free_sgpr 20
		.amdhsa_accum_offset 20
		.amdhsa_reserve_vcc 1
		.amdhsa_float_round_mode_32 0
		.amdhsa_float_round_mode_16_64 0
		.amdhsa_float_denorm_mode_32 3
		.amdhsa_float_denorm_mode_16_64 3
		.amdhsa_dx10_clamp 1
		.amdhsa_ieee_mode 1
		.amdhsa_fp16_overflow 0
		.amdhsa_tg_split 0
		.amdhsa_exception_fp_ieee_invalid_op 0
		.amdhsa_exception_fp_denorm_src 0
		.amdhsa_exception_fp_ieee_div_zero 0
		.amdhsa_exception_fp_ieee_overflow 0
		.amdhsa_exception_fp_ieee_underflow 0
		.amdhsa_exception_fp_ieee_inexact 0
		.amdhsa_exception_int_div_zero 0
	.end_amdhsa_kernel
	.section	.text._ZL9moe_vec_qIfLi32ELi8E10block_q8_0Li2EXadL_ZL17vec_dot_q8_0_q8_1PKvPK10block_q8_1RKiEEEvS2_S2_PT_PS6_iiii,"axG",@progbits,_ZL9moe_vec_qIfLi32ELi8E10block_q8_0Li2EXadL_ZL17vec_dot_q8_0_q8_1PKvPK10block_q8_1RKiEEEvS2_S2_PT_PS6_iiii,comdat
.Lfunc_end241:
	.size	_ZL9moe_vec_qIfLi32ELi8E10block_q8_0Li2EXadL_ZL17vec_dot_q8_0_q8_1PKvPK10block_q8_1RKiEEEvS2_S2_PT_PS6_iiii, .Lfunc_end241-_ZL9moe_vec_qIfLi32ELi8E10block_q8_0Li2EXadL_ZL17vec_dot_q8_0_q8_1PKvPK10block_q8_1RKiEEEvS2_S2_PT_PS6_iiii
                                        ; -- End function
	.section	.AMDGPU.csdata,"",@progbits
; Kernel info:
; codeLenInByte = 720
; NumSgprs: 26
; NumVgprs: 19
; NumAgprs: 0
; TotalNumVgprs: 19
; ScratchSize: 0
; MemoryBound: 0
; FloatMode: 240
; IeeeMode: 1
; LDSByteSize: 0 bytes/workgroup (compile time only)
; SGPRBlocks: 3
; VGPRBlocks: 2
; NumSGPRsForWavesPerEU: 26
; NumVGPRsForWavesPerEU: 19
; AccumOffset: 20
; Occupancy: 8
; WaveLimiterHint : 1
; COMPUTE_PGM_RSRC2:SCRATCH_EN: 0
; COMPUTE_PGM_RSRC2:USER_SGPR: 2
; COMPUTE_PGM_RSRC2:TRAP_HANDLER: 0
; COMPUTE_PGM_RSRC2:TGID_X_EN: 1
; COMPUTE_PGM_RSRC2:TGID_Y_EN: 0
; COMPUTE_PGM_RSRC2:TGID_Z_EN: 1
; COMPUTE_PGM_RSRC2:TIDIG_COMP_CNT: 1
; COMPUTE_PGM_RSRC3_GFX90A:ACCUM_OFFSET: 4
; COMPUTE_PGM_RSRC3_GFX90A:TG_SPLIT: 0
	.section	.text._ZL9moe_vec_qIfLi256ELi16E10block_q2_KLi1EXadL_ZL17vec_dot_q2_K_q8_1PKvPK10block_q8_1RKiEEEvS2_S2_PT_PS6_iiii,"axG",@progbits,_ZL9moe_vec_qIfLi256ELi16E10block_q2_KLi1EXadL_ZL17vec_dot_q2_K_q8_1PKvPK10block_q8_1RKiEEEvS2_S2_PT_PS6_iiii,comdat
	.globl	_ZL9moe_vec_qIfLi256ELi16E10block_q2_KLi1EXadL_ZL17vec_dot_q2_K_q8_1PKvPK10block_q8_1RKiEEEvS2_S2_PT_PS6_iiii ; -- Begin function _ZL9moe_vec_qIfLi256ELi16E10block_q2_KLi1EXadL_ZL17vec_dot_q2_K_q8_1PKvPK10block_q8_1RKiEEEvS2_S2_PT_PS6_iiii
	.p2align	8
	.type	_ZL9moe_vec_qIfLi256ELi16E10block_q2_KLi1EXadL_ZL17vec_dot_q2_K_q8_1PKvPK10block_q8_1RKiEEEvS2_S2_PT_PS6_iiii,@function
_ZL9moe_vec_qIfLi256ELi16E10block_q2_KLi1EXadL_ZL17vec_dot_q2_K_q8_1PKvPK10block_q8_1RKiEEEvS2_S2_PT_PS6_iiii: ; @_ZL9moe_vec_qIfLi256ELi16E10block_q2_KLi1EXadL_ZL17vec_dot_q2_K_q8_1PKvPK10block_q8_1RKiEEEvS2_S2_PT_PS6_iiii
; %bb.0:
	s_mov_b32 s8, s3
	s_load_dword s3, s[0:1], 0x3c
	s_load_dwordx4 s[4:7], s[0:1], 0x20
	v_bfe_u32 v1, v0, 10, 10
	s_waitcnt lgkmcnt(0)
	s_lshr_b32 s3, s3, 16
	s_mul_i32 s2, s2, s3
	v_add_u32_e32 v10, s2, v1
	v_cmp_gt_u32_e32 vcc, s6, v10
	s_and_saveexec_b64 s[2:3], vcc
	s_cbranch_execz .LBB242_7
; %bb.1:
	v_cvt_f32_u32_e32 v1, s4
	v_and_b32_e32 v11, 0x3ff, v0
	s_load_dwordx2 s[2:3], s[0:1], 0x10
	s_ashr_i32 s9, s5, 31
	v_rcp_iflag_f32_e32 v1, v1
	s_lshr_b32 s9, s9, 24
	s_add_i32 s5, s5, s9
	v_lshrrev_b32_e32 v12, 4, v11
	v_mul_f32_e32 v0, 0x4f7ffffe, v1
	v_cvt_u32_f32_e32 v0, v0
	s_ashr_i32 s14, s5, 8
	v_cmp_gt_u32_e32 vcc, s14, v12
	v_mov_b32_e32 v14, 0
	v_readfirstlane_b32 s5, v0
	s_and_saveexec_b64 s[10:11], vcc
	s_cbranch_execz .LBB242_5
; %bb.2:
	s_sub_i32 s12, 0, s4
	s_mul_i32 s15, s12, s5
	s_load_dwordx4 s[16:19], s[0:1], 0x0
	s_load_dwordx2 s[12:13], s[0:1], 0x18
	s_mov_b32 s9, 0
	s_mul_hi_u32 s0, s5, s15
	s_add_i32 s5, s5, s0
	s_lshl_b64 s[0:1], s[8:9], 2
	s_waitcnt lgkmcnt(0)
	s_add_u32 s0, s12, s0
	s_mul_hi_u32 s5, s8, s5
	s_addc_u32 s1, s13, s1
	s_load_dword s0, s[0:1], 0x0
	s_mul_i32 s1, s5, s4
	s_sub_i32 s1, s8, s1
	s_add_i32 s12, s5, 1
	s_sub_i32 s13, s1, s4
	s_cmp_ge_u32 s1, s4
	s_cselect_b32 s5, s12, s5
	s_cselect_b32 s1, s13, s1
	s_add_i32 s12, s5, 1
	s_cmp_ge_u32 s1, s4
	s_mul_i32 s4, s14, s6
	s_waitcnt lgkmcnt(0)
	s_mul_i32 s0, s4, s0
	s_cselect_b32 s1, s12, s5
	s_mul_hi_i32 s5, s0, 0x54
	s_mulk_i32 s0, 0x54
	v_and_b32_e32 v6, 15, v11
	s_add_u32 s4, s16, s0
	s_mul_i32 s0, s1, s7
	s_mov_b32 s1, s9
	v_cmp_lt_u32_e32 vcc, 7, v6
	s_addc_u32 s5, s17, s5
	s_lshl_b64 s[0:1], s[0:1], 2
	v_cndmask_b32_e64 v0, 0, 1, vcc
	v_mov_b32_e32 v1, 0
	v_add_u32_e32 v2, -8, v6
	v_cmp_gt_u32_e32 vcc, 8, v6
	s_add_u32 s0, s18, s0
	v_mov_b32_e32 v5, v1
	v_cndmask_b32_e32 v4, v2, v6, vcc
	s_addc_u32 s1, s19, s1
	v_lshlrev_b32_e32 v7, 2, v0
	v_lshlrev_b64 v[2:3], 2, v[4:5]
	v_sub_u32_e32 v5, v6, v4
	v_cmp_lt_u32_e32 vcc, 3, v4
	v_lshlrev_b32_e32 v0, 2, v6
	v_mad_u64_u32 v[6:7], s[0:1], v7, 36, s[0:1]
	v_addc_co_u32_e32 v4, vcc, 0, v5, vcc
	s_movk_i32 s15, 0x54
	v_mul_lo_u32 v13, v10, s14
	v_ashrrev_i32_e32 v5, 31, v4
	v_lshlrev_b32_e32 v15, 3, v12
	s_mov_b64 s[0:1], 0
	v_mov_b64_e32 v[8:9], s[4:5]
	s_mov_b64 s[4:5], 0x48
	s_mov_b64 s[12:13], 0x6c
	s_mov_b32 s7, 0x1010101
	v_mov_b32_e32 v14, v1
.LBB242_3:                              ; =>This Inner Loop Header: Depth=1
	v_mad_i64_i32 v[16:17], s[16:17], v15, 36, v[6:7]
	v_add_u32_e32 v18, v13, v12
	global_load_dword v32, v[16:17], off
	global_load_dword v33, v[16:17], off offset:36
	global_load_dword v34, v[16:17], off offset:72
	v_mad_i64_i32 v[18:19], s[16:17], v18, s15, v[8:9]
	v_lshl_add_u64 v[20:21], v[16:17], 0, v[2:3]
	v_lshl_add_u64 v[22:23], v[16:17], 0, 36
	;; [unrolled: 1-line block ×9, first 2 shown]
	global_load_dword v35, v[20:21], off offset:4
	global_load_dword v36, v[22:23], off offset:4
	;; [unrolled: 1-line block ×6, first 2 shown]
	global_load_ubyte v41, v[30:31], off
	global_load_ubyte v42, v[30:31], off offset:2
	global_load_ubyte v43, v[30:31], off offset:4
	;; [unrolled: 1-line block ×3, first 2 shown]
	global_load_dword v45, v[18:19], off offset:80
	v_mov_b32_e32 v17, 0
	v_mov_b32_e32 v19, 0
	;; [unrolled: 1-line block ×8, first 2 shown]
	v_add_u32_e32 v12, 4, v12
	v_cmp_le_u32_e32 vcc, s14, v12
	v_add_u32_e32 v15, 32, v15
	s_or_b64 s[0:1], vcc, s[0:1]
	s_waitcnt vmcnt(13)
	v_cvt_f32_f16_e32 v16, v32
	s_waitcnt vmcnt(12)
	v_cvt_f32_f16_e32 v18, v33
	s_waitcnt vmcnt(11)
	v_cvt_f32_f16_e32 v20, v34
	s_waitcnt vmcnt(6)
	v_cvt_f32_f16_e32 v22, v39
	s_waitcnt vmcnt(5)
	v_and_b32_e32 v29, 0x3030303, v40
	s_waitcnt vmcnt(4)
	v_and_b32_e32 v31, 15, v41
	v_lshrrev_b32_e32 v32, 4, v41
	v_lshrrev_b32_e32 v33, 2, v40
	s_waitcnt vmcnt(3)
	v_lshrrev_b32_e32 v39, 4, v42
	v_lshrrev_b32_e32 v41, 4, v40
	;; [unrolled: 1-line block ×3, first 2 shown]
	v_and_b32_e32 v34, 15, v42
	s_waitcnt vmcnt(2)
	v_and_b32_e32 v42, 15, v43
	v_lshrrev_b32_e32 v43, 4, v43
	v_dot4c_i32_i8_e32 v17, v29, v35
	v_mul_lo_u32 v29, v32, s7
	v_and_b32_e32 v32, 0x3030303, v33
	v_mul_lo_u32 v33, v39, s7
	v_and_b32_e32 v39, 0x3030303, v41
	v_and_b32_e32 v40, 0x3030303, v40
	s_waitcnt vmcnt(1)
	v_and_b32_e32 v46, 15, v44
	v_lshrrev_b32_e32 v44, 4, v44
	v_mul_lo_u32 v41, v43, s7
	v_mul_lo_u32 v17, v31, v17
	v_dot4c_i32_i8_e32 v19, v29, v35
	v_dot4c_i32_i8_e32 v21, v32, v36
	;; [unrolled: 1-line block ×4, first 2 shown]
	v_mul_lo_u32 v43, v44, s7
	v_dot4c_i32_i8_e32 v23, v33, v36
	v_dot4c_i32_i8_e32 v28, v41, v37
	v_mul_lo_u32 v21, v34, v21
	v_mul_lo_u32 v32, v42, v26
	;; [unrolled: 1-line block ×3, first 2 shown]
	v_cvt_f32_i32_e32 v27, v19
	v_cvt_f32_i32_e32 v26, v17
	v_dot4c_i32_i8_e32 v30, v43, v38
	v_cvt_f32_i32_e32 v29, v23
	v_cvt_f32_i32_e32 v31, v28
	;; [unrolled: 1-line block ×6, first 2 shown]
	s_waitcnt vmcnt(0)
	v_cvt_f32_f16_e32 v24, v45
	v_cvt_f32_f16_sdwa v25, v45 dst_sel:DWORD dst_unused:UNUSED_PAD src0_sel:WORD_1
	v_pk_fma_f32 v[16:17], v[16:17], v[26:27], 0 op_sel_hi:[0,1,0]
	v_pk_fma_f32 v[16:17], v[18:19], v[28:29], v[16:17] op_sel_hi:[0,1,1]
	;; [unrolled: 1-line block ×4, first 2 shown]
	v_pk_mul_f32 v[16:17], v[16:17], v[24:25]
	s_nop 0
	v_sub_f32_e32 v16, v16, v17
	v_add_f32_e32 v14, v14, v16
	s_andn2_b64 exec, exec, s[0:1]
	s_cbranch_execnz .LBB242_3
; %bb.4:
	s_or_b64 exec, exec, s[0:1]
.LBB242_5:
	s_or_b64 exec, exec, s[10:11]
	v_mbcnt_lo_u32_b32 v0, -1, 0
	v_mbcnt_hi_u32_b32 v1, -1, v0
	v_and_b32_e32 v0, 64, v1
	v_add_u32_e32 v2, 64, v0
	v_xor_b32_e32 v0, 32, v1
	v_cmp_lt_i32_e32 vcc, v0, v2
	v_xor_b32_e32 v3, 16, v1
	v_xor_b32_e32 v4, 8, v1
	v_cndmask_b32_e32 v0, v1, v0, vcc
	v_lshlrev_b32_e32 v0, 2, v0
	ds_bpermute_b32 v0, v0, v14
	v_cmp_lt_i32_e32 vcc, v3, v2
	s_waitcnt lgkmcnt(0)
	v_add_f32_e32 v0, v14, v0
	v_cndmask_b32_e32 v3, v1, v3, vcc
	v_lshlrev_b32_e32 v3, 2, v3
	ds_bpermute_b32 v3, v3, v0
	v_cmp_lt_i32_e32 vcc, v4, v2
	s_waitcnt lgkmcnt(0)
	v_add_f32_e32 v0, v0, v3
	v_cndmask_b32_e32 v3, v1, v4, vcc
	v_lshlrev_b32_e32 v3, 2, v3
	ds_bpermute_b32 v3, v3, v0
	v_xor_b32_e32 v4, 4, v1
	v_cmp_lt_i32_e32 vcc, v4, v2
	s_waitcnt lgkmcnt(0)
	v_add_f32_e32 v0, v0, v3
	v_cndmask_b32_e32 v3, v1, v4, vcc
	v_lshlrev_b32_e32 v3, 2, v3
	ds_bpermute_b32 v3, v3, v0
	v_xor_b32_e32 v4, 2, v1
	;; [unrolled: 7-line block ×3, first 2 shown]
	v_cmp_lt_i32_e32 vcc, v4, v2
	s_waitcnt lgkmcnt(0)
	v_add_f32_e32 v0, v0, v3
	v_cndmask_b32_e32 v1, v1, v4, vcc
	v_lshlrev_b32_e32 v1, 2, v1
	ds_bpermute_b32 v1, v1, v0
	v_cmp_eq_u32_e32 vcc, 0, v11
	s_and_b64 exec, exec, vcc
	s_cbranch_execz .LBB242_7
; %bb.6:
	s_mul_i32 s0, s8, s6
	s_waitcnt lgkmcnt(0)
	v_add_f32_e32 v2, v0, v1
	v_add_u32_e32 v0, s0, v10
	v_mov_b32_e32 v1, 0
	v_lshl_add_u64 v[0:1], v[0:1], 2, s[2:3]
	global_store_dword v[0:1], v2, off
.LBB242_7:
	s_endpgm
	.section	.rodata,"a",@progbits
	.p2align	6, 0x0
	.amdhsa_kernel _ZL9moe_vec_qIfLi256ELi16E10block_q2_KLi1EXadL_ZL17vec_dot_q2_K_q8_1PKvPK10block_q8_1RKiEEEvS2_S2_PT_PS6_iiii
		.amdhsa_group_segment_fixed_size 0
		.amdhsa_private_segment_fixed_size 0
		.amdhsa_kernarg_size 304
		.amdhsa_user_sgpr_count 2
		.amdhsa_user_sgpr_dispatch_ptr 0
		.amdhsa_user_sgpr_queue_ptr 0
		.amdhsa_user_sgpr_kernarg_segment_ptr 1
		.amdhsa_user_sgpr_dispatch_id 0
		.amdhsa_user_sgpr_kernarg_preload_length 0
		.amdhsa_user_sgpr_kernarg_preload_offset 0
		.amdhsa_user_sgpr_private_segment_size 0
		.amdhsa_uses_dynamic_stack 0
		.amdhsa_enable_private_segment 0
		.amdhsa_system_sgpr_workgroup_id_x 1
		.amdhsa_system_sgpr_workgroup_id_y 0
		.amdhsa_system_sgpr_workgroup_id_z 1
		.amdhsa_system_sgpr_workgroup_info 0
		.amdhsa_system_vgpr_workitem_id 1
		.amdhsa_next_free_vgpr 47
		.amdhsa_next_free_sgpr 20
		.amdhsa_accum_offset 48
		.amdhsa_reserve_vcc 1
		.amdhsa_float_round_mode_32 0
		.amdhsa_float_round_mode_16_64 0
		.amdhsa_float_denorm_mode_32 3
		.amdhsa_float_denorm_mode_16_64 3
		.amdhsa_dx10_clamp 1
		.amdhsa_ieee_mode 1
		.amdhsa_fp16_overflow 0
		.amdhsa_tg_split 0
		.amdhsa_exception_fp_ieee_invalid_op 0
		.amdhsa_exception_fp_denorm_src 0
		.amdhsa_exception_fp_ieee_div_zero 0
		.amdhsa_exception_fp_ieee_overflow 0
		.amdhsa_exception_fp_ieee_underflow 0
		.amdhsa_exception_fp_ieee_inexact 0
		.amdhsa_exception_int_div_zero 0
	.end_amdhsa_kernel
	.section	.text._ZL9moe_vec_qIfLi256ELi16E10block_q2_KLi1EXadL_ZL17vec_dot_q2_K_q8_1PKvPK10block_q8_1RKiEEEvS2_S2_PT_PS6_iiii,"axG",@progbits,_ZL9moe_vec_qIfLi256ELi16E10block_q2_KLi1EXadL_ZL17vec_dot_q2_K_q8_1PKvPK10block_q8_1RKiEEEvS2_S2_PT_PS6_iiii,comdat
.Lfunc_end242:
	.size	_ZL9moe_vec_qIfLi256ELi16E10block_q2_KLi1EXadL_ZL17vec_dot_q2_K_q8_1PKvPK10block_q8_1RKiEEEvS2_S2_PT_PS6_iiii, .Lfunc_end242-_ZL9moe_vec_qIfLi256ELi16E10block_q2_KLi1EXadL_ZL17vec_dot_q2_K_q8_1PKvPK10block_q8_1RKiEEEvS2_S2_PT_PS6_iiii
                                        ; -- End function
	.section	.AMDGPU.csdata,"",@progbits
; Kernel info:
; codeLenInByte = 1268
; NumSgprs: 26
; NumVgprs: 47
; NumAgprs: 0
; TotalNumVgprs: 47
; ScratchSize: 0
; MemoryBound: 0
; FloatMode: 240
; IeeeMode: 1
; LDSByteSize: 0 bytes/workgroup (compile time only)
; SGPRBlocks: 3
; VGPRBlocks: 5
; NumSGPRsForWavesPerEU: 26
; NumVGPRsForWavesPerEU: 47
; AccumOffset: 48
; Occupancy: 8
; WaveLimiterHint : 1
; COMPUTE_PGM_RSRC2:SCRATCH_EN: 0
; COMPUTE_PGM_RSRC2:USER_SGPR: 2
; COMPUTE_PGM_RSRC2:TRAP_HANDLER: 0
; COMPUTE_PGM_RSRC2:TGID_X_EN: 1
; COMPUTE_PGM_RSRC2:TGID_Y_EN: 0
; COMPUTE_PGM_RSRC2:TGID_Z_EN: 1
; COMPUTE_PGM_RSRC2:TIDIG_COMP_CNT: 1
; COMPUTE_PGM_RSRC3_GFX90A:ACCUM_OFFSET: 11
; COMPUTE_PGM_RSRC3_GFX90A:TG_SPLIT: 0
	.section	.text._ZL9moe_vec_qIfLi256ELi16E10block_q3_KLi1EXadL_ZL17vec_dot_q3_K_q8_1PKvPK10block_q8_1RKiEEEvS2_S2_PT_PS6_iiii,"axG",@progbits,_ZL9moe_vec_qIfLi256ELi16E10block_q3_KLi1EXadL_ZL17vec_dot_q3_K_q8_1PKvPK10block_q8_1RKiEEEvS2_S2_PT_PS6_iiii,comdat
	.globl	_ZL9moe_vec_qIfLi256ELi16E10block_q3_KLi1EXadL_ZL17vec_dot_q3_K_q8_1PKvPK10block_q8_1RKiEEEvS2_S2_PT_PS6_iiii ; -- Begin function _ZL9moe_vec_qIfLi256ELi16E10block_q3_KLi1EXadL_ZL17vec_dot_q3_K_q8_1PKvPK10block_q8_1RKiEEEvS2_S2_PT_PS6_iiii
	.p2align	8
	.type	_ZL9moe_vec_qIfLi256ELi16E10block_q3_KLi1EXadL_ZL17vec_dot_q3_K_q8_1PKvPK10block_q8_1RKiEEEvS2_S2_PT_PS6_iiii,@function
_ZL9moe_vec_qIfLi256ELi16E10block_q3_KLi1EXadL_ZL17vec_dot_q3_K_q8_1PKvPK10block_q8_1RKiEEEvS2_S2_PT_PS6_iiii: ; @_ZL9moe_vec_qIfLi256ELi16E10block_q3_KLi1EXadL_ZL17vec_dot_q3_K_q8_1PKvPK10block_q8_1RKiEEEvS2_S2_PT_PS6_iiii
; %bb.0:
	s_mov_b32 s8, s3
	s_load_dword s3, s[0:1], 0x3c
	s_load_dwordx4 s[4:7], s[0:1], 0x20
	v_bfe_u32 v1, v0, 10, 10
	s_waitcnt lgkmcnt(0)
	s_lshr_b32 s3, s3, 16
	s_mul_i32 s2, s2, s3
	v_add_u32_e32 v26, s2, v1
	v_cmp_gt_u32_e32 vcc, s6, v26
	s_and_saveexec_b64 s[2:3], vcc
	s_cbranch_execz .LBB243_7
; %bb.1:
	v_cvt_f32_u32_e32 v1, s4
	v_and_b32_e32 v27, 0x3ff, v0
	s_load_dwordx2 s[2:3], s[0:1], 0x10
	s_ashr_i32 s9, s5, 31
	v_rcp_iflag_f32_e32 v1, v1
	s_lshr_b32 s9, s9, 24
	s_add_i32 s5, s5, s9
	v_lshrrev_b32_e32 v28, 4, v27
	v_mul_f32_e32 v0, 0x4f7ffffe, v1
	v_cvt_u32_f32_e32 v0, v0
	s_ashr_i32 s16, s5, 8
	v_cmp_gt_u32_e32 vcc, s16, v28
	v_mov_b32_e32 v37, 0
	v_readfirstlane_b32 s5, v0
	s_and_saveexec_b64 s[10:11], vcc
	s_cbranch_execz .LBB243_5
; %bb.2:
	s_sub_i32 s12, 0, s4
	v_and_b32_e32 v6, 15, v27
	s_mul_i32 s17, s12, s5
	s_load_dwordx4 s[12:15], s[0:1], 0x0
	s_load_dwordx2 s[18:19], s[0:1], 0x18
	v_cmp_lt_u32_e32 vcc, 7, v6
	v_mov_b32_e32 v1, 0
	s_mov_b32 s9, 0
	v_cndmask_b32_e64 v0, 0, 1, vcc
	v_lshlrev_b32_e32 v30, 2, v0
	v_add_u32_e32 v0, -8, v6
	v_cmp_gt_u32_e32 vcc, 8, v6
	s_mul_hi_u32 s0, s5, s17
	v_mov_b32_e32 v5, v1
	v_cndmask_b32_e32 v4, v0, v6, vcc
	s_add_i32 s5, s5, s0
	s_lshl_b64 s[0:1], s[8:9], 2
	v_lshlrev_b64 v[2:3], 2, v[4:5]
	v_sub_u32_e32 v5, v6, v4
	v_cmp_lt_u32_e32 vcc, 3, v4
	s_waitcnt lgkmcnt(0)
	s_add_u32 s0, s18, s0
	s_mul_hi_u32 s5, s8, s5
	v_addc_co_u32_e32 v16, vcc, 0, v5, vcc
	s_addc_u32 s1, s19, s1
	v_mov_b32_e32 v17, 7
	v_add_u16_e32 v10, 2, v16
	s_load_dword s0, s[0:1], 0x0
	s_mul_i32 s1, s5, s4
	v_mov_b32_e32 v18, 5
	v_mov_b32_e32 v21, 6
	v_lshrrev_b16_sdwa v11, v17, sext(v10) dst_sel:DWORD dst_unused:UNUSED_PAD src0_sel:DWORD src1_sel:BYTE_0
	s_sub_i32 s1, s8, s1
	v_lshrrev_b16_sdwa v8, v18, v11 dst_sel:DWORD dst_unused:UNUSED_PAD src0_sel:DWORD src1_sel:BYTE_0
	v_lshrrev_b16_sdwa v11, v21, v11 dst_sel:DWORD dst_unused:UNUSED_PAD src0_sel:DWORD src1_sel:BYTE_0
	s_add_i32 s17, s5, 1
	s_sub_i32 s18, s1, s4
	v_mov_b32_e32 v20, 2
	v_add_u16_e32 v11, v10, v11
	v_add_u16_e32 v14, 4, v16
	s_cmp_ge_u32 s1, s4
	v_mov_b32_e32 v22, 1
	v_ashrrev_i16_sdwa v12, v20, sext(v11) dst_sel:DWORD dst_unused:UNUSED_PAD src0_sel:DWORD src1_sel:BYTE_0
	v_lshrrev_b16_sdwa v15, v17, sext(v14) dst_sel:DWORD dst_unused:UNUSED_PAD src0_sel:DWORD src1_sel:BYTE_0
	s_cselect_b32 s5, s17, s5
	v_lshlrev_b32_sdwa v34, v22, sext(v12) dst_sel:DWORD dst_unused:UNUSED_PAD src0_sel:DWORD src1_sel:WORD_0
	v_lshrrev_b16_sdwa v12, v18, v15 dst_sel:DWORD dst_unused:UNUSED_PAD src0_sel:DWORD src1_sel:BYTE_0
	v_lshrrev_b16_sdwa v15, v21, v15 dst_sel:DWORD dst_unused:UNUSED_PAD src0_sel:DWORD src1_sel:BYTE_0
	s_cselect_b32 s1, s18, s1
	s_add_i32 s17, s5, 1
	v_lshlrev_b32_e32 v0, 2, v6
	v_lshrrev_b16_sdwa v6, v17, sext(v16) dst_sel:DWORD dst_unused:UNUSED_PAD src0_sel:DWORD src1_sel:BYTE_0
	v_add_u16_e32 v15, v14, v15
	s_cmp_ge_u32 s1, s4
	s_mul_i32 s1, s16, s6
	v_lshrrev_b16_sdwa v4, v18, v6 dst_sel:DWORD dst_unused:UNUSED_PAD src0_sel:DWORD src1_sel:BYTE_0
	v_lshrrev_b16_sdwa v6, v21, v6 dst_sel:DWORD dst_unused:UNUSED_PAD src0_sel:DWORD src1_sel:BYTE_0
	v_lshrrev_b16_sdwa v23, v20, sext(v15) dst_sel:DWORD dst_unused:UNUSED_PAD src0_sel:DWORD src1_sel:BYTE_0
	s_waitcnt lgkmcnt(0)
	s_mul_i32 s0, s1, s0
	v_add_u16_e32 v4, v16, v4
	v_mov_b32_e32 v19, 3
	v_add_u16_e32 v6, v16, v6
	v_lshlrev_b32_sdwa v36, v22, v23 dst_sel:DWORD dst_unused:UNUSED_PAD src0_sel:DWORD src1_sel:BYTE_0
	v_add_u16_e32 v23, 6, v16
	s_cselect_b32 s4, s17, s5
	s_mul_hi_i32 s1, s0, 0x6e
	s_mulk_i32 s0, 0x6e
	v_lshrrev_b16_sdwa v5, v19, sext(v4) dst_sel:DWORD dst_unused:UNUSED_PAD src0_sel:DWORD src1_sel:BYTE_0
	v_and_b32_e32 v4, 0xf8, v4
	v_ashrrev_i16_sdwa v7, v20, sext(v6) dst_sel:DWORD dst_unused:UNUSED_PAD src0_sel:DWORD src1_sel:BYTE_0
	v_and_b32_e32 v6, 0xfc, v6
	v_lshrrev_b16_sdwa v24, v17, sext(v23) dst_sel:DWORD dst_unused:UNUSED_PAD src0_sel:DWORD src1_sel:BYTE_0
	s_add_u32 s0, s12, s0
	s_mul_i32 s4, s4, s7
	s_mov_b32 s5, s9
	v_sub_u16_e32 v4, v16, v4
	v_sub_u16_e32 v6, v16, v6
	v_lshrrev_b16_sdwa v16, v18, v24 dst_sel:DWORD dst_unused:UNUSED_PAD src0_sel:DWORD src1_sel:BYTE_0
	v_lshrrev_b16_sdwa v18, v21, v24 dst_sel:DWORD dst_unused:UNUSED_PAD src0_sel:DWORD src1_sel:BYTE_0
	s_addc_u32 s1, s13, s1
	s_lshl_b64 s[4:5], s[4:5], 2
	v_add_u16_e32 v8, v10, v8
	v_add_u16_e32 v12, v14, v12
	;; [unrolled: 1-line block ×4, first 2 shown]
	s_add_u32 s4, s14, s4
	v_lshrrev_b16_sdwa v9, v19, sext(v8) dst_sel:DWORD dst_unused:UNUSED_PAD src0_sel:DWORD src1_sel:BYTE_0
	v_and_b32_e32 v8, 0xf8, v8
	v_and_b32_e32 v11, 0xfc, v11
	v_lshrrev_b16_sdwa v13, v19, sext(v12) dst_sel:DWORD dst_unused:UNUSED_PAD src0_sel:DWORD src1_sel:BYTE_0
	v_and_b32_e32 v12, 0xf8, v12
	v_and_b32_e32 v15, 0xfc, v15
	v_lshrrev_b16_sdwa v17, v19, sext(v16) dst_sel:DWORD dst_unused:UNUSED_PAD src0_sel:DWORD src1_sel:BYTE_0
	v_and_b32_e32 v16, 0xf8, v16
	v_lshrrev_b16_sdwa v19, v20, sext(v18) dst_sel:DWORD dst_unused:UNUSED_PAD src0_sel:DWORD src1_sel:BYTE_0
	v_and_b32_e32 v18, 0xfc, v18
	s_addc_u32 s5, s15, s5
	v_sub_u16_e32 v8, v10, v8
	v_sub_u16_e32 v10, v10, v11
	;; [unrolled: 1-line block ×6, first 2 shown]
	v_lshlrev_b32_sdwa v31, v20, v5 dst_sel:DWORD dst_unused:UNUSED_PAD src0_sel:DWORD src1_sel:BYTE_0
	v_bfe_i32 v4, v4, 0, 8
	v_bfe_i32 v6, v6, 0, 8
	v_lshlrev_b32_sdwa v33, v20, v9 dst_sel:DWORD dst_unused:UNUSED_PAD src0_sel:DWORD src1_sel:BYTE_0
	v_bfe_i32 v8, v8, 0, 8
	v_bfe_i32 v10, v10, 0, 8
	;; [unrolled: 3-line block ×4, first 2 shown]
	v_mad_u64_u32 v[20:21], s[4:5], v30, 36, s[4:5]
	s_movk_i32 s17, 0x6e
	v_mul_lo_u32 v29, v26, s16
	v_ashrrev_i32_e32 v5, 31, v4
	v_lshlrev_b32_sdwa v32, v22, sext(v7) dst_sel:DWORD dst_unused:UNUSED_PAD src0_sel:DWORD src1_sel:WORD_0
	v_ashrrev_i32_e32 v7, 31, v6
	v_ashrrev_i32_e32 v9, 31, v8
	v_ashrrev_i32_e32 v11, 31, v10
	v_ashrrev_i32_e32 v13, 31, v12
	v_ashrrev_i32_e32 v15, 31, v14
	v_ashrrev_i32_e32 v17, 31, v16
	v_lshlrev_b32_sdwa v39, v22, v19 dst_sel:DWORD dst_unused:UNUSED_PAD src0_sel:DWORD src1_sel:BYTE_0
	v_ashrrev_i32_e32 v19, 31, v18
	v_lshlrev_b32_e32 v40, 3, v28
	s_mov_b64 s[4:5], 0
	s_mov_b64 s[12:13], 0x48
	;; [unrolled: 1-line block ×3, first 2 shown]
	v_mov_b32_e32 v37, v1
.LBB243_3:                              ; =>This Inner Loop Header: Depth=1
	v_add_u32_e32 v41, v29, v28
	v_mov_b64_e32 v[24:25], s[0:1]
	v_mad_i64_i32 v[24:25], s[18:19], v41, s17, v[24:25]
	v_lshl_add_u64 v[48:49], v[24:25], 0, v[2:3]
	v_mad_i64_i32 v[22:23], s[18:19], v40, 36, v[20:21]
	global_load_dword v54, v[48:49], off
	v_lshl_add_u64 v[42:43], v[22:23], 0, v[2:3]
	v_lshl_add_u64 v[44:45], v[22:23], 0, s[12:13]
	;; [unrolled: 1-line block ×3, first 2 shown]
	global_load_dword v41, v[42:43], off offset:4
	v_lshl_add_u64 v[42:43], v[44:45], 0, v[2:3]
	global_load_dword v55, v[46:47], off offset:32
	global_load_dword v56, v[42:43], off offset:4
	v_lshl_add_u64 v[44:45], v[24:25], 0, v[4:5]
	v_lshl_add_u64 v[50:51], v[24:25], 0, v[6:7]
	;; [unrolled: 1-line block ×5, first 2 shown]
	global_load_ubyte v57, v[44:45], off offset:96
	global_load_ubyte v58, v[50:51], off offset:104
	v_lshl_add_u64 v[44:45], v[24:25], 0, v[14:15]
	global_load_ubyte v50, v[52:53], off offset:96
	global_load_ubyte v51, v[48:49], off offset:104
	v_lshl_add_u64 v[46:47], v[24:25], 0, v[16:17]
	;; [unrolled: 3-line block ×3, first 2 shown]
	global_load_ubyte v44, v[46:47], off offset:96
	global_load_ubyte v45, v[42:43], off offset:104
	v_add_u32_e32 v28, 4, v28
	v_cmp_le_u32_e32 vcc, s16, v28
	v_add_u32_e32 v40, 32, v40
	s_or_b64 s[4:5], vcc, s[4:5]
	s_waitcnt vmcnt(11)
	v_ashrrev_i32_e32 v42, v30, v54
	v_not_b32_e32 v46, v42
	v_and_b32_e32 v47, 0x4040404, v46
	s_waitcnt vmcnt(9)
	v_lshrrev_b32_e32 v43, 4, v55
	v_and_b32_e32 v42, 0x3030303, v43
	v_bfe_u32 v43, v43, 24, 2
	v_sub_u16_sdwa v43, v43, v47 dst_sel:BYTE_1 dst_unused:UNUSED_PAD src0_sel:DWORD src1_sel:BYTE_3
	v_sub_u16_e32 v52, v42, v47
	v_sub_u16_sdwa v53, v42, v47 dst_sel:BYTE_1 dst_unused:UNUSED_PAD src0_sel:BYTE_1 src1_sel:BYTE_1
	v_sub_u16_sdwa v42, v42, v47 dst_sel:DWORD dst_unused:UNUSED_PAD src0_sel:WORD_1 src1_sel:WORD_1
	v_or_b32_sdwa v47, v52, v53 dst_sel:DWORD dst_unused:UNUSED_PAD src0_sel:BYTE_0 src1_sel:DWORD
	v_or_b32_sdwa v42, v42, v43 dst_sel:WORD_1 dst_unused:UNUSED_PAD src0_sel:BYTE_0 src1_sel:DWORD
	v_lshlrev_b32_e32 v43, 2, v46
	v_or_b32_sdwa v42, v47, v42 dst_sel:DWORD dst_unused:UNUSED_PAD src0_sel:WORD_0 src1_sel:DWORD
	v_mov_b32_e32 v47, 0
	s_waitcnt vmcnt(8)
	v_dot4c_i32_i8_e32 v47, v42, v56
	v_bfe_u32 v42, v55, 24, 2
	v_and_b32_e32 v43, 0x4040404, v43
	v_and_b32_e32 v52, 0x3030303, v55
	v_sub_u16_sdwa v42, v42, v43 dst_sel:BYTE_1 dst_unused:UNUSED_PAD src0_sel:DWORD src1_sel:BYTE_3
	v_sub_u16_e32 v53, v52, v43
	v_sub_u16_sdwa v54, v52, v43 dst_sel:BYTE_1 dst_unused:UNUSED_PAD src0_sel:BYTE_1 src1_sel:BYTE_1
	v_sub_u16_sdwa v43, v52, v43 dst_sel:DWORD dst_unused:UNUSED_PAD src0_sel:WORD_1 src1_sel:WORD_1
	v_or_b32_sdwa v52, v53, v54 dst_sel:DWORD dst_unused:UNUSED_PAD src0_sel:BYTE_0 src1_sel:DWORD
	v_or_b32_sdwa v42, v43, v42 dst_sel:WORD_1 dst_unused:UNUSED_PAD src0_sel:BYTE_0 src1_sel:DWORD
	s_nop 0
	v_or_b32_sdwa v42, v52, v42 dst_sel:DWORD dst_unused:UNUSED_PAD src0_sel:WORD_0 src1_sel:DWORD
	v_mov_b32_e32 v52, 0
	v_dot4c_i32_i8_e32 v52, v42, v41
	v_lshl_add_u64 v[42:43], v[22:23], 0, 36
	v_lshl_add_u64 v[42:43], v[42:43], 0, v[2:3]
	global_load_dword v41, v[42:43], off offset:4
	v_lshl_add_u64 v[42:43], v[22:23], 0, s[14:15]
	v_lshl_add_u64 v[42:43], v[42:43], 0, v[2:3]
	global_load_dword v53, v[42:43], off offset:4
	global_load_dword v54, v[22:23], off
	global_load_dword v56, v[22:23], off offset:36
	global_load_dword v59, v[22:23], off offset:72
	;; [unrolled: 1-line block ×3, first 2 shown]
	global_load_ushort v61, v[24:25], off offset:108
	s_waitcnt vmcnt(13)
	v_lshrrev_b32_e32 v23, v32, v58
	v_bfe_u32 v22, v57, v31, 4
	v_lshlrev_b32_e32 v23, 4, v23
	s_waitcnt vmcnt(11)
	v_lshrrev_b32_e32 v24, v34, v51
	s_waitcnt vmcnt(8)
	v_bfe_u32 v43, v44, v38, 4
	s_waitcnt vmcnt(7)
	v_lshrrev_b32_e32 v44, v39, v45
	v_and_or_b32 v22, v23, 48, v22
	v_bfe_u32 v23, v50, v33, 4
	v_lshlrev_b32_e32 v24, 4, v24
	v_lshrrev_b32_e32 v42, v36, v49
	v_lshlrev_b32_e32 v44, 4, v44
	v_and_or_b32 v23, v24, 48, v23
	v_lshrrev_b32_e32 v24, 2, v55
	v_bfe_u32 v25, v48, v35, 4
	v_lshlrev_b32_e32 v42, 4, v42
	v_and_or_b32 v43, v44, 48, v43
	v_lshlrev_b32_e32 v44, 1, v46
	v_and_or_b32 v25, v42, 48, v25
	v_and_b32_e32 v42, 0x3030303, v24
	v_bfe_u32 v24, v24, 24, 2
	v_and_b32_e32 v44, 0x4040404, v44
	v_sub_u16_sdwa v24, v24, v44 dst_sel:BYTE_1 dst_unused:UNUSED_PAD src0_sel:DWORD src1_sel:BYTE_3
	v_sub_u16_e32 v45, v42, v44
	v_sub_u16_sdwa v48, v42, v44 dst_sel:BYTE_1 dst_unused:UNUSED_PAD src0_sel:BYTE_1 src1_sel:BYTE_1
	v_sub_u16_sdwa v42, v42, v44 dst_sel:DWORD dst_unused:UNUSED_PAD src0_sel:WORD_1 src1_sel:WORD_1
	v_lshrrev_b32_e32 v44, 6, v55
	v_lshrrev_b32_e32 v46, 1, v46
	;; [unrolled: 1-line block ×3, first 2 shown]
	v_and_b32_e32 v44, 0x3030303, v44
	v_and_b32_e32 v46, 0x4040404, v46
	v_or_b32_sdwa v45, v45, v48 dst_sel:DWORD dst_unused:UNUSED_PAD src0_sel:BYTE_0 src1_sel:DWORD
	v_or_b32_sdwa v24, v42, v24 dst_sel:WORD_1 dst_unused:UNUSED_PAD src0_sel:BYTE_0 src1_sel:DWORD
	v_sub_u16_sdwa v49, v49, v46 dst_sel:BYTE_1 dst_unused:UNUSED_PAD src0_sel:DWORD src1_sel:BYTE_3
	v_sub_u16_e32 v50, v44, v46
	v_sub_u16_sdwa v51, v44, v46 dst_sel:BYTE_1 dst_unused:UNUSED_PAD src0_sel:BYTE_1 src1_sel:BYTE_1
	v_sub_u16_sdwa v44, v44, v46 dst_sel:DWORD dst_unused:UNUSED_PAD src0_sel:WORD_1 src1_sel:WORD_1
	v_mov_b32_e32 v46, 0
	v_or_b32_sdwa v24, v45, v24 dst_sel:DWORD dst_unused:UNUSED_PAD src0_sel:WORD_0 src1_sel:DWORD
	v_subrev_u32_e32 v22, 32, v22
	v_or_b32_sdwa v42, v50, v51 dst_sel:DWORD dst_unused:UNUSED_PAD src0_sel:BYTE_0 src1_sel:DWORD
	v_or_b32_sdwa v44, v44, v49 dst_sel:WORD_1 dst_unused:UNUSED_PAD src0_sel:BYTE_0 src1_sel:DWORD
	v_subrev_u32_e32 v23, 32, v23
	v_mul_lo_u32 v22, v22, v52
	v_mov_b32_e32 v45, 0
	v_subrev_u32_e32 v25, 32, v25
	v_or_b32_sdwa v42, v42, v44 dst_sel:DWORD dst_unused:UNUSED_PAD src0_sel:WORD_0 src1_sel:DWORD
	v_cvt_f32_i32_e32 v22, v22
	v_subrev_u32_e32 v43, 32, v43
	s_waitcnt vmcnt(5)
	v_dot4c_i32_i8_e32 v45, v42, v53
	s_waitcnt vmcnt(4)
	v_fma_mix_f32 v22, v54, v22, 0 op_sel_hi:[1,0,0]
	v_dot4c_i32_i8_e32 v46, v24, v41
	v_mul_lo_u32 v24, v25, v47
	v_cvt_f32_i32_e32 v24, v24
	v_mul_lo_u32 v25, v43, v45
	v_mul_lo_u32 v23, v23, v46
	v_cvt_f32_i32_e32 v23, v23
	v_cvt_f32_i32_e32 v25, v25
	s_waitcnt vmcnt(3)
	v_fma_mix_f32 v22, v56, v23, v22 op_sel_hi:[1,0,0]
	s_waitcnt vmcnt(2)
	v_fma_mix_f32 v22, v59, v24, v22 op_sel_hi:[1,0,0]
	;; [unrolled: 2-line block ×4, first 2 shown]
	s_andn2_b64 exec, exec, s[4:5]
	s_cbranch_execnz .LBB243_3
; %bb.4:
	s_or_b64 exec, exec, s[4:5]
.LBB243_5:
	s_or_b64 exec, exec, s[10:11]
	v_mbcnt_lo_u32_b32 v0, -1, 0
	v_mbcnt_hi_u32_b32 v1, -1, v0
	v_and_b32_e32 v0, 64, v1
	v_add_u32_e32 v2, 64, v0
	v_xor_b32_e32 v0, 32, v1
	v_cmp_lt_i32_e32 vcc, v0, v2
	v_xor_b32_e32 v3, 16, v1
	v_xor_b32_e32 v4, 8, v1
	v_cndmask_b32_e32 v0, v1, v0, vcc
	v_lshlrev_b32_e32 v0, 2, v0
	ds_bpermute_b32 v0, v0, v37
	v_cmp_lt_i32_e32 vcc, v3, v2
	s_waitcnt lgkmcnt(0)
	v_add_f32_e32 v0, v37, v0
	v_cndmask_b32_e32 v3, v1, v3, vcc
	v_lshlrev_b32_e32 v3, 2, v3
	ds_bpermute_b32 v3, v3, v0
	v_cmp_lt_i32_e32 vcc, v4, v2
	s_waitcnt lgkmcnt(0)
	v_add_f32_e32 v0, v0, v3
	v_cndmask_b32_e32 v3, v1, v4, vcc
	v_lshlrev_b32_e32 v3, 2, v3
	ds_bpermute_b32 v3, v3, v0
	v_xor_b32_e32 v4, 4, v1
	v_cmp_lt_i32_e32 vcc, v4, v2
	s_waitcnt lgkmcnt(0)
	v_add_f32_e32 v0, v0, v3
	v_cndmask_b32_e32 v3, v1, v4, vcc
	v_lshlrev_b32_e32 v3, 2, v3
	ds_bpermute_b32 v3, v3, v0
	v_xor_b32_e32 v4, 2, v1
	;; [unrolled: 7-line block ×3, first 2 shown]
	v_cmp_lt_i32_e32 vcc, v4, v2
	s_waitcnt lgkmcnt(0)
	v_add_f32_e32 v0, v0, v3
	v_cndmask_b32_e32 v1, v1, v4, vcc
	v_lshlrev_b32_e32 v1, 2, v1
	ds_bpermute_b32 v1, v1, v0
	v_cmp_eq_u32_e32 vcc, 0, v27
	s_and_b64 exec, exec, vcc
	s_cbranch_execz .LBB243_7
; %bb.6:
	s_mul_i32 s0, s8, s6
	s_waitcnt lgkmcnt(0)
	v_add_f32_e32 v2, v0, v1
	v_add_u32_e32 v0, s0, v26
	v_mov_b32_e32 v1, 0
	v_lshl_add_u64 v[0:1], v[0:1], 2, s[2:3]
	global_store_dword v[0:1], v2, off
.LBB243_7:
	s_endpgm
	.section	.rodata,"a",@progbits
	.p2align	6, 0x0
	.amdhsa_kernel _ZL9moe_vec_qIfLi256ELi16E10block_q3_KLi1EXadL_ZL17vec_dot_q3_K_q8_1PKvPK10block_q8_1RKiEEEvS2_S2_PT_PS6_iiii
		.amdhsa_group_segment_fixed_size 0
		.amdhsa_private_segment_fixed_size 0
		.amdhsa_kernarg_size 304
		.amdhsa_user_sgpr_count 2
		.amdhsa_user_sgpr_dispatch_ptr 0
		.amdhsa_user_sgpr_queue_ptr 0
		.amdhsa_user_sgpr_kernarg_segment_ptr 1
		.amdhsa_user_sgpr_dispatch_id 0
		.amdhsa_user_sgpr_kernarg_preload_length 0
		.amdhsa_user_sgpr_kernarg_preload_offset 0
		.amdhsa_user_sgpr_private_segment_size 0
		.amdhsa_uses_dynamic_stack 0
		.amdhsa_enable_private_segment 0
		.amdhsa_system_sgpr_workgroup_id_x 1
		.amdhsa_system_sgpr_workgroup_id_y 0
		.amdhsa_system_sgpr_workgroup_id_z 1
		.amdhsa_system_sgpr_workgroup_info 0
		.amdhsa_system_vgpr_workitem_id 1
		.amdhsa_next_free_vgpr 62
		.amdhsa_next_free_sgpr 20
		.amdhsa_accum_offset 64
		.amdhsa_reserve_vcc 1
		.amdhsa_float_round_mode_32 0
		.amdhsa_float_round_mode_16_64 0
		.amdhsa_float_denorm_mode_32 3
		.amdhsa_float_denorm_mode_16_64 3
		.amdhsa_dx10_clamp 1
		.amdhsa_ieee_mode 1
		.amdhsa_fp16_overflow 0
		.amdhsa_tg_split 0
		.amdhsa_exception_fp_ieee_invalid_op 0
		.amdhsa_exception_fp_denorm_src 0
		.amdhsa_exception_fp_ieee_div_zero 0
		.amdhsa_exception_fp_ieee_overflow 0
		.amdhsa_exception_fp_ieee_underflow 0
		.amdhsa_exception_fp_ieee_inexact 0
		.amdhsa_exception_int_div_zero 0
	.end_amdhsa_kernel
	.section	.text._ZL9moe_vec_qIfLi256ELi16E10block_q3_KLi1EXadL_ZL17vec_dot_q3_K_q8_1PKvPK10block_q8_1RKiEEEvS2_S2_PT_PS6_iiii,"axG",@progbits,_ZL9moe_vec_qIfLi256ELi16E10block_q3_KLi1EXadL_ZL17vec_dot_q3_K_q8_1PKvPK10block_q8_1RKiEEEvS2_S2_PT_PS6_iiii,comdat
.Lfunc_end243:
	.size	_ZL9moe_vec_qIfLi256ELi16E10block_q3_KLi1EXadL_ZL17vec_dot_q3_K_q8_1PKvPK10block_q8_1RKiEEEvS2_S2_PT_PS6_iiii, .Lfunc_end243-_ZL9moe_vec_qIfLi256ELi16E10block_q3_KLi1EXadL_ZL17vec_dot_q3_K_q8_1PKvPK10block_q8_1RKiEEEvS2_S2_PT_PS6_iiii
                                        ; -- End function
	.section	.AMDGPU.csdata,"",@progbits
; Kernel info:
; codeLenInByte = 2108
; NumSgprs: 26
; NumVgprs: 62
; NumAgprs: 0
; TotalNumVgprs: 62
; ScratchSize: 0
; MemoryBound: 0
; FloatMode: 240
; IeeeMode: 1
; LDSByteSize: 0 bytes/workgroup (compile time only)
; SGPRBlocks: 3
; VGPRBlocks: 7
; NumSGPRsForWavesPerEU: 26
; NumVGPRsForWavesPerEU: 62
; AccumOffset: 64
; Occupancy: 8
; WaveLimiterHint : 1
; COMPUTE_PGM_RSRC2:SCRATCH_EN: 0
; COMPUTE_PGM_RSRC2:USER_SGPR: 2
; COMPUTE_PGM_RSRC2:TRAP_HANDLER: 0
; COMPUTE_PGM_RSRC2:TGID_X_EN: 1
; COMPUTE_PGM_RSRC2:TGID_Y_EN: 0
; COMPUTE_PGM_RSRC2:TGID_Z_EN: 1
; COMPUTE_PGM_RSRC2:TIDIG_COMP_CNT: 1
; COMPUTE_PGM_RSRC3_GFX90A:ACCUM_OFFSET: 15
; COMPUTE_PGM_RSRC3_GFX90A:TG_SPLIT: 0
	.section	.text._ZL9moe_vec_qIfLi256ELi32E10block_q4_KLi2EXadL_ZL17vec_dot_q4_K_q8_1PKvPK10block_q8_1RKiEEEvS2_S2_PT_PS6_iiii,"axG",@progbits,_ZL9moe_vec_qIfLi256ELi32E10block_q4_KLi2EXadL_ZL17vec_dot_q4_K_q8_1PKvPK10block_q8_1RKiEEEvS2_S2_PT_PS6_iiii,comdat
	.globl	_ZL9moe_vec_qIfLi256ELi32E10block_q4_KLi2EXadL_ZL17vec_dot_q4_K_q8_1PKvPK10block_q8_1RKiEEEvS2_S2_PT_PS6_iiii ; -- Begin function _ZL9moe_vec_qIfLi256ELi32E10block_q4_KLi2EXadL_ZL17vec_dot_q4_K_q8_1PKvPK10block_q8_1RKiEEEvS2_S2_PT_PS6_iiii
	.p2align	8
	.type	_ZL9moe_vec_qIfLi256ELi32E10block_q4_KLi2EXadL_ZL17vec_dot_q4_K_q8_1PKvPK10block_q8_1RKiEEEvS2_S2_PT_PS6_iiii,@function
_ZL9moe_vec_qIfLi256ELi32E10block_q4_KLi2EXadL_ZL17vec_dot_q4_K_q8_1PKvPK10block_q8_1RKiEEEvS2_S2_PT_PS6_iiii: ; @_ZL9moe_vec_qIfLi256ELi32E10block_q4_KLi2EXadL_ZL17vec_dot_q4_K_q8_1PKvPK10block_q8_1RKiEEEvS2_S2_PT_PS6_iiii
; %bb.0:
	s_mov_b32 s8, s3
	s_load_dword s3, s[0:1], 0x3c
	s_load_dwordx4 s[4:7], s[0:1], 0x20
	v_bfe_u32 v1, v0, 10, 10
	s_waitcnt lgkmcnt(0)
	s_lshr_b32 s3, s3, 16
	s_mul_i32 s2, s2, s3
	v_add_u32_e32 v16, s2, v1
	v_cmp_gt_u32_e32 vcc, s6, v16
	s_and_saveexec_b64 s[2:3], vcc
	s_cbranch_execz .LBB244_11
; %bb.1:
	s_load_dwordx2 s[2:3], s[0:1], 0x10
	s_ashr_i32 s9, s5, 31
	s_lshr_b32 s9, s9, 24
	s_add_i32 s5, s5, s9
	v_and_b32_e32 v17, 0x3ff, v0
	s_ashr_i32 s12, s5, 8
	v_lshrrev_b32_e32 v18, 4, v17
	v_cmp_gt_u32_e32 vcc, s12, v18
	v_mov_b32_e32 v20, 0
	s_and_saveexec_b64 s[10:11], vcc
	s_cbranch_execz .LBB244_9
; %bb.2:
	s_load_dwordx2 s[14:15], s[0:1], 0x18
	v_cvt_f32_u32_e32 v0, s4
	s_mov_b32 s9, 0
	s_lshl_b64 s[16:17], s[8:9], 2
	v_mov_b32_e32 v1, 0
	s_waitcnt lgkmcnt(0)
	s_add_u32 s14, s14, s16
	v_rcp_iflag_f32_e32 v0, v0
	s_addc_u32 s15, s15, s17
	s_load_dword s5, s[14:15], 0x0
	s_load_dwordx4 s[16:19], s[0:1], 0x0
	s_mul_i32 s0, s12, s6
	v_mul_f32_e32 v0, 0x4f7ffffe, v0
	v_cvt_u32_f32_e32 v0, v0
	s_waitcnt lgkmcnt(0)
	s_mul_i32 s0, s0, s5
	s_mul_hi_i32 s1, s0, 0x90
	s_mulk_i32 s0, 0x90
	s_add_u32 s0, s16, s0
	s_addc_u32 s1, s17, s1
	s_sub_i32 s5, 0, s4
	v_readfirstlane_b32 s14, v0
	s_mul_i32 s5, s5, s14
	s_mul_hi_u32 s5, s14, s5
	s_add_i32 s14, s14, s5
	s_mul_hi_u32 s5, s8, s14
	s_mul_i32 s14, s5, s4
	s_sub_i32 s14, s8, s14
	s_add_i32 s15, s5, 1
	s_sub_i32 s16, s14, s4
	s_cmp_ge_u32 s14, s4
	s_cselect_b32 s5, s15, s5
	s_cselect_b32 s14, s16, s14
	s_add_i32 s15, s5, 1
	s_cmp_ge_u32 s14, s4
	s_cselect_b32 s4, s15, s5
	s_mul_i32 s4, s4, s7
	s_mov_b32 s5, s9
	s_lshl_b64 s[4:5], s[4:5], 2
	v_lshlrev_b32_e32 v0, 1, v17
	s_add_u32 s4, s18, s4
	v_and_b32_e32 v4, 30, v0
	v_bfe_u32 v8, v0, 3, 2
	s_addc_u32 s5, s19, s5
	v_cmp_lt_u32_e32 vcc, 15, v4
	v_lshlrev_b32_e32 v4, 1, v8
	v_and_b32_e32 v10, 3, v17
	v_mad_u64_u32 v[4:5], s[4:5], v4, 36, s[4:5]
	s_movk_i32 s13, 0x90
	v_mul_lo_u32 v19, v16, s12
	v_lshlrev_b32_e32 v0, 5, v8
	v_lshlrev_b32_e32 v2, 2, v10
	v_mov_b32_e32 v3, v1
	v_lshlrev_b32_e32 v21, 3, v18
	s_mov_b64 s[4:5], 0
	v_mov_b64_e32 v[6:7], s[0:1]
	v_lshlrev_b32_e32 v8, 1, v8
	v_mov_b32_e32 v9, v1
	s_mov_b32 s7, 0x5040100
	s_mov_b32 s9, 0x30303030
	v_lshlrev_b32_e32 v10, 2, v10
	v_mov_b32_e32 v11, v1
	v_mov_b32_e32 v20, v1
	s_branch .LBB244_4
.LBB244_3:                              ;   in Loop: Header=BB244_4 Depth=1
	s_or_b64 exec, exec, s[0:1]
	v_mad_i64_i32 v[14:15], s[0:1], v21, 36, v[4:5]
	global_load_dword v25, v[14:15], off
	v_lshl_add_u64 v[26:27], v[14:15], 0, v[10:11]
	global_load_dword v28, v[12:13], off
	global_load_dword v29, v[26:27], off offset:20
	global_load_dword v30, v[26:27], off offset:40
	global_load_dword v31, v[26:27], off offset:56
	global_load_dword v32, v[14:15], off offset:36
	global_load_dword v33, v[26:27], off offset:4
	s_waitcnt vmcnt(8)
	v_and_b32_e32 v15, 0xf0f0f0f, v23
	v_mov_b32_e32 v27, 0
	v_mov_b32_e32 v34, 0
	v_lshrrev_b32_e32 v14, 4, v23
	v_pk_lshrrev_b16 v12, 8, v24 op_sel_hi:[0,1]
	s_waitcnt vmcnt(7)
	v_and_b32_e32 v26, 0xf0f0f0f, v22
	v_and_b32_e32 v13, 0xff00ff, v24
	v_lshrrev_b32_e32 v22, 4, v22
	v_mov_b32_e32 v23, 0
	v_mov_b32_e32 v24, 0
	v_and_b32_e32 v35, 0xf0f0f0f, v14
	v_and_b32_e32 v36, 0xf0f0f0f, v22
	v_lshrrev_b32_e32 v38, 16, v13
	v_and_b32_e32 v39, 0xff, v13
	v_lshrrev_b32_e32 v37, 16, v12
	v_and_b32_e32 v12, 0xff, v12
	v_add_u32_e32 v18, 4, v18
	v_cmp_le_u32_e64 s[0:1], s12, v18
	s_or_b64 s[4:5], s[0:1], s[4:5]
	v_add_u32_e32 v21, 32, v21
	s_waitcnt vmcnt(5)
	v_cvt_f32_f16_sdwa v13, v28 dst_sel:DWORD dst_unused:UNUSED_PAD src0_sel:WORD_1
	s_waitcnt vmcnt(3)
	v_dot4c_i32_i8_e32 v23, v35, v30
	v_dot4c_i32_i8_e32 v24, 0x1010101, v30
	v_cvt_f32_f16_e32 v14, v25
	s_waitcnt vmcnt(0)
	v_dot4c_i32_i8_e32 v27, v15, v33
	v_dot4c_i32_i8_e32 v34, 0x1010101, v33
	;; [unrolled: 1-line block ×6, first 2 shown]
	v_mul_lo_u32 v15, v27, v39
	v_mul_lo_u32 v25, v34, v38
	;; [unrolled: 1-line block ×4, first 2 shown]
	v_cvt_f32_i32_e32 v25, v25
	v_cvt_f32_i32_e32 v24, v15
	v_cvt_f32_f16_e32 v22, v32
	v_cvt_f32_i32_e32 v27, v23
	v_cvt_f32_i32_e32 v26, v12
	v_cvt_f32_f16_e32 v12, v28
	v_pk_fma_f32 v[14:15], v[14:15], v[24:25], 0 op_sel_hi:[0,1,0]
	v_pk_fma_f32 v[14:15], v[22:23], v[26:27], v[14:15] op_sel_hi:[0,1,1]
	v_pk_mul_f32 v[12:13], v[14:15], v[12:13]
	s_nop 0
	v_sub_f32_e32 v12, v12, v13
	v_add_f32_e32 v20, v20, v12
	s_andn2_b64 exec, exec, s[4:5]
	s_cbranch_execz .LBB244_8
.LBB244_4:                              ; =>This Inner Loop Header: Depth=1
	v_add_u32_e32 v12, v19, v18
	v_mad_i64_i32 v[12:13], s[0:1], v12, s13, v[6:7]
	v_lshl_add_u64 v[14:15], v[12:13], 0, v[0:1]
	v_lshl_add_u64 v[14:15], v[14:15], 0, v[2:3]
	global_load_dword v23, v[14:15], off offset:16
	global_load_dword v22, v[14:15], off offset:32
	v_lshl_add_u64 v[14:15], v[12:13], 0, v[8:9]
                                        ; implicit-def: $vgpr24
	s_and_saveexec_b64 s[0:1], vcc
	s_xor_b64 s[0:1], exec, s[0:1]
	s_cbranch_execz .LBB244_6
; %bb.5:                                ;   in Loop: Header=BB244_4 Depth=1
	global_load_ushort v24, v[14:15], off
	global_load_ushort v25, v[14:15], off offset:8
	global_load_ushort v26, v[14:15], off offset:4
	s_waitcnt vmcnt(1)
	v_lshrrev_b16_e32 v14, 4, v25
	s_waitcnt vmcnt(0)
	v_perm_b32 v15, v26, v24, s7
	v_perm_b32 v14, v14, v25, s7
	v_and_b32_e32 v14, 0xf0f0f0f, v14
	v_pk_lshrrev_b16 v15, 2, v15 op_sel_hi:[0,1]
	v_and_or_b32 v24, v15, s9, v14
                                        ; implicit-def: $vgpr14_vgpr15
.LBB244_6:                              ;   in Loop: Header=BB244_4 Depth=1
	s_andn2_saveexec_b64 s[0:1], s[0:1]
	s_cbranch_execz .LBB244_3
; %bb.7:                                ;   in Loop: Header=BB244_4 Depth=1
	global_load_ushort v24, v[14:15], off offset:4
	global_load_ushort v25, v[14:15], off offset:8
	s_waitcnt vmcnt(0)
	v_perm_b32 v14, v25, v24, s7
	v_and_b32_e32 v24, 0x3f3f3f3f, v14
	s_branch .LBB244_3
.LBB244_8:
	s_or_b64 exec, exec, s[4:5]
.LBB244_9:
	s_or_b64 exec, exec, s[10:11]
	v_mbcnt_lo_u32_b32 v0, -1, 0
	v_mbcnt_hi_u32_b32 v1, -1, v0
	v_and_b32_e32 v0, 64, v1
	v_add_u32_e32 v2, 64, v0
	v_xor_b32_e32 v0, 32, v1
	v_cmp_lt_i32_e32 vcc, v0, v2
	v_xor_b32_e32 v3, 16, v1
	v_xor_b32_e32 v4, 8, v1
	v_cndmask_b32_e32 v0, v1, v0, vcc
	v_lshlrev_b32_e32 v0, 2, v0
	ds_bpermute_b32 v0, v0, v20
	v_cmp_lt_i32_e32 vcc, v3, v2
	s_waitcnt lgkmcnt(0)
	v_add_f32_e32 v0, v20, v0
	v_cndmask_b32_e32 v3, v1, v3, vcc
	v_lshlrev_b32_e32 v3, 2, v3
	ds_bpermute_b32 v3, v3, v0
	v_cmp_lt_i32_e32 vcc, v4, v2
	s_waitcnt lgkmcnt(0)
	v_add_f32_e32 v0, v0, v3
	v_cndmask_b32_e32 v3, v1, v4, vcc
	v_lshlrev_b32_e32 v3, 2, v3
	ds_bpermute_b32 v3, v3, v0
	v_xor_b32_e32 v4, 4, v1
	v_cmp_lt_i32_e32 vcc, v4, v2
	s_waitcnt lgkmcnt(0)
	v_add_f32_e32 v0, v0, v3
	v_cndmask_b32_e32 v3, v1, v4, vcc
	v_lshlrev_b32_e32 v3, 2, v3
	ds_bpermute_b32 v3, v3, v0
	v_xor_b32_e32 v4, 2, v1
	;; [unrolled: 7-line block ×3, first 2 shown]
	v_cmp_lt_i32_e32 vcc, v4, v2
	s_waitcnt lgkmcnt(0)
	v_add_f32_e32 v0, v0, v3
	v_cndmask_b32_e32 v1, v1, v4, vcc
	v_lshlrev_b32_e32 v1, 2, v1
	ds_bpermute_b32 v1, v1, v0
	v_cmp_eq_u32_e32 vcc, 0, v17
	s_and_b64 exec, exec, vcc
	s_cbranch_execz .LBB244_11
; %bb.10:
	s_mul_i32 s0, s8, s6
	s_waitcnt lgkmcnt(0)
	v_add_f32_e32 v2, v0, v1
	v_add_u32_e32 v0, s0, v16
	v_mov_b32_e32 v1, 0
	v_lshl_add_u64 v[0:1], v[0:1], 2, s[2:3]
	global_store_dword v[0:1], v2, off
.LBB244_11:
	s_endpgm
	.section	.rodata,"a",@progbits
	.p2align	6, 0x0
	.amdhsa_kernel _ZL9moe_vec_qIfLi256ELi32E10block_q4_KLi2EXadL_ZL17vec_dot_q4_K_q8_1PKvPK10block_q8_1RKiEEEvS2_S2_PT_PS6_iiii
		.amdhsa_group_segment_fixed_size 0
		.amdhsa_private_segment_fixed_size 0
		.amdhsa_kernarg_size 304
		.amdhsa_user_sgpr_count 2
		.amdhsa_user_sgpr_dispatch_ptr 0
		.amdhsa_user_sgpr_queue_ptr 0
		.amdhsa_user_sgpr_kernarg_segment_ptr 1
		.amdhsa_user_sgpr_dispatch_id 0
		.amdhsa_user_sgpr_kernarg_preload_length 0
		.amdhsa_user_sgpr_kernarg_preload_offset 0
		.amdhsa_user_sgpr_private_segment_size 0
		.amdhsa_uses_dynamic_stack 0
		.amdhsa_enable_private_segment 0
		.amdhsa_system_sgpr_workgroup_id_x 1
		.amdhsa_system_sgpr_workgroup_id_y 0
		.amdhsa_system_sgpr_workgroup_id_z 1
		.amdhsa_system_sgpr_workgroup_info 0
		.amdhsa_system_vgpr_workitem_id 1
		.amdhsa_next_free_vgpr 40
		.amdhsa_next_free_sgpr 20
		.amdhsa_accum_offset 40
		.amdhsa_reserve_vcc 1
		.amdhsa_float_round_mode_32 0
		.amdhsa_float_round_mode_16_64 0
		.amdhsa_float_denorm_mode_32 3
		.amdhsa_float_denorm_mode_16_64 3
		.amdhsa_dx10_clamp 1
		.amdhsa_ieee_mode 1
		.amdhsa_fp16_overflow 0
		.amdhsa_tg_split 0
		.amdhsa_exception_fp_ieee_invalid_op 0
		.amdhsa_exception_fp_denorm_src 0
		.amdhsa_exception_fp_ieee_div_zero 0
		.amdhsa_exception_fp_ieee_overflow 0
		.amdhsa_exception_fp_ieee_underflow 0
		.amdhsa_exception_fp_ieee_inexact 0
		.amdhsa_exception_int_div_zero 0
	.end_amdhsa_kernel
	.section	.text._ZL9moe_vec_qIfLi256ELi32E10block_q4_KLi2EXadL_ZL17vec_dot_q4_K_q8_1PKvPK10block_q8_1RKiEEEvS2_S2_PT_PS6_iiii,"axG",@progbits,_ZL9moe_vec_qIfLi256ELi32E10block_q4_KLi2EXadL_ZL17vec_dot_q4_K_q8_1PKvPK10block_q8_1RKiEEEvS2_S2_PT_PS6_iiii,comdat
.Lfunc_end244:
	.size	_ZL9moe_vec_qIfLi256ELi32E10block_q4_KLi2EXadL_ZL17vec_dot_q4_K_q8_1PKvPK10block_q8_1RKiEEEvS2_S2_PT_PS6_iiii, .Lfunc_end244-_ZL9moe_vec_qIfLi256ELi32E10block_q4_KLi2EXadL_ZL17vec_dot_q4_K_q8_1PKvPK10block_q8_1RKiEEEvS2_S2_PT_PS6_iiii
                                        ; -- End function
	.section	.AMDGPU.csdata,"",@progbits
; Kernel info:
; codeLenInByte = 1232
; NumSgprs: 26
; NumVgprs: 40
; NumAgprs: 0
; TotalNumVgprs: 40
; ScratchSize: 0
; MemoryBound: 0
; FloatMode: 240
; IeeeMode: 1
; LDSByteSize: 0 bytes/workgroup (compile time only)
; SGPRBlocks: 3
; VGPRBlocks: 4
; NumSGPRsForWavesPerEU: 26
; NumVGPRsForWavesPerEU: 40
; AccumOffset: 40
; Occupancy: 8
; WaveLimiterHint : 1
; COMPUTE_PGM_RSRC2:SCRATCH_EN: 0
; COMPUTE_PGM_RSRC2:USER_SGPR: 2
; COMPUTE_PGM_RSRC2:TRAP_HANDLER: 0
; COMPUTE_PGM_RSRC2:TGID_X_EN: 1
; COMPUTE_PGM_RSRC2:TGID_Y_EN: 0
; COMPUTE_PGM_RSRC2:TGID_Z_EN: 1
; COMPUTE_PGM_RSRC2:TIDIG_COMP_CNT: 1
; COMPUTE_PGM_RSRC3_GFX90A:ACCUM_OFFSET: 9
; COMPUTE_PGM_RSRC3_GFX90A:TG_SPLIT: 0
	.section	.text._ZL9moe_vec_qIfLi256ELi32E10block_q5_KLi2EXadL_ZL17vec_dot_q5_K_q8_1PKvPK10block_q8_1RKiEEEvS2_S2_PT_PS6_iiii,"axG",@progbits,_ZL9moe_vec_qIfLi256ELi32E10block_q5_KLi2EXadL_ZL17vec_dot_q5_K_q8_1PKvPK10block_q8_1RKiEEEvS2_S2_PT_PS6_iiii,comdat
	.globl	_ZL9moe_vec_qIfLi256ELi32E10block_q5_KLi2EXadL_ZL17vec_dot_q5_K_q8_1PKvPK10block_q8_1RKiEEEvS2_S2_PT_PS6_iiii ; -- Begin function _ZL9moe_vec_qIfLi256ELi32E10block_q5_KLi2EXadL_ZL17vec_dot_q5_K_q8_1PKvPK10block_q8_1RKiEEEvS2_S2_PT_PS6_iiii
	.p2align	8
	.type	_ZL9moe_vec_qIfLi256ELi32E10block_q5_KLi2EXadL_ZL17vec_dot_q5_K_q8_1PKvPK10block_q8_1RKiEEEvS2_S2_PT_PS6_iiii,@function
_ZL9moe_vec_qIfLi256ELi32E10block_q5_KLi2EXadL_ZL17vec_dot_q5_K_q8_1PKvPK10block_q8_1RKiEEEvS2_S2_PT_PS6_iiii: ; @_ZL9moe_vec_qIfLi256ELi32E10block_q5_KLi2EXadL_ZL17vec_dot_q5_K_q8_1PKvPK10block_q8_1RKiEEEvS2_S2_PT_PS6_iiii
; %bb.0:
	s_mov_b32 s8, s3
	s_load_dword s3, s[0:1], 0x3c
	s_load_dwordx4 s[4:7], s[0:1], 0x20
	v_bfe_u32 v1, v0, 10, 10
	s_waitcnt lgkmcnt(0)
	s_lshr_b32 s3, s3, 16
	s_mul_i32 s2, s2, s3
	v_add_u32_e32 v16, s2, v1
	v_cmp_gt_u32_e32 vcc, s6, v16
	s_and_saveexec_b64 s[2:3], vcc
	s_cbranch_execz .LBB245_11
; %bb.1:
	s_load_dwordx2 s[2:3], s[0:1], 0x10
	s_ashr_i32 s9, s5, 31
	s_lshr_b32 s9, s9, 24
	s_add_i32 s5, s5, s9
	v_and_b32_e32 v17, 0x3ff, v0
	s_ashr_i32 s12, s5, 8
	v_lshrrev_b32_e32 v18, 4, v17
	v_cmp_gt_u32_e32 vcc, s12, v18
	v_mov_b32_e32 v20, 0
	s_and_saveexec_b64 s[10:11], vcc
	s_cbranch_execz .LBB245_9
; %bb.2:
	s_load_dwordx2 s[14:15], s[0:1], 0x18
	v_cvt_f32_u32_e32 v0, s4
	s_mov_b32 s9, 0
	s_lshl_b64 s[16:17], s[8:9], 2
	v_mov_b32_e32 v1, 0
	s_waitcnt lgkmcnt(0)
	s_add_u32 s14, s14, s16
	v_rcp_iflag_f32_e32 v0, v0
	s_addc_u32 s15, s15, s17
	s_load_dword s5, s[14:15], 0x0
	s_load_dwordx4 s[16:19], s[0:1], 0x0
	s_mul_i32 s0, s12, s6
	v_mul_f32_e32 v0, 0x4f7ffffe, v0
	v_cvt_u32_f32_e32 v0, v0
	s_waitcnt lgkmcnt(0)
	s_mul_i32 s0, s0, s5
	s_mul_hi_i32 s1, s0, 0xb0
	s_mulk_i32 s0, 0xb0
	s_add_u32 s0, s16, s0
	s_addc_u32 s1, s17, s1
	s_sub_i32 s5, 0, s4
	v_readfirstlane_b32 s14, v0
	s_mul_i32 s5, s5, s14
	s_mul_hi_u32 s5, s14, s5
	s_add_i32 s14, s14, s5
	s_mul_hi_u32 s5, s8, s14
	s_mul_i32 s14, s5, s4
	s_sub_i32 s14, s8, s14
	s_add_i32 s15, s5, 1
	s_sub_i32 s16, s14, s4
	s_cmp_ge_u32 s14, s4
	s_cselect_b32 s5, s15, s5
	s_cselect_b32 s14, s16, s14
	s_add_i32 s15, s5, 1
	s_cmp_ge_u32 s14, s4
	s_cselect_b32 s4, s15, s5
	s_mul_i32 s4, s4, s7
	s_mov_b32 s5, s9
	s_lshl_b64 s[4:5], s[4:5], 2
	v_lshlrev_b32_e32 v0, 1, v17
	s_add_u32 s4, s18, s4
	v_bfe_u32 v8, v0, 3, 2
	s_addc_u32 s5, s19, s5
	v_and_b32_e32 v4, 30, v0
	v_lshlrev_b32_e32 v21, 1, v8
	v_and_b32_e32 v10, 3, v17
	v_cmp_lt_u32_e32 vcc, 15, v4
	v_mad_u64_u32 v[4:5], s[4:5], v21, 36, s[4:5]
	s_movk_i32 s13, 0xb0
	v_mul_lo_u32 v19, v16, s12
	v_lshlrev_b32_e32 v0, 5, v8
	v_lshlrev_b32_e32 v2, 2, v10
	v_mov_b32_e32 v3, v1
	v_lshlrev_b32_e32 v22, 3, v18
	s_mov_b64 s[4:5], 0
	v_mov_b64_e32 v[6:7], s[0:1]
	v_lshlrev_b32_e32 v8, 1, v8
	v_mov_b32_e32 v9, v1
	s_mov_b32 s7, 0x5040100
	s_mov_b32 s9, 0x30303030
	v_lshlrev_b32_e32 v10, 2, v10
	v_mov_b32_e32 v11, v1
	s_mov_b32 s14, 0x10101010
	v_mov_b32_e32 v20, v1
	s_branch .LBB245_4
.LBB245_3:                              ;   in Loop: Header=BB245_4 Depth=1
	s_or_b64 exec, exec, s[0:1]
	v_mad_i64_i32 v[14:15], s[0:1], v22, 36, v[4:5]
	global_load_dword v30, v[14:15], off
	v_lshl_add_u64 v[28:29], v[14:15], 0, v[10:11]
	global_load_dword v31, v[12:13], off
	global_load_dword v32, v[28:29], off offset:20
	global_load_dword v33, v[28:29], off offset:40
	;; [unrolled: 1-line block ×5, first 2 shown]
	s_waitcnt vmcnt(7)
	v_ashrrev_i32_e32 v13, v21, v26
	v_ashrrev_i32_e32 v14, v21, v25
	v_and_b32_e32 v25, 0xf0f0f0f, v23
	v_lshrrev_b32_e32 v23, 4, v23
	v_lshlrev_b32_e32 v39, 4, v13
	v_and_b32_e32 v15, 0xf0f0f0f, v24
	v_mov_b32_e32 v26, 0
	v_mov_b32_e32 v28, 0
	v_lshrrev_b32_e32 v24, 4, v24
	v_lshlrev_b32_e32 v38, 4, v14
	v_and_b32_e32 v23, 0xf0f0f0f, v23
	v_lshlrev_b32_e32 v13, 3, v13
	v_and_or_b32 v25, v39, s14, v25
	v_pk_lshrrev_b16 v12, 8, v27 op_sel_hi:[0,1]
	v_and_b32_e32 v27, 0xff00ff, v27
	v_mov_b32_e32 v29, 0
	v_mov_b32_e32 v37, 0
	v_and_b32_e32 v24, 0xf0f0f0f, v24
	v_lshlrev_b32_e32 v14, 3, v14
	v_and_or_b32 v15, v38, s14, v15
	v_and_or_b32 v23, v13, s14, v23
	v_lshrrev_b32_e32 v41, 16, v27
	v_and_b32_e32 v27, 0xff, v27
	v_and_or_b32 v38, v14, s14, v24
	v_lshrrev_b32_e32 v40, 16, v12
	v_and_b32_e32 v12, 0xff, v12
	v_add_u32_e32 v18, 4, v18
	v_cmp_le_u32_e64 s[0:1], s12, v18
	s_or_b64 s[4:5], s[0:1], s[4:5]
	v_add_u32_e32 v22, 32, v22
	s_waitcnt vmcnt(5)
	v_cvt_f32_f16_sdwa v13, v31 dst_sel:DWORD dst_unused:UNUSED_PAD src0_sel:WORD_1
	s_waitcnt vmcnt(4)
	v_dot4c_i32_i8_e32 v26, v25, v32
	v_dot4c_i32_i8_e32 v28, 0x1010101, v32
	s_waitcnt vmcnt(2)
	v_dot4c_i32_i8_e32 v29, v23, v34
	v_dot4c_i32_i8_e32 v37, 0x1010101, v34
	;; [unrolled: 3-line block ×3, first 2 shown]
	v_dot4c_i32_i8_e32 v29, v38, v33
	v_dot4c_i32_i8_e32 v37, 0x1010101, v33
	v_mul_lo_u32 v15, v26, v27
	v_mul_lo_u32 v23, v28, v41
	v_cvt_f32_f16_e32 v14, v30
	v_mul_lo_u32 v12, v29, v12
	v_mul_lo_u32 v25, v37, v40
	v_cvt_f32_i32_e32 v27, v23
	v_cvt_f32_i32_e32 v26, v15
	v_cvt_f32_f16_e32 v24, v35
	v_cvt_f32_i32_e32 v29, v25
	v_cvt_f32_i32_e32 v28, v12
	v_cvt_f32_f16_e32 v12, v31
	v_pk_fma_f32 v[14:15], v[14:15], v[26:27], 0 op_sel_hi:[0,1,0]
	v_pk_fma_f32 v[14:15], v[24:25], v[28:29], v[14:15] op_sel_hi:[0,1,1]
	v_pk_mul_f32 v[12:13], v[14:15], v[12:13]
	s_nop 0
	v_sub_f32_e32 v12, v12, v13
	v_add_f32_e32 v20, v20, v12
	s_andn2_b64 exec, exec, s[4:5]
	s_cbranch_execz .LBB245_8
.LBB245_4:                              ; =>This Inner Loop Header: Depth=1
	v_add_u32_e32 v12, v19, v18
	v_mad_i64_i32 v[12:13], s[0:1], v12, s13, v[6:7]
	v_lshl_add_u64 v[14:15], v[12:13], 0, v[2:3]
	v_lshl_add_u64 v[28:29], v[14:15], 0, v[0:1]
	global_load_dword v23, v[28:29], off offset:64
	global_load_dword v25, v[14:15], off offset:16
	;; [unrolled: 1-line block ×4, first 2 shown]
	v_lshl_add_u64 v[14:15], v[12:13], 0, v[8:9]
                                        ; implicit-def: $vgpr27
	s_and_saveexec_b64 s[0:1], vcc
	s_xor_b64 s[0:1], exec, s[0:1]
	s_cbranch_execz .LBB245_6
; %bb.5:                                ;   in Loop: Header=BB245_4 Depth=1
	global_load_ushort v27, v[14:15], off
	global_load_ushort v28, v[14:15], off offset:8
	global_load_ushort v29, v[14:15], off offset:4
	s_waitcnt vmcnt(1)
	v_lshrrev_b16_e32 v14, 4, v28
	s_waitcnt vmcnt(0)
	v_perm_b32 v15, v29, v27, s7
	v_perm_b32 v14, v14, v28, s7
	v_and_b32_e32 v14, 0xf0f0f0f, v14
	v_pk_lshrrev_b16 v15, 2, v15 op_sel_hi:[0,1]
	v_and_or_b32 v27, v15, s9, v14
                                        ; implicit-def: $vgpr14_vgpr15
.LBB245_6:                              ;   in Loop: Header=BB245_4 Depth=1
	s_andn2_saveexec_b64 s[0:1], s[0:1]
	s_cbranch_execz .LBB245_3
; %bb.7:                                ;   in Loop: Header=BB245_4 Depth=1
	global_load_ushort v27, v[14:15], off offset:4
	global_load_ushort v28, v[14:15], off offset:8
	s_waitcnt vmcnt(0)
	v_perm_b32 v14, v28, v27, s7
	v_and_b32_e32 v27, 0x3f3f3f3f, v14
	s_branch .LBB245_3
.LBB245_8:
	s_or_b64 exec, exec, s[4:5]
.LBB245_9:
	s_or_b64 exec, exec, s[10:11]
	v_mbcnt_lo_u32_b32 v0, -1, 0
	v_mbcnt_hi_u32_b32 v1, -1, v0
	v_and_b32_e32 v0, 64, v1
	v_add_u32_e32 v2, 64, v0
	v_xor_b32_e32 v0, 32, v1
	v_cmp_lt_i32_e32 vcc, v0, v2
	v_xor_b32_e32 v3, 16, v1
	v_xor_b32_e32 v4, 8, v1
	v_cndmask_b32_e32 v0, v1, v0, vcc
	v_lshlrev_b32_e32 v0, 2, v0
	ds_bpermute_b32 v0, v0, v20
	v_cmp_lt_i32_e32 vcc, v3, v2
	s_waitcnt lgkmcnt(0)
	v_add_f32_e32 v0, v20, v0
	v_cndmask_b32_e32 v3, v1, v3, vcc
	v_lshlrev_b32_e32 v3, 2, v3
	ds_bpermute_b32 v3, v3, v0
	v_cmp_lt_i32_e32 vcc, v4, v2
	s_waitcnt lgkmcnt(0)
	v_add_f32_e32 v0, v0, v3
	v_cndmask_b32_e32 v3, v1, v4, vcc
	v_lshlrev_b32_e32 v3, 2, v3
	ds_bpermute_b32 v3, v3, v0
	v_xor_b32_e32 v4, 4, v1
	v_cmp_lt_i32_e32 vcc, v4, v2
	s_waitcnt lgkmcnt(0)
	v_add_f32_e32 v0, v0, v3
	v_cndmask_b32_e32 v3, v1, v4, vcc
	v_lshlrev_b32_e32 v3, 2, v3
	ds_bpermute_b32 v3, v3, v0
	v_xor_b32_e32 v4, 2, v1
	;; [unrolled: 7-line block ×3, first 2 shown]
	v_cmp_lt_i32_e32 vcc, v4, v2
	s_waitcnt lgkmcnt(0)
	v_add_f32_e32 v0, v0, v3
	v_cndmask_b32_e32 v1, v1, v4, vcc
	v_lshlrev_b32_e32 v1, 2, v1
	ds_bpermute_b32 v1, v1, v0
	v_cmp_eq_u32_e32 vcc, 0, v17
	s_and_b64 exec, exec, vcc
	s_cbranch_execz .LBB245_11
; %bb.10:
	s_mul_i32 s0, s8, s6
	s_waitcnt lgkmcnt(0)
	v_add_f32_e32 v2, v0, v1
	v_add_u32_e32 v0, s0, v16
	v_mov_b32_e32 v1, 0
	v_lshl_add_u64 v[0:1], v[0:1], 2, s[2:3]
	global_store_dword v[0:1], v2, off
.LBB245_11:
	s_endpgm
	.section	.rodata,"a",@progbits
	.p2align	6, 0x0
	.amdhsa_kernel _ZL9moe_vec_qIfLi256ELi32E10block_q5_KLi2EXadL_ZL17vec_dot_q5_K_q8_1PKvPK10block_q8_1RKiEEEvS2_S2_PT_PS6_iiii
		.amdhsa_group_segment_fixed_size 0
		.amdhsa_private_segment_fixed_size 0
		.amdhsa_kernarg_size 304
		.amdhsa_user_sgpr_count 2
		.amdhsa_user_sgpr_dispatch_ptr 0
		.amdhsa_user_sgpr_queue_ptr 0
		.amdhsa_user_sgpr_kernarg_segment_ptr 1
		.amdhsa_user_sgpr_dispatch_id 0
		.amdhsa_user_sgpr_kernarg_preload_length 0
		.amdhsa_user_sgpr_kernarg_preload_offset 0
		.amdhsa_user_sgpr_private_segment_size 0
		.amdhsa_uses_dynamic_stack 0
		.amdhsa_enable_private_segment 0
		.amdhsa_system_sgpr_workgroup_id_x 1
		.amdhsa_system_sgpr_workgroup_id_y 0
		.amdhsa_system_sgpr_workgroup_id_z 1
		.amdhsa_system_sgpr_workgroup_info 0
		.amdhsa_system_vgpr_workitem_id 1
		.amdhsa_next_free_vgpr 42
		.amdhsa_next_free_sgpr 20
		.amdhsa_accum_offset 44
		.amdhsa_reserve_vcc 1
		.amdhsa_float_round_mode_32 0
		.amdhsa_float_round_mode_16_64 0
		.amdhsa_float_denorm_mode_32 3
		.amdhsa_float_denorm_mode_16_64 3
		.amdhsa_dx10_clamp 1
		.amdhsa_ieee_mode 1
		.amdhsa_fp16_overflow 0
		.amdhsa_tg_split 0
		.amdhsa_exception_fp_ieee_invalid_op 0
		.amdhsa_exception_fp_denorm_src 0
		.amdhsa_exception_fp_ieee_div_zero 0
		.amdhsa_exception_fp_ieee_overflow 0
		.amdhsa_exception_fp_ieee_underflow 0
		.amdhsa_exception_fp_ieee_inexact 0
		.amdhsa_exception_int_div_zero 0
	.end_amdhsa_kernel
	.section	.text._ZL9moe_vec_qIfLi256ELi32E10block_q5_KLi2EXadL_ZL17vec_dot_q5_K_q8_1PKvPK10block_q8_1RKiEEEvS2_S2_PT_PS6_iiii,"axG",@progbits,_ZL9moe_vec_qIfLi256ELi32E10block_q5_KLi2EXadL_ZL17vec_dot_q5_K_q8_1PKvPK10block_q8_1RKiEEEvS2_S2_PT_PS6_iiii,comdat
.Lfunc_end245:
	.size	_ZL9moe_vec_qIfLi256ELi32E10block_q5_KLi2EXadL_ZL17vec_dot_q5_K_q8_1PKvPK10block_q8_1RKiEEEvS2_S2_PT_PS6_iiii, .Lfunc_end245-_ZL9moe_vec_qIfLi256ELi32E10block_q5_KLi2EXadL_ZL17vec_dot_q5_K_q8_1PKvPK10block_q8_1RKiEEEvS2_S2_PT_PS6_iiii
                                        ; -- End function
	.section	.AMDGPU.csdata,"",@progbits
; Kernel info:
; codeLenInByte = 1312
; NumSgprs: 26
; NumVgprs: 42
; NumAgprs: 0
; TotalNumVgprs: 42
; ScratchSize: 0
; MemoryBound: 0
; FloatMode: 240
; IeeeMode: 1
; LDSByteSize: 0 bytes/workgroup (compile time only)
; SGPRBlocks: 3
; VGPRBlocks: 5
; NumSGPRsForWavesPerEU: 26
; NumVGPRsForWavesPerEU: 42
; AccumOffset: 44
; Occupancy: 8
; WaveLimiterHint : 1
; COMPUTE_PGM_RSRC2:SCRATCH_EN: 0
; COMPUTE_PGM_RSRC2:USER_SGPR: 2
; COMPUTE_PGM_RSRC2:TRAP_HANDLER: 0
; COMPUTE_PGM_RSRC2:TGID_X_EN: 1
; COMPUTE_PGM_RSRC2:TGID_Y_EN: 0
; COMPUTE_PGM_RSRC2:TGID_Z_EN: 1
; COMPUTE_PGM_RSRC2:TIDIG_COMP_CNT: 1
; COMPUTE_PGM_RSRC3_GFX90A:ACCUM_OFFSET: 10
; COMPUTE_PGM_RSRC3_GFX90A:TG_SPLIT: 0
	.section	.text._ZL9moe_vec_qIfLi256ELi32E10block_q6_KLi1EXadL_ZL17vec_dot_q6_K_q8_1PKvPK10block_q8_1RKiEEEvS2_S2_PT_PS6_iiii,"axG",@progbits,_ZL9moe_vec_qIfLi256ELi32E10block_q6_KLi1EXadL_ZL17vec_dot_q6_K_q8_1PKvPK10block_q8_1RKiEEEvS2_S2_PT_PS6_iiii,comdat
	.globl	_ZL9moe_vec_qIfLi256ELi32E10block_q6_KLi1EXadL_ZL17vec_dot_q6_K_q8_1PKvPK10block_q8_1RKiEEEvS2_S2_PT_PS6_iiii ; -- Begin function _ZL9moe_vec_qIfLi256ELi32E10block_q6_KLi1EXadL_ZL17vec_dot_q6_K_q8_1PKvPK10block_q8_1RKiEEEvS2_S2_PT_PS6_iiii
	.p2align	8
	.type	_ZL9moe_vec_qIfLi256ELi32E10block_q6_KLi1EXadL_ZL17vec_dot_q6_K_q8_1PKvPK10block_q8_1RKiEEEvS2_S2_PT_PS6_iiii,@function
_ZL9moe_vec_qIfLi256ELi32E10block_q6_KLi1EXadL_ZL17vec_dot_q6_K_q8_1PKvPK10block_q8_1RKiEEEvS2_S2_PT_PS6_iiii: ; @_ZL9moe_vec_qIfLi256ELi32E10block_q6_KLi1EXadL_ZL17vec_dot_q6_K_q8_1PKvPK10block_q8_1RKiEEEvS2_S2_PT_PS6_iiii
; %bb.0:
	s_mov_b32 s8, s3
	s_load_dword s3, s[0:1], 0x3c
	s_load_dwordx4 s[4:7], s[0:1], 0x20
	v_bfe_u32 v1, v0, 10, 10
	s_waitcnt lgkmcnt(0)
	s_lshr_b32 s3, s3, 16
	s_mul_i32 s2, s2, s3
	v_add_u32_e32 v12, s2, v1
	v_cmp_gt_u32_e32 vcc, s6, v12
	s_and_saveexec_b64 s[2:3], vcc
	s_cbranch_execz .LBB246_7
; %bb.1:
	s_load_dwordx2 s[2:3], s[0:1], 0x10
	s_ashr_i32 s9, s5, 31
	s_lshr_b32 s9, s9, 24
	s_add_i32 s5, s5, s9
	v_and_b32_e32 v13, 0x3ff, v0
	s_ashr_i32 s5, s5, 8
	v_lshrrev_b32_e32 v14, 5, v13
	v_cmp_gt_u32_e32 vcc, s5, v14
	v_mov_b32_e32 v16, 0
	s_and_saveexec_b64 s[10:11], vcc
	s_cbranch_execz .LBB246_5
; %bb.2:
	s_load_dwordx2 s[12:13], s[0:1], 0x18
	v_cvt_f32_u32_e32 v0, s4
	s_mov_b32 s9, 0
	s_lshl_b64 s[14:15], s[8:9], 2
	v_and_b32_e32 v4, 7, v13
	s_waitcnt lgkmcnt(0)
	s_add_u32 s12, s12, s14
	v_rcp_iflag_f32_e32 v0, v0
	s_addc_u32 s13, s13, s15
	s_load_dword s14, s[12:13], 0x0
	s_load_dwordx4 s[16:19], s[0:1], 0x0
	s_mul_i32 s0, s5, s6
	v_mul_f32_e32 v0, 0x4f7ffffe, v0
	v_cvt_u32_f32_e32 v0, v0
	s_waitcnt lgkmcnt(0)
	s_mul_i32 s0, s0, s14
	s_mul_hi_i32 s1, s0, 0xd2
	s_mulk_i32 s0, 0xd2
	s_add_u32 s14, s16, s0
	s_addc_u32 s15, s17, s1
	s_sub_i32 s0, 0, s4
	v_readfirstlane_b32 s1, v0
	s_mul_i32 s0, s0, s1
	s_mul_hi_u32 s0, s1, s0
	s_add_i32 s1, s1, s0
	s_mul_hi_u32 s0, s8, s1
	s_mul_i32 s1, s0, s4
	s_sub_i32 s1, s8, s1
	s_add_i32 s13, s0, 1
	s_sub_i32 s16, s1, s4
	s_cmp_ge_u32 s1, s4
	s_cselect_b32 s0, s13, s0
	v_and_b32_e32 v0, 31, v13
	s_cselect_b32 s1, s16, s1
	s_add_i32 s13, s0, 1
	v_add_u32_e32 v1, 0xf0, v0
	v_cmp_gt_u32_e32 vcc, 16, v0
	s_cmp_ge_u32 s1, s4
	s_cselect_b32 s0, s13, s0
	v_cndmask_b32_e32 v8, v1, v0, vcc
	v_and_b32_e32 v1, 0xf8, v8
	s_mul_i32 s0, s0, s7
	s_mov_b32 s1, s9
	v_cmp_ne_u32_e32 vcc, 0, v1
	s_lshl_b64 s[0:1], s[0:1], 2
	s_add_u32 s0, s18, s0
	v_cndmask_b32_e64 v9, 0, 1, vcc
	v_cmp_lt_u32_e32 vcc, 15, v0
	s_addc_u32 s1, s19, s1
	v_mov_b32_e32 v1, 0
	v_cndmask_b32_e64 v2, 0, 1, vcc
	v_lshl_or_b32 v6, v2, 2, v9
	v_lshlrev_b32_e32 v10, 3, v2
	v_or_b32_e32 v2, v10, v4
	v_mad_u64_u32 v[6:7], s[0:1], v6, 36, s[0:1]
	v_bfe_u32 v8, v8, 2, 6
	s_movk_i32 s12, 0xd2
	v_mul_lo_u32 v15, v12, s5
	v_lshlrev_b32_e32 v0, 2, v0
	v_lshlrev_b32_e32 v2, 2, v2
	v_mov_b32_e32 v3, v1
	v_lshlrev_b32_e32 v4, 2, v4
	v_mov_b32_e32 v5, v1
	v_lshlrev_b32_e32 v17, 1, v9
	v_add_u32_e32 v8, v8, v10
	v_mov_b32_e32 v9, v1
	v_lshlrev_b32_e32 v18, 3, v14
	s_mov_b64 s[0:1], 0
	v_mov_b64_e32 v[10:11], s[14:15]
	s_mov_b32 s4, 0xf0f0f0f
	s_mov_b32 s7, 0x30303030
	s_movk_i32 s9, 0x3f00
	s_movk_i32 s13, 0xe000
	v_mov_b32_e32 v19, 8
	v_mov_b32_e32 v16, v1
.LBB246_3:                              ; =>This Inner Loop Header: Depth=1
	v_add_u32_e32 v20, v15, v14
	v_mad_i64_i32 v[20:21], s[14:15], v20, s12, v[10:11]
	v_lshl_add_u64 v[24:25], v[20:21], 0, v[2:3]
	v_lshl_add_u64 v[22:23], v[20:21], 0, v[0:1]
	global_load_dword v26, v[24:25], off offset:128
	global_load_dword v27, v[22:23], off
	v_mad_i64_i32 v[22:23], s[14:15], v18, 36, v[6:7]
	v_lshl_add_u64 v[24:25], v[22:23], 0, v[4:5]
	global_load_dword v28, v[24:25], off offset:4
	global_load_dword v29, v[24:25], off offset:76
	v_lshl_add_u64 v[24:25], v[20:21], 0, v[8:9]
	global_load_sbyte v30, v[24:25], off offset:192
	global_load_sbyte v31, v[24:25], off offset:196
	global_load_dword v32, v[22:23], off
	global_load_dword v33, v[22:23], off offset:72
	global_load_ushort v34, v[20:21], off offset:208
	v_mov_b32_e32 v20, 0
	v_mov_b32_e32 v21, 0
	v_add_u32_e32 v14, 2, v14
	v_cmp_le_u32_e32 vcc, s5, v14
	v_add_u32_e32 v18, 16, v18
	s_or_b64 s[0:1], vcc, s[0:1]
	s_waitcnt vmcnt(8)
	v_ashrrev_i32_e32 v22, v17, v26
	s_waitcnt vmcnt(7)
	v_and_b32_e32 v23, 0xf0f0f0f, v27
	v_lshlrev_b32_e32 v25, 4, v22
	v_lshrrev_b32_e32 v24, 4, v27
	v_and_b32_e32 v22, 0x30303030, v22
	v_and_or_b32 v23, v25, s7, v23
	v_and_or_b32 v22, v24, s4, v22
	v_and_b32_e32 v24, 0x3f00, v23
	v_lshlrev_b16_e32 v25, 8, v23
	v_and_b32_sdwa v26, v23, s9 dst_sel:DWORD dst_unused:UNUSED_PAD src0_sel:WORD_1 src1_sel:DWORD
	v_lshlrev_b16_sdwa v23, v19, v23 dst_sel:DWORD dst_unused:UNUSED_PAD src0_sel:DWORD src1_sel:WORD_1
	v_and_b32_e32 v27, 0x3f00, v22
	v_lshlrev_b16_e32 v35, 8, v22
	v_and_b32_sdwa v36, v22, s9 dst_sel:DWORD dst_unused:UNUSED_PAD src0_sel:WORD_1 src1_sel:DWORD
	v_lshlrev_b16_sdwa v22, v19, v22 dst_sel:DWORD dst_unused:UNUSED_PAD src0_sel:DWORD src1_sel:WORD_1
	v_add_u16_e32 v25, 0xe000, v25
	v_add_u16_e32 v23, 0xe000, v23
	;; [unrolled: 1-line block ×4, first 2 shown]
	v_or_b32_sdwa v24, v24, v25 dst_sel:DWORD dst_unused:UNUSED_PAD src0_sel:DWORD src1_sel:BYTE_1
	v_or_b32_sdwa v23, v26, v23 dst_sel:DWORD dst_unused:UNUSED_PAD src0_sel:DWORD src1_sel:BYTE_1
	;; [unrolled: 1-line block ×4, first 2 shown]
	v_add_u16_e32 v24, 0xe000, v24
	v_add_u16_sdwa v23, v23, s13 dst_sel:WORD_1 dst_unused:UNUSED_PAD src0_sel:DWORD src1_sel:DWORD
	v_add_u16_e32 v25, 0xe000, v25
	v_add_u16_sdwa v22, v22, s13 dst_sel:WORD_1 dst_unused:UNUSED_PAD src0_sel:DWORD src1_sel:DWORD
	v_or_b32_e32 v23, v24, v23
	v_or_b32_e32 v22, v25, v22
	s_waitcnt vmcnt(6)
	v_dot4c_i32_i8_e32 v20, v23, v28
	s_waitcnt vmcnt(5)
	v_dot4c_i32_i8_e32 v21, v22, v29
	s_waitcnt vmcnt(4)
	v_mul_lo_u32 v20, v20, v30
	s_waitcnt vmcnt(3)
	v_mul_lo_u32 v21, v21, v31
	v_cvt_f32_i32_e32 v20, v20
	v_cvt_f32_i32_e32 v21, v21
	s_waitcnt vmcnt(2)
	v_fma_mix_f32 v20, v32, v20, 0 op_sel_hi:[1,0,0]
	s_waitcnt vmcnt(1)
	v_fma_mix_f32 v20, v33, v21, v20 op_sel_hi:[1,0,0]
	;; [unrolled: 2-line block ×3, first 2 shown]
	s_andn2_b64 exec, exec, s[0:1]
	s_cbranch_execnz .LBB246_3
; %bb.4:
	s_or_b64 exec, exec, s[0:1]
.LBB246_5:
	s_or_b64 exec, exec, s[10:11]
	v_mbcnt_lo_u32_b32 v0, -1, 0
	v_mbcnt_hi_u32_b32 v1, -1, v0
	v_and_b32_e32 v0, 64, v1
	v_add_u32_e32 v2, 64, v0
	v_xor_b32_e32 v0, 32, v1
	v_cmp_lt_i32_e32 vcc, v0, v2
	v_xor_b32_e32 v3, 16, v1
	v_xor_b32_e32 v4, 8, v1
	v_cndmask_b32_e32 v0, v1, v0, vcc
	v_lshlrev_b32_e32 v0, 2, v0
	ds_bpermute_b32 v0, v0, v16
	v_cmp_lt_i32_e32 vcc, v3, v2
	s_waitcnt lgkmcnt(0)
	v_add_f32_e32 v0, v16, v0
	v_cndmask_b32_e32 v3, v1, v3, vcc
	v_lshlrev_b32_e32 v3, 2, v3
	ds_bpermute_b32 v3, v3, v0
	v_cmp_lt_i32_e32 vcc, v4, v2
	s_waitcnt lgkmcnt(0)
	v_add_f32_e32 v0, v0, v3
	v_cndmask_b32_e32 v3, v1, v4, vcc
	v_lshlrev_b32_e32 v3, 2, v3
	ds_bpermute_b32 v3, v3, v0
	v_xor_b32_e32 v4, 4, v1
	v_cmp_lt_i32_e32 vcc, v4, v2
	s_waitcnt lgkmcnt(0)
	v_add_f32_e32 v0, v0, v3
	v_cndmask_b32_e32 v3, v1, v4, vcc
	v_lshlrev_b32_e32 v3, 2, v3
	ds_bpermute_b32 v3, v3, v0
	v_xor_b32_e32 v4, 2, v1
	;; [unrolled: 7-line block ×3, first 2 shown]
	v_cmp_lt_i32_e32 vcc, v4, v2
	s_waitcnt lgkmcnt(0)
	v_add_f32_e32 v0, v0, v3
	v_cndmask_b32_e32 v1, v1, v4, vcc
	v_lshlrev_b32_e32 v1, 2, v1
	ds_bpermute_b32 v1, v1, v0
	v_cmp_eq_u32_e32 vcc, 0, v13
	s_and_b64 exec, exec, vcc
	s_cbranch_execz .LBB246_7
; %bb.6:
	s_mul_i32 s0, s8, s6
	s_waitcnt lgkmcnt(0)
	v_add_f32_e32 v2, v0, v1
	v_add_u32_e32 v0, s0, v12
	v_mov_b32_e32 v1, 0
	v_lshl_add_u64 v[0:1], v[0:1], 2, s[2:3]
	global_store_dword v[0:1], v2, off
.LBB246_7:
	s_endpgm
	.section	.rodata,"a",@progbits
	.p2align	6, 0x0
	.amdhsa_kernel _ZL9moe_vec_qIfLi256ELi32E10block_q6_KLi1EXadL_ZL17vec_dot_q6_K_q8_1PKvPK10block_q8_1RKiEEEvS2_S2_PT_PS6_iiii
		.amdhsa_group_segment_fixed_size 0
		.amdhsa_private_segment_fixed_size 0
		.amdhsa_kernarg_size 304
		.amdhsa_user_sgpr_count 2
		.amdhsa_user_sgpr_dispatch_ptr 0
		.amdhsa_user_sgpr_queue_ptr 0
		.amdhsa_user_sgpr_kernarg_segment_ptr 1
		.amdhsa_user_sgpr_dispatch_id 0
		.amdhsa_user_sgpr_kernarg_preload_length 0
		.amdhsa_user_sgpr_kernarg_preload_offset 0
		.amdhsa_user_sgpr_private_segment_size 0
		.amdhsa_uses_dynamic_stack 0
		.amdhsa_enable_private_segment 0
		.amdhsa_system_sgpr_workgroup_id_x 1
		.amdhsa_system_sgpr_workgroup_id_y 0
		.amdhsa_system_sgpr_workgroup_id_z 1
		.amdhsa_system_sgpr_workgroup_info 0
		.amdhsa_system_vgpr_workitem_id 1
		.amdhsa_next_free_vgpr 37
		.amdhsa_next_free_sgpr 20
		.amdhsa_accum_offset 40
		.amdhsa_reserve_vcc 1
		.amdhsa_float_round_mode_32 0
		.amdhsa_float_round_mode_16_64 0
		.amdhsa_float_denorm_mode_32 3
		.amdhsa_float_denorm_mode_16_64 3
		.amdhsa_dx10_clamp 1
		.amdhsa_ieee_mode 1
		.amdhsa_fp16_overflow 0
		.amdhsa_tg_split 0
		.amdhsa_exception_fp_ieee_invalid_op 0
		.amdhsa_exception_fp_denorm_src 0
		.amdhsa_exception_fp_ieee_div_zero 0
		.amdhsa_exception_fp_ieee_overflow 0
		.amdhsa_exception_fp_ieee_underflow 0
		.amdhsa_exception_fp_ieee_inexact 0
		.amdhsa_exception_int_div_zero 0
	.end_amdhsa_kernel
	.section	.text._ZL9moe_vec_qIfLi256ELi32E10block_q6_KLi1EXadL_ZL17vec_dot_q6_K_q8_1PKvPK10block_q8_1RKiEEEvS2_S2_PT_PS6_iiii,"axG",@progbits,_ZL9moe_vec_qIfLi256ELi32E10block_q6_KLi1EXadL_ZL17vec_dot_q6_K_q8_1PKvPK10block_q8_1RKiEEEvS2_S2_PT_PS6_iiii,comdat
.Lfunc_end246:
	.size	_ZL9moe_vec_qIfLi256ELi32E10block_q6_KLi1EXadL_ZL17vec_dot_q6_K_q8_1PKvPK10block_q8_1RKiEEEvS2_S2_PT_PS6_iiii, .Lfunc_end246-_ZL9moe_vec_qIfLi256ELi32E10block_q6_KLi1EXadL_ZL17vec_dot_q6_K_q8_1PKvPK10block_q8_1RKiEEEvS2_S2_PT_PS6_iiii
                                        ; -- End function
	.section	.AMDGPU.csdata,"",@progbits
; Kernel info:
; codeLenInByte = 1188
; NumSgprs: 26
; NumVgprs: 37
; NumAgprs: 0
; TotalNumVgprs: 37
; ScratchSize: 0
; MemoryBound: 0
; FloatMode: 240
; IeeeMode: 1
; LDSByteSize: 0 bytes/workgroup (compile time only)
; SGPRBlocks: 3
; VGPRBlocks: 4
; NumSGPRsForWavesPerEU: 26
; NumVGPRsForWavesPerEU: 37
; AccumOffset: 40
; Occupancy: 8
; WaveLimiterHint : 1
; COMPUTE_PGM_RSRC2:SCRATCH_EN: 0
; COMPUTE_PGM_RSRC2:USER_SGPR: 2
; COMPUTE_PGM_RSRC2:TRAP_HANDLER: 0
; COMPUTE_PGM_RSRC2:TGID_X_EN: 1
; COMPUTE_PGM_RSRC2:TGID_Y_EN: 0
; COMPUTE_PGM_RSRC2:TGID_Z_EN: 1
; COMPUTE_PGM_RSRC2:TIDIG_COMP_CNT: 1
; COMPUTE_PGM_RSRC3_GFX90A:ACCUM_OFFSET: 9
; COMPUTE_PGM_RSRC3_GFX90A:TG_SPLIT: 0
	.section	.text._ZL9moe_vec_qIfLi256ELi8E13block_iq2_xxsLi1EXadL_ZL20vec_dot_iq2_xxs_q8_1PKvPK10block_q8_1RKiEEEvS2_S2_PT_PS6_iiii,"axG",@progbits,_ZL9moe_vec_qIfLi256ELi8E13block_iq2_xxsLi1EXadL_ZL20vec_dot_iq2_xxs_q8_1PKvPK10block_q8_1RKiEEEvS2_S2_PT_PS6_iiii,comdat
	.globl	_ZL9moe_vec_qIfLi256ELi8E13block_iq2_xxsLi1EXadL_ZL20vec_dot_iq2_xxs_q8_1PKvPK10block_q8_1RKiEEEvS2_S2_PT_PS6_iiii ; -- Begin function _ZL9moe_vec_qIfLi256ELi8E13block_iq2_xxsLi1EXadL_ZL20vec_dot_iq2_xxs_q8_1PKvPK10block_q8_1RKiEEEvS2_S2_PT_PS6_iiii
	.p2align	8
	.type	_ZL9moe_vec_qIfLi256ELi8E13block_iq2_xxsLi1EXadL_ZL20vec_dot_iq2_xxs_q8_1PKvPK10block_q8_1RKiEEEvS2_S2_PT_PS6_iiii,@function
_ZL9moe_vec_qIfLi256ELi8E13block_iq2_xxsLi1EXadL_ZL20vec_dot_iq2_xxs_q8_1PKvPK10block_q8_1RKiEEEvS2_S2_PT_PS6_iiii: ; @_ZL9moe_vec_qIfLi256ELi8E13block_iq2_xxsLi1EXadL_ZL20vec_dot_iq2_xxs_q8_1PKvPK10block_q8_1RKiEEEvS2_S2_PT_PS6_iiii
; %bb.0:
	s_mov_b32 s52, s3
	s_load_dword s3, s[0:1], 0x3c
	s_load_dwordx4 s[48:51], s[0:1], 0x20
	v_bfe_u32 v1, v0, 10, 10
	s_waitcnt lgkmcnt(0)
	s_lshr_b32 s3, s3, 16
	s_mul_i32 s2, s2, s3
	v_add_u32_e32 v8, s2, v1
	v_cmp_gt_u32_e32 vcc, s50, v8
	s_and_saveexec_b64 s[2:3], vcc
	s_cbranch_execz .LBB247_7
; %bb.1:
	s_load_dwordx2 s[54:55], s[0:1], 0x10
	s_ashr_i32 s2, s49, 31
	s_lshr_b32 s2, s2, 24
	s_add_i32 s2, s49, s2
	v_and_b32_e32 v9, 0x3ff, v0
	s_ashr_i32 s33, s2, 8
	v_lshrrev_b32_e32 v10, 3, v9
	v_cmp_gt_u32_e32 vcc, s33, v10
	v_mov_b32_e32 v11, 0
	s_and_saveexec_b64 s[56:57], vcc
	s_cbranch_execz .LBB247_5
; %bb.2:
	s_load_dwordx2 s[2:3], s[0:1], 0x18
	v_cvt_f32_u32_e32 v0, s48
	s_mov_b32 s53, 0
	s_lshl_b64 s[4:5], s[52:53], 2
	v_and_b32_e32 v2, 7, v9
	s_waitcnt lgkmcnt(0)
	s_add_u32 s2, s2, s4
	v_rcp_iflag_f32_e32 v0, v0
	s_addc_u32 s3, s3, s5
	s_load_dword s8, s[2:3], 0x0
	s_load_dwordx4 s[4:7], s[0:1], 0x0
	s_mul_i32 s0, s33, s50
	v_mul_f32_e32 v0, 0x4f7ffffe, v0
	v_cvt_u32_f32_e32 v0, v0
	s_waitcnt lgkmcnt(0)
	s_mul_i32 s0, s0, s8
	s_mul_hi_i32 s1, s0, 0x42
	s_mulk_i32 s0, 0x42
	s_add_u32 s0, s4, s0
	s_addc_u32 s1, s5, s1
	s_sub_i32 s2, 0, s48
	v_readfirstlane_b32 s3, v0
	s_mul_i32 s2, s2, s3
	s_mul_hi_u32 s2, s3, s2
	s_add_i32 s3, s3, s2
	s_mul_hi_u32 s2, s52, s3
	s_mul_i32 s3, s2, s48
	s_sub_i32 s3, s52, s3
	s_add_i32 s4, s2, 1
	s_sub_i32 s5, s3, s48
	s_cmp_ge_u32 s3, s48
	s_cselect_b32 s2, s4, s2
	s_cselect_b32 s3, s5, s3
	s_add_i32 s4, s2, 1
	s_cmp_ge_u32 s3, s48
	s_cselect_b32 s2, s4, s2
	s_mul_i32 s2, s2, s51
	s_mov_b32 s3, s53
	s_lshl_b64 s[2:3], s[2:3], 2
	s_add_u32 s2, s6, s2
	s_addc_u32 s3, s7, s3
	v_lshlrev_b32_e32 v0, 2, v2
	v_mov_b32_e32 v1, 0
	s_movk_i32 s60, 0x42
	v_mul_lo_u32 v12, v8, s33
	v_mad_u64_u32 v[2:3], s[2:3], v2, 36, s[2:3]
	v_lshlrev_b32_e32 v13, 3, v10
	s_mov_b64 s[48:49], 0
	v_mov_b64_e32 v[4:5], s[0:1]
	v_lshlrev_b32_e32 v0, 1, v0
	s_mov_b32 s51, 0xffff
	v_mov_b32_e32 v14, 3
	v_mov_b32_e32 v11, v1
	s_getpc_b64 s[58:59]
	s_add_u32 s58, s58, _ZL12ksigns_iq2xs@rel32@lo+4
	s_addc_u32 s59, s59, _ZL12ksigns_iq2xs@rel32@hi+12
.LBB247_3:                              ; =>This Inner Loop Header: Depth=1
	v_add_u32_e32 v15, v12, v10
	v_mad_i64_i32 v[6:7], s[0:1], v13, 36, v[2:3]
	v_mad_i64_i32 v[24:25], s[2:3], v15, s60, v[4:5]
	global_load_dwordx4 v[16:19], v[6:7], off offset:20
	global_load_dwordx4 v[20:23], v[6:7], off offset:4
	global_load_ushort v15, v[6:7], off
	v_lshl_add_u64 v[6:7], v[24:25], 0, v[0:1]
	global_load_ushort v30, v[24:25], off
	global_load_dword v26, v[6:7], off offset:2
	global_load_dword v31, v[6:7], off offset:6
	s_getpc_b64 s[0:1]
	s_add_u32 s0, s0, _ZL11iq2xxs_grid@rel32@lo+4
	s_addc_u32 s1, s1, _ZL11iq2xxs_grid@rel32@hi+12
	v_add_u32_e32 v10, 8, v10
	v_add_u32_e32 v13, 64, v13
	s_waitcnt vmcnt(2)
	v_cvt_f32_f16_e32 v30, v30
	s_waitcnt vmcnt(1)
	v_lshlrev_b32_sdwa v32, v14, v26 dst_sel:DWORD dst_unused:UNUSED_PAD src0_sel:DWORD src1_sel:BYTE_0
	s_waitcnt vmcnt(0)
	v_and_b32_e32 v33, 0x7f, v31
	v_lshlrev_b32_sdwa v34, v14, v26 dst_sel:DWORD dst_unused:UNUSED_PAD src0_sel:DWORD src1_sel:BYTE_1
	v_bfe_u32 v35, v31, 7, 7
	v_lshlrev_b32_sdwa v36, v14, v26 dst_sel:DWORD dst_unused:UNUSED_PAD src0_sel:DWORD src1_sel:BYTE_2
	v_lshlrev_b32_sdwa v37, v14, v26 dst_sel:DWORD dst_unused:UNUSED_PAD src0_sel:DWORD src1_sel:BYTE_3
	v_bfe_u32 v38, v31, 21, 7
	global_load_dwordx2 v[6:7], v32, s[0:1]
	global_load_sbyte v39, v33, s[58:59]
	global_load_dwordx2 v[24:25], v34, s[0:1]
	global_load_dwordx2 v[26:27], v36, s[0:1]
	;; [unrolled: 1-line block ×3, first 2 shown]
	global_load_sbyte v40, v35, s[58:59]
	global_load_sbyte v41, v38, s[58:59]
	v_cmp_gt_u32_e64 s[2:3], 64, v33
	v_cmp_gt_u32_e32 vcc, 64, v35
	v_cmp_gt_u32_e64 s[0:1], 64, v38
	v_cvt_f32_f16_e32 v15, v15
	s_waitcnt vmcnt(6)
	v_mul_i32_i24_sdwa v37, v6, sext(v20) dst_sel:DWORD dst_unused:UNUSED_PAD src0_sel:BYTE_2 src1_sel:BYTE_2
	s_waitcnt vmcnt(5)
	v_and_b32_e32 v36, 2, v39
	v_and_b32_e32 v42, 4, v39
	v_cmp_eq_u16_e64 s[6:7], 0, v36
	v_sub_u32_e32 v36, 0, v37
	v_cmp_eq_u16_e64 s[8:9], 0, v42
	v_mul_i32_i24_sdwa v34, v6, sext(v20) dst_sel:DWORD dst_unused:UNUSED_PAD src0_sel:BYTE_1 src1_sel:BYTE_1
	v_mul_i32_i24_sdwa v43, v7, sext(v21) dst_sel:DWORD dst_unused:UNUSED_PAD src0_sel:BYTE_0 src1_sel:BYTE_0
	v_cndmask_b32_e64 v36, v36, v37, s[8:9]
	v_and_b32_e32 v37, 0xffff0000, v31
	v_and_or_b32 v37, v31, s51, v37
	v_mul_i32_i24_sdwa v45, v7, sext(v21) dst_sel:DWORD dst_unused:UNUSED_PAD src0_sel:BYTE_1 src1_sel:BYTE_1
	v_mul_i32_i24_sdwa v47, v7, sext(v21) dst_sel:DWORD dst_unused:UNUSED_PAD src0_sel:BYTE_2 src1_sel:BYTE_2
	v_mul_i32_i24_sdwa v7, v7, sext(v21) dst_sel:DWORD dst_unused:UNUSED_PAD src0_sel:BYTE_3 src1_sel:BYTE_3
	s_waitcnt vmcnt(4)
	v_mul_i32_i24_sdwa v21, v24, sext(v22) dst_sel:DWORD dst_unused:UNUSED_PAD src0_sel:BYTE_0 src1_sel:BYTE_0
	v_mul_i32_i24_sdwa v48, v24, sext(v22) dst_sel:DWORD dst_unused:UNUSED_PAD src0_sel:BYTE_1 src1_sel:BYTE_1
	v_mul_i32_i24_sdwa v49, v24, sext(v22) dst_sel:DWORD dst_unused:UNUSED_PAD src0_sel:BYTE_2 src1_sel:BYTE_2
	v_mul_i32_i24_sdwa v22, v24, sext(v22) dst_sel:DWORD dst_unused:UNUSED_PAD src0_sel:BYTE_3 src1_sel:BYTE_3
	v_mul_i32_i24_sdwa v24, v25, sext(v23) dst_sel:DWORD dst_unused:UNUSED_PAD src0_sel:BYTE_0 src1_sel:BYTE_0
	v_mul_i32_i24_sdwa v50, v25, sext(v23) dst_sel:DWORD dst_unused:UNUSED_PAD src0_sel:BYTE_1 src1_sel:BYTE_1
	v_mul_i32_i24_sdwa v51, v25, sext(v23) dst_sel:DWORD dst_unused:UNUSED_PAD src0_sel:BYTE_2 src1_sel:BYTE_2
	v_mul_i32_i24_sdwa v23, v25, sext(v23) dst_sel:DWORD dst_unused:UNUSED_PAD src0_sel:BYTE_3 src1_sel:BYTE_3
	s_waitcnt vmcnt(3)
	v_mul_i32_i24_sdwa v25, v26, sext(v16) dst_sel:DWORD dst_unused:UNUSED_PAD src0_sel:BYTE_0 src1_sel:BYTE_0
	v_mul_i32_i24_sdwa v52, v26, sext(v16) dst_sel:DWORD dst_unused:UNUSED_PAD src0_sel:BYTE_1 src1_sel:BYTE_1
	v_mul_i32_i24_sdwa v53, v26, sext(v16) dst_sel:DWORD dst_unused:UNUSED_PAD src0_sel:BYTE_2 src1_sel:BYTE_2
	v_mul_i32_i24_sdwa v16, v26, sext(v16) dst_sel:DWORD dst_unused:UNUSED_PAD src0_sel:BYTE_3 src1_sel:BYTE_3
	v_mul_i32_i24_sdwa v26, v27, sext(v17) dst_sel:DWORD dst_unused:UNUSED_PAD src0_sel:BYTE_0 src1_sel:BYTE_0
	v_mul_i32_i24_sdwa v54, v27, sext(v17) dst_sel:DWORD dst_unused:UNUSED_PAD src0_sel:BYTE_1 src1_sel:BYTE_1
	v_mul_i32_i24_sdwa v55, v27, sext(v17) dst_sel:DWORD dst_unused:UNUSED_PAD src0_sel:BYTE_2 src1_sel:BYTE_2
	v_mul_i32_i24_sdwa v17, v27, sext(v17) dst_sel:DWORD dst_unused:UNUSED_PAD src0_sel:BYTE_3 src1_sel:BYTE_3
	s_waitcnt vmcnt(2)
	v_mul_i32_i24_sdwa v27, v28, sext(v18) dst_sel:DWORD dst_unused:UNUSED_PAD src0_sel:BYTE_0 src1_sel:BYTE_0
	v_mul_i32_i24_sdwa v56, v28, sext(v18) dst_sel:DWORD dst_unused:UNUSED_PAD src0_sel:BYTE_1 src1_sel:BYTE_1
	v_mul_i32_i24_sdwa v57, v28, sext(v18) dst_sel:DWORD dst_unused:UNUSED_PAD src0_sel:BYTE_2 src1_sel:BYTE_2
	v_mul_i32_i24_sdwa v18, v28, sext(v18) dst_sel:DWORD dst_unused:UNUSED_PAD src0_sel:BYTE_3 src1_sel:BYTE_3
	v_mul_i32_i24_sdwa v28, v29, sext(v19) dst_sel:DWORD dst_unused:UNUSED_PAD src0_sel:BYTE_0 src1_sel:BYTE_0
	v_mul_i32_i24_sdwa v58, v29, sext(v19) dst_sel:DWORD dst_unused:UNUSED_PAD src0_sel:BYTE_1 src1_sel:BYTE_1
	v_mul_i32_i24_sdwa v59, v29, sext(v19) dst_sel:DWORD dst_unused:UNUSED_PAD src0_sel:BYTE_2 src1_sel:BYTE_2
	v_mul_i32_i24_sdwa v19, v29, sext(v19) dst_sel:DWORD dst_unused:UNUSED_PAD src0_sel:BYTE_3 src1_sel:BYTE_3
	s_waitcnt vmcnt(1)
	v_and_b32_e32 v29, 1, v40
	v_and_b32_e32 v60, 2, v40
	;; [unrolled: 1-line block ×6, first 2 shown]
	v_cmp_gt_i16_e64 s[4:5], 0, v40
	v_sub_u32_e32 v40, 0, v34
	v_bfe_u32 v37, v37, 14, 7
	v_cndmask_b32_e64 v34, v40, v34, s[6:7]
	v_cmp_gt_u32_e64 s[6:7], 64, v37
	global_load_sbyte v37, v37, s[58:59]
	v_mul_i32_i24_sdwa v32, v6, sext(v20) dst_sel:DWORD dst_unused:UNUSED_PAD src0_sel:BYTE_0 src1_sel:BYTE_0
	v_mul_i32_i24_sdwa v6, v6, sext(v20) dst_sel:DWORD dst_unused:UNUSED_PAD src0_sel:BYTE_3 src1_sel:BYTE_3
	v_and_b32_e32 v20, 8, v39
	v_and_b32_e32 v44, 16, v39
	;; [unrolled: 1-line block ×3, first 2 shown]
	v_cmp_gt_i16_e64 s[44:45], 0, v39
	v_and_b32_e32 v39, 1, v39
	v_sub_u32_e32 v72, 0, v32
	v_cmp_eq_u16_e64 s[46:47], 0, v39
	s_waitcnt vmcnt(1)
	v_and_b32_e32 v68, 8, v41
	v_sub_u32_e32 v42, 0, v6
	v_cmp_eq_u16_e64 s[10:11], 0, v20
	v_cndmask_b32_e64 v32, v72, v32, s[46:47]
	v_and_b32_e32 v65, 1, v41
	v_and_b32_e32 v66, 2, v41
	v_and_b32_e32 v67, 4, v41
	v_sub_u32_e32 v20, 0, v43
	v_cmp_eq_u16_e64 s[12:13], 0, v44
	v_sub_u32_e32 v44, 0, v45
	v_cmp_eq_u16_e64 s[14:15], 0, v46
	v_cmp_eq_u16_e64 s[36:37], 0, v68
	v_and_b32_e32 v68, 16, v41
	v_cmp_gt_i16_e64 s[40:41], 0, v41
	v_and_b32_e32 v41, 32, v41
	v_cndmask_b32_e64 v6, v42, v6, s[10:11]
	v_add_u32_e32 v32, v34, v32
	v_sub_u32_e32 v69, 0, v47
	v_sub_u32_e32 v33, 0, v51
	;; [unrolled: 1-line block ×3, first 2 shown]
	v_cmp_eq_u16_e64 s[16:17], 0, v29
	v_cmp_eq_u16_e64 s[42:43], 0, v41
	v_sub_u32_e32 v41, 0, v7
	v_cndmask_b32_e64 v20, v20, v43, s[12:13]
	v_cndmask_b32_e64 v42, v44, v45, s[14:15]
	v_add3_u32 v6, v32, v36, v6
	v_sub_u32_e32 v38, 0, v23
	v_sub_u32_e32 v29, 0, v48
	v_cmp_eq_u16_e64 s[18:19], 0, v60
	v_cmp_eq_u16_e64 s[28:29], 0, v65
	v_sub_u32_e32 v65, 0, v56
	v_cmp_eq_u16_e64 s[30:31], 0, v66
	v_sub_u32_e32 v39, 0, v55
	v_cndmask_b32_e64 v44, v69, v47, s[2:3]
	v_cndmask_b32_e64 v7, v7, v41, s[44:45]
	;; [unrolled: 1-line block ×3, first 2 shown]
	v_sub_u32_e32 v46, 0, v17
	v_cndmask_b32_e32 v33, v33, v51, vcc
	v_add3_u32 v6, v6, v20, v42
	v_sub_u32_e32 v60, 0, v49
	v_cmp_eq_u16_e64 s[20:21], 0, v61
	v_sub_u32_e32 v61, 0, v22
	v_cmp_eq_u16_e64 s[22:23], 0, v62
	;; [unrolled: 2-line block ×3, first 2 shown]
	v_sub_u32_e32 v40, 0, v25
	v_cndmask_b32_e64 v29, v29, v48, s[18:19]
	v_cndmask_b32_e64 v23, v23, v38, s[4:5]
	;; [unrolled: 1-line block ×4, first 2 shown]
	v_add3_u32 v6, v6, v44, v7
	v_sub_u32_e32 v62, 0, v24
	v_cmp_eq_u16_e64 s[24:25], 0, v63
	v_sub_u32_e32 v63, 0, v50
	v_cmp_eq_u16_e64 s[26:27], 0, v64
	v_sub_u32_e32 v43, 0, v52
	v_cndmask_b32_e64 v48, v60, v49, s[20:21]
	v_cndmask_b32_e64 v22, v61, v22, s[22:23]
	;; [unrolled: 1-line block ×3, first 2 shown]
	v_add3_u32 v6, v6, v21, v29
	v_sub_u32_e32 v45, 0, v53
	v_cndmask_b32_e64 v24, v62, v24, s[24:25]
	v_cndmask_b32_e64 v50, v63, v50, s[26:27]
	v_add3_u32 v6, v6, v48, v22
	v_sub_u32_e32 v41, 0, v16
	v_add3_u32 v6, v6, v24, v50
	v_sub_u32_e32 v47, 0, v26
	;; [unrolled: 2-line block ×3, first 2 shown]
	v_sub_u32_e32 v64, 0, v27
	s_waitcnt vmcnt(0)
	v_and_b32_e32 v51, 1, v37
	v_cmp_gt_i16_e32 vcc, 0, v37
	v_and_b32_e32 v56, 2, v37
	v_and_b32_e32 v57, 4, v37
	v_cndmask_b32_e32 v17, v17, v46, vcc
	v_cmp_eq_u16_e32 vcc, 0, v51
	v_and_b32_e32 v60, 8, v37
	v_and_b32_e32 v61, 16, v37
	v_cndmask_b32_e32 v25, v40, v25, vcc
	v_cmp_eq_u16_e32 vcc, 0, v56
	v_and_b32_e32 v62, 32, v37
	v_sub_u32_e32 v67, 0, v18
	v_cndmask_b32_e32 v34, v43, v52, vcc
	v_cmp_eq_u16_e32 vcc, 0, v57
	v_add3_u32 v6, v6, v25, v34
	v_cndmask_b32_e64 v27, v64, v27, s[28:29]
	v_cndmask_b32_e32 v37, v45, v53, vcc
	v_cmp_eq_u16_e32 vcc, 0, v60
	v_sub_u32_e32 v70, 0, v28
	v_cmp_eq_u16_e64 s[38:39], 0, v68
	v_cndmask_b32_e32 v16, v41, v16, vcc
	v_cmp_eq_u16_e32 vcc, 0, v61
	v_add3_u32 v6, v6, v37, v16
	v_sub_u32_e32 v71, 0, v58
	v_cndmask_b32_e32 v26, v47, v26, vcc
	v_cmp_eq_u16_e32 vcc, 0, v62
	v_cndmask_b32_e64 v18, v67, v18, s[36:37]
	v_sub_u32_e32 v35, 0, v59
	v_cndmask_b32_e32 v40, v49, v54, vcc
	v_add3_u32 v6, v6, v26, v40
	v_add3_u32 v6, v6, v38, v17
	;; [unrolled: 1-line block ×3, first 2 shown]
	v_sub_u32_e32 v68, 0, v19
	v_cndmask_b32_e64 v28, v70, v28, s[38:39]
	v_cndmask_b32_e64 v58, v71, v58, s[42:43]
	v_add3_u32 v6, v6, v55, v18
	v_lshrrev_b32_e32 v31, 28, v31
	v_cndmask_b32_e64 v35, v35, v59, s[0:1]
	v_cndmask_b32_e64 v19, v19, v68, s[40:41]
	v_add3_u32 v6, v6, v28, v58
	v_cvt_f32_ubyte0_e32 v31, v31
	v_add3_u32 v6, v6, v35, v19
	v_add_f32_e32 v31, 0.5, v31
	v_cvt_f32_i32_e32 v6, v6
	v_mul_f32_e32 v7, v31, v30
	v_mul_f32_e32 v7, v7, v15
	v_cmp_le_u32_e64 s[8:9], s33, v10
	v_mul_f32_e32 v7, 0x3e800000, v7
	s_or_b64 s[48:49], s[8:9], s[48:49]
	v_fmac_f32_e32 v11, v7, v6
	s_andn2_b64 exec, exec, s[48:49]
	s_cbranch_execnz .LBB247_3
; %bb.4:
	s_or_b64 exec, exec, s[48:49]
.LBB247_5:
	s_or_b64 exec, exec, s[56:57]
	v_mbcnt_lo_u32_b32 v0, -1, 0
	v_mbcnt_hi_u32_b32 v1, -1, v0
	v_and_b32_e32 v0, 64, v1
	v_add_u32_e32 v2, 64, v0
	v_xor_b32_e32 v0, 32, v1
	v_cmp_lt_i32_e32 vcc, v0, v2
	v_xor_b32_e32 v3, 16, v1
	v_xor_b32_e32 v4, 8, v1
	v_cndmask_b32_e32 v0, v1, v0, vcc
	v_lshlrev_b32_e32 v0, 2, v0
	ds_bpermute_b32 v0, v0, v11
	v_cmp_lt_i32_e32 vcc, v3, v2
	s_waitcnt lgkmcnt(0)
	v_add_f32_e32 v0, v11, v0
	v_cndmask_b32_e32 v3, v1, v3, vcc
	v_lshlrev_b32_e32 v3, 2, v3
	ds_bpermute_b32 v3, v3, v0
	v_cmp_lt_i32_e32 vcc, v4, v2
	s_waitcnt lgkmcnt(0)
	v_add_f32_e32 v0, v0, v3
	v_cndmask_b32_e32 v3, v1, v4, vcc
	v_lshlrev_b32_e32 v3, 2, v3
	ds_bpermute_b32 v3, v3, v0
	v_xor_b32_e32 v4, 4, v1
	v_cmp_lt_i32_e32 vcc, v4, v2
	s_waitcnt lgkmcnt(0)
	v_add_f32_e32 v0, v0, v3
	v_cndmask_b32_e32 v3, v1, v4, vcc
	v_lshlrev_b32_e32 v3, 2, v3
	ds_bpermute_b32 v3, v3, v0
	v_xor_b32_e32 v4, 2, v1
	;; [unrolled: 7-line block ×3, first 2 shown]
	v_cmp_lt_i32_e32 vcc, v4, v2
	s_waitcnt lgkmcnt(0)
	v_add_f32_e32 v0, v0, v3
	v_cndmask_b32_e32 v1, v1, v4, vcc
	v_lshlrev_b32_e32 v1, 2, v1
	ds_bpermute_b32 v1, v1, v0
	v_cmp_eq_u32_e32 vcc, 0, v9
	s_and_b64 exec, exec, vcc
	s_cbranch_execz .LBB247_7
; %bb.6:
	s_mul_i32 s0, s52, s50
	s_waitcnt lgkmcnt(0)
	v_add_f32_e32 v2, v0, v1
	v_add_u32_e32 v0, s0, v8
	v_mov_b32_e32 v1, 0
	v_lshl_add_u64 v[0:1], v[0:1], 2, s[54:55]
	global_store_dword v[0:1], v2, off
.LBB247_7:
	s_endpgm
	.section	.rodata,"a",@progbits
	.p2align	6, 0x0
	.amdhsa_kernel _ZL9moe_vec_qIfLi256ELi8E13block_iq2_xxsLi1EXadL_ZL20vec_dot_iq2_xxs_q8_1PKvPK10block_q8_1RKiEEEvS2_S2_PT_PS6_iiii
		.amdhsa_group_segment_fixed_size 0
		.amdhsa_private_segment_fixed_size 0
		.amdhsa_kernarg_size 304
		.amdhsa_user_sgpr_count 2
		.amdhsa_user_sgpr_dispatch_ptr 0
		.amdhsa_user_sgpr_queue_ptr 0
		.amdhsa_user_sgpr_kernarg_segment_ptr 1
		.amdhsa_user_sgpr_dispatch_id 0
		.amdhsa_user_sgpr_kernarg_preload_length 0
		.amdhsa_user_sgpr_kernarg_preload_offset 0
		.amdhsa_user_sgpr_private_segment_size 0
		.amdhsa_uses_dynamic_stack 0
		.amdhsa_enable_private_segment 0
		.amdhsa_system_sgpr_workgroup_id_x 1
		.amdhsa_system_sgpr_workgroup_id_y 0
		.amdhsa_system_sgpr_workgroup_id_z 1
		.amdhsa_system_sgpr_workgroup_info 0
		.amdhsa_system_vgpr_workitem_id 1
		.amdhsa_next_free_vgpr 73
		.amdhsa_next_free_sgpr 61
		.amdhsa_accum_offset 76
		.amdhsa_reserve_vcc 1
		.amdhsa_float_round_mode_32 0
		.amdhsa_float_round_mode_16_64 0
		.amdhsa_float_denorm_mode_32 3
		.amdhsa_float_denorm_mode_16_64 3
		.amdhsa_dx10_clamp 1
		.amdhsa_ieee_mode 1
		.amdhsa_fp16_overflow 0
		.amdhsa_tg_split 0
		.amdhsa_exception_fp_ieee_invalid_op 0
		.amdhsa_exception_fp_denorm_src 0
		.amdhsa_exception_fp_ieee_div_zero 0
		.amdhsa_exception_fp_ieee_overflow 0
		.amdhsa_exception_fp_ieee_underflow 0
		.amdhsa_exception_fp_ieee_inexact 0
		.amdhsa_exception_int_div_zero 0
	.end_amdhsa_kernel
	.section	.text._ZL9moe_vec_qIfLi256ELi8E13block_iq2_xxsLi1EXadL_ZL20vec_dot_iq2_xxs_q8_1PKvPK10block_q8_1RKiEEEvS2_S2_PT_PS6_iiii,"axG",@progbits,_ZL9moe_vec_qIfLi256ELi8E13block_iq2_xxsLi1EXadL_ZL20vec_dot_iq2_xxs_q8_1PKvPK10block_q8_1RKiEEEvS2_S2_PT_PS6_iiii,comdat
.Lfunc_end247:
	.size	_ZL9moe_vec_qIfLi256ELi8E13block_iq2_xxsLi1EXadL_ZL20vec_dot_iq2_xxs_q8_1PKvPK10block_q8_1RKiEEEvS2_S2_PT_PS6_iiii, .Lfunc_end247-_ZL9moe_vec_qIfLi256ELi8E13block_iq2_xxsLi1EXadL_ZL20vec_dot_iq2_xxs_q8_1PKvPK10block_q8_1RKiEEEvS2_S2_PT_PS6_iiii
                                        ; -- End function
	.section	.AMDGPU.csdata,"",@progbits
; Kernel info:
; codeLenInByte = 2048
; NumSgprs: 67
; NumVgprs: 73
; NumAgprs: 0
; TotalNumVgprs: 73
; ScratchSize: 0
; MemoryBound: 0
; FloatMode: 240
; IeeeMode: 1
; LDSByteSize: 0 bytes/workgroup (compile time only)
; SGPRBlocks: 8
; VGPRBlocks: 9
; NumSGPRsForWavesPerEU: 67
; NumVGPRsForWavesPerEU: 73
; AccumOffset: 76
; Occupancy: 6
; WaveLimiterHint : 1
; COMPUTE_PGM_RSRC2:SCRATCH_EN: 0
; COMPUTE_PGM_RSRC2:USER_SGPR: 2
; COMPUTE_PGM_RSRC2:TRAP_HANDLER: 0
; COMPUTE_PGM_RSRC2:TGID_X_EN: 1
; COMPUTE_PGM_RSRC2:TGID_Y_EN: 0
; COMPUTE_PGM_RSRC2:TGID_Z_EN: 1
; COMPUTE_PGM_RSRC2:TIDIG_COMP_CNT: 1
; COMPUTE_PGM_RSRC3_GFX90A:ACCUM_OFFSET: 18
; COMPUTE_PGM_RSRC3_GFX90A:TG_SPLIT: 0
	.section	.text._ZL9moe_vec_qIfLi256ELi8E12block_iq2_xsLi1EXadL_ZL19vec_dot_iq2_xs_q8_1PKvPK10block_q8_1RKiEEEvS2_S2_PT_PS6_iiii,"axG",@progbits,_ZL9moe_vec_qIfLi256ELi8E12block_iq2_xsLi1EXadL_ZL19vec_dot_iq2_xs_q8_1PKvPK10block_q8_1RKiEEEvS2_S2_PT_PS6_iiii,comdat
	.globl	_ZL9moe_vec_qIfLi256ELi8E12block_iq2_xsLi1EXadL_ZL19vec_dot_iq2_xs_q8_1PKvPK10block_q8_1RKiEEEvS2_S2_PT_PS6_iiii ; -- Begin function _ZL9moe_vec_qIfLi256ELi8E12block_iq2_xsLi1EXadL_ZL19vec_dot_iq2_xs_q8_1PKvPK10block_q8_1RKiEEEvS2_S2_PT_PS6_iiii
	.p2align	8
	.type	_ZL9moe_vec_qIfLi256ELi8E12block_iq2_xsLi1EXadL_ZL19vec_dot_iq2_xs_q8_1PKvPK10block_q8_1RKiEEEvS2_S2_PT_PS6_iiii,@function
_ZL9moe_vec_qIfLi256ELi8E12block_iq2_xsLi1EXadL_ZL19vec_dot_iq2_xs_q8_1PKvPK10block_q8_1RKiEEEvS2_S2_PT_PS6_iiii: ; @_ZL9moe_vec_qIfLi256ELi8E12block_iq2_xsLi1EXadL_ZL19vec_dot_iq2_xs_q8_1PKvPK10block_q8_1RKiEEEvS2_S2_PT_PS6_iiii
; %bb.0:
	s_mov_b32 s68, s3
	s_load_dword s3, s[0:1], 0x3c
	s_load_dwordx4 s[64:67], s[0:1], 0x20
	v_bfe_u32 v1, v0, 10, 10
	s_waitcnt lgkmcnt(0)
	s_lshr_b32 s3, s3, 16
	s_mul_i32 s2, s2, s3
	v_add_u32_e32 v18, s2, v1
	v_cmp_gt_u32_e32 vcc, s66, v18
	s_and_saveexec_b64 s[2:3], vcc
	s_cbranch_execz .LBB248_7
; %bb.1:
	s_load_dwordx2 s[70:71], s[0:1], 0x10
	s_ashr_i32 s2, s65, 31
	s_lshr_b32 s2, s2, 24
	s_add_i32 s2, s65, s2
	v_and_b32_e32 v19, 0x3ff, v0
	s_ashr_i32 s33, s2, 8
	v_lshrrev_b32_e32 v20, 3, v19
	v_cmp_gt_u32_e32 vcc, s33, v20
	v_mov_b32_e32 v21, 0
	s_and_saveexec_b64 s[72:73], vcc
	s_cbranch_execz .LBB248_5
; %bb.2:
	s_load_dwordx2 s[2:3], s[0:1], 0x18
	v_cvt_f32_u32_e32 v0, s64
	s_mov_b32 s69, 0
	s_lshl_b64 s[4:5], s[68:69], 2
	v_and_b32_e32 v8, 7, v19
	s_waitcnt lgkmcnt(0)
	s_add_u32 s2, s2, s4
	v_rcp_iflag_f32_e32 v0, v0
	s_addc_u32 s3, s3, s5
	s_load_dword s8, s[2:3], 0x0
	s_load_dwordx4 s[4:7], s[0:1], 0x0
	s_mul_i32 s0, s33, s66
	v_mul_f32_e32 v0, 0x4f7ffffe, v0
	v_cvt_u32_f32_e32 v0, v0
	s_waitcnt lgkmcnt(0)
	s_mul_i32 s0, s0, s8
	s_mul_hi_i32 s1, s0, 0x4a
	s_mulk_i32 s0, 0x4a
	s_add_u32 s0, s4, s0
	s_addc_u32 s1, s5, s1
	s_sub_i32 s2, 0, s64
	v_readfirstlane_b32 s3, v0
	s_mul_i32 s2, s2, s3
	s_mul_hi_u32 s2, s3, s2
	s_add_i32 s3, s3, s2
	s_mul_hi_u32 s2, s68, s3
	s_mul_i32 s3, s2, s64
	s_sub_i32 s3, s68, s3
	s_add_i32 s4, s2, 1
	s_sub_i32 s5, s3, s64
	s_cmp_ge_u32 s3, s64
	s_cselect_b32 s2, s4, s2
	s_cselect_b32 s3, s5, s3
	s_add_i32 s4, s2, 1
	s_cmp_ge_u32 s3, s64
	s_cselect_b32 s2, s4, s2
	s_mul_i32 s2, s2, s67
	s_mov_b32 s3, s69
	s_lshl_b64 s[2:3], s[2:3], 2
	s_add_u32 s2, s6, s2
	s_addc_u32 s3, s7, s3
	v_lshlrev_b32_e32 v0, 2, v8
	v_mov_b32_e32 v9, 0
	s_movk_i32 s74, 0x4a
	v_mul_lo_u32 v22, v18, s33
	v_mad_u64_u32 v[10:11], s[2:3], v8, 36, s[2:3]
	v_lshlrev_b32_e32 v23, 3, v20
	s_mov_b64 s[64:65], 0
	v_mov_b64_e32 v[12:13], s[0:1]
	v_lshlrev_b32_e32 v14, 1, v0
	v_mov_b32_e32 v15, v9
	v_mov_b32_e32 v21, v9
.LBB248_3:                              ; =>This Inner Loop Header: Depth=1
	v_add_u32_e32 v0, v22, v20
	v_mad_i64_i32 v[16:17], s[0:1], v23, 36, v[10:11]
	v_mad_i64_i32 v[28:29], s[4:5], v0, s74, v[12:13]
	global_load_dwordx4 v[0:3], v[16:17], off offset:20
	global_load_dwordx4 v[4:7], v[16:17], off offset:4
	global_load_ushort v24, v[16:17], off
	v_lshl_add_u64 v[30:31], v[28:29], 0, v[14:15]
	v_lshl_add_u64 v[32:33], v[28:29], 0, v[8:9]
	global_load_ushort v26, v[28:29], off
	global_load_dwordx2 v[16:17], v[30:31], off offset:2
	global_load_ubyte v25, v[32:33], off offset:66
	s_getpc_b64 s[2:3]
	s_add_u32 s2, s2, _ZL10iq2xs_grid@rel32@lo+4
	s_addc_u32 s3, s3, _ZL10iq2xs_grid@rel32@hi+12
	s_getpc_b64 s[0:1]
	s_add_u32 s0, s0, _ZL12ksigns_iq2xs@rel32@lo+4
	s_addc_u32 s1, s1, _ZL12ksigns_iq2xs@rel32@hi+12
	v_add_u32_e32 v20, 8, v20
	v_add_u32_e32 v23, 64, v23
	s_waitcnt vmcnt(3)
	v_cvt_f32_f16_e32 v24, v24
	s_waitcnt vmcnt(2)
	v_cvt_f32_f16_e32 v26, v26
	s_waitcnt vmcnt(1)
	v_bfe_u32 v28, v16, 9, 7
	v_and_b32_e32 v27, 0x1ff, v16
	v_lshrrev_b32_e32 v29, 13, v16
	v_lshrrev_b32_e32 v30, 25, v16
	v_and_b32_e32 v31, 0x1ff, v17
	v_bfe_u32 v32, v17, 9, 7
	v_lshrrev_b32_e32 v33, 13, v17
	v_lshrrev_b32_e32 v36, 25, v17
	global_load_sbyte v37, v28, s[0:1]
	global_load_sbyte v38, v30, s[0:1]
	;; [unrolled: 1-line block ×3, first 2 shown]
	v_lshlrev_b32_e32 v27, 3, v27
	v_and_b32_e32 v40, 0xff8, v29
	v_lshlrev_b32_e32 v41, 3, v31
	v_and_b32_e32 v42, 0xff8, v33
	global_load_sbyte v43, v36, s[0:1]
	global_load_dwordx2 v[28:29], v27, s[2:3]
	global_load_dwordx2 v[30:31], v40, s[2:3]
	;; [unrolled: 1-line block ×4, first 2 shown]
	v_cmp_gt_i16_e64 s[0:1], 0, v17
	v_cmp_lt_i16_sdwa vcc, v17, v9 src0_sel:WORD_1 src1_sel:DWORD
	v_cmp_gt_i16_e64 s[4:5], 0, v16
	v_cmp_lt_i16_sdwa s[2:3], v16, v9 src0_sel:WORD_1 src1_sel:DWORD
	s_waitcnt vmcnt(7)
	v_and_b32_e32 v27, 2, v37
	s_waitcnt vmcnt(6)
	v_and_b32_e32 v46, 4, v38
	v_and_b32_e32 v47, 8, v38
	;; [unrolled: 1-line block ×3, first 2 shown]
	s_waitcnt vmcnt(5)
	v_and_b32_e32 v50, 1, v39
	v_and_b32_e32 v51, 2, v39
	s_waitcnt vmcnt(3)
	v_mul_i32_i24_sdwa v57, v28, sext(v4) dst_sel:DWORD dst_unused:UNUSED_PAD src0_sel:BYTE_0 src1_sel:BYTE_0
	v_mul_i32_i24_sdwa v58, v28, sext(v4) dst_sel:DWORD dst_unused:UNUSED_PAD src0_sel:BYTE_1 src1_sel:BYTE_1
	v_mul_i32_i24_sdwa v59, v28, sext(v4) dst_sel:DWORD dst_unused:UNUSED_PAD src0_sel:BYTE_2 src1_sel:BYTE_2
	v_mul_i32_i24_sdwa v4, v28, sext(v4) dst_sel:DWORD dst_unused:UNUSED_PAD src0_sel:BYTE_3 src1_sel:BYTE_3
	v_mul_i32_i24_sdwa v28, v29, sext(v5) dst_sel:DWORD dst_unused:UNUSED_PAD src0_sel:BYTE_0 src1_sel:BYTE_0
	v_mul_i32_i24_sdwa v60, v29, sext(v5) dst_sel:DWORD dst_unused:UNUSED_PAD src0_sel:BYTE_1 src1_sel:BYTE_1
	v_mul_i32_i24_sdwa v61, v29, sext(v5) dst_sel:DWORD dst_unused:UNUSED_PAD src0_sel:BYTE_2 src1_sel:BYTE_2
	v_mul_i32_i24_sdwa v5, v29, sext(v5) dst_sel:DWORD dst_unused:UNUSED_PAD src0_sel:BYTE_3 src1_sel:BYTE_3
	s_waitcnt vmcnt(2)
	v_mul_i32_i24_sdwa v29, v30, sext(v6) dst_sel:DWORD dst_unused:UNUSED_PAD src0_sel:BYTE_0 src1_sel:BYTE_0
	v_mul_i32_i24_sdwa v62, v30, sext(v6) dst_sel:DWORD dst_unused:UNUSED_PAD src0_sel:BYTE_1 src1_sel:BYTE_1
	v_mul_i32_i24_sdwa v63, v30, sext(v6) dst_sel:DWORD dst_unused:UNUSED_PAD src0_sel:BYTE_2 src1_sel:BYTE_2
	v_mul_i32_i24_sdwa v6, v30, sext(v6) dst_sel:DWORD dst_unused:UNUSED_PAD src0_sel:BYTE_3 src1_sel:BYTE_3
	v_mul_i32_i24_sdwa v30, v31, sext(v7) dst_sel:DWORD dst_unused:UNUSED_PAD src0_sel:BYTE_0 src1_sel:BYTE_0
	v_mul_i32_i24_sdwa v64, v31, sext(v7) dst_sel:DWORD dst_unused:UNUSED_PAD src0_sel:BYTE_1 src1_sel:BYTE_1
	v_mul_i32_i24_sdwa v65, v31, sext(v7) dst_sel:DWORD dst_unused:UNUSED_PAD src0_sel:BYTE_2 src1_sel:BYTE_2
	v_mul_i32_i24_sdwa v7, v31, sext(v7) dst_sel:DWORD dst_unused:UNUSED_PAD src0_sel:BYTE_3 src1_sel:BYTE_3
	s_waitcnt vmcnt(1)
	v_mul_i32_i24_sdwa v31, v32, sext(v0) dst_sel:DWORD dst_unused:UNUSED_PAD src0_sel:BYTE_0 src1_sel:BYTE_0
	v_mul_i32_i24_sdwa v66, v32, sext(v0) dst_sel:DWORD dst_unused:UNUSED_PAD src0_sel:BYTE_1 src1_sel:BYTE_1
	v_and_b32_e32 v17, 4, v43
	v_and_b32_e32 v36, 4, v37
	;; [unrolled: 1-line block ×8, first 2 shown]
	v_mul_i32_i24_sdwa v67, v32, sext(v0) dst_sel:DWORD dst_unused:UNUSED_PAD src0_sel:BYTE_2 src1_sel:BYTE_2
	v_mul_i32_i24_sdwa v0, v32, sext(v0) dst_sel:DWORD dst_unused:UNUSED_PAD src0_sel:BYTE_3 src1_sel:BYTE_3
	v_cmp_eq_u16_e64 s[24:25], 0, v46
	v_sub_u32_e32 v46, 0, v6
	v_cmp_eq_u16_e64 s[26:27], 0, v47
	v_cmp_eq_u16_e64 s[30:31], 0, v49
	v_sub_u32_e32 v49, 0, v31
	v_cmp_eq_u16_e64 s[34:35], 0, v50
	v_sub_u32_e32 v50, 0, v66
	v_cmp_eq_u16_e64 s[36:37], 0, v51
	v_cmp_eq_u16_e64 s[50:51], 0, v17
	v_and_b32_e32 v17, 8, v43
	v_cmp_gt_i16_e64 s[60:61], 0, v37
	v_and_b32_e32 v37, 1, v37
	v_and_b32_e32 v44, 1, v38
	;; [unrolled: 1-line block ×5, first 2 shown]
	v_mul_i32_i24_sdwa v32, v33, sext(v1) dst_sel:DWORD dst_unused:UNUSED_PAD src0_sel:BYTE_0 src1_sel:BYTE_0
	v_mul_i32_i24_sdwa v68, v33, sext(v1) dst_sel:DWORD dst_unused:UNUSED_PAD src0_sel:BYTE_1 src1_sel:BYTE_1
	v_mul_i32_i24_sdwa v69, v33, sext(v1) dst_sel:DWORD dst_unused:UNUSED_PAD src0_sel:BYTE_2 src1_sel:BYTE_2
	v_mul_i32_i24_sdwa v1, v33, sext(v1) dst_sel:DWORD dst_unused:UNUSED_PAD src0_sel:BYTE_3 src1_sel:BYTE_3
	s_waitcnt vmcnt(0)
	v_mul_i32_i24_sdwa v33, v34, sext(v2) dst_sel:DWORD dst_unused:UNUSED_PAD src0_sel:BYTE_0 src1_sel:BYTE_0
	v_mul_i32_i24_sdwa v70, v34, sext(v2) dst_sel:DWORD dst_unused:UNUSED_PAD src0_sel:BYTE_1 src1_sel:BYTE_1
	v_mul_i32_i24_sdwa v71, v34, sext(v2) dst_sel:DWORD dst_unused:UNUSED_PAD src0_sel:BYTE_2 src1_sel:BYTE_2
	v_mul_i32_i24_sdwa v2, v34, sext(v2) dst_sel:DWORD dst_unused:UNUSED_PAD src0_sel:BYTE_3 src1_sel:BYTE_3
	v_mul_i32_i24_sdwa v34, v35, sext(v3) dst_sel:DWORD dst_unused:UNUSED_PAD src0_sel:BYTE_0 src1_sel:BYTE_0
	v_mul_i32_i24_sdwa v72, v35, sext(v3) dst_sel:DWORD dst_unused:UNUSED_PAD src0_sel:BYTE_1 src1_sel:BYTE_1
	v_mul_i32_i24_sdwa v73, v35, sext(v3) dst_sel:DWORD dst_unused:UNUSED_PAD src0_sel:BYTE_2 src1_sel:BYTE_2
	v_mul_i32_i24_sdwa v3, v35, sext(v3) dst_sel:DWORD dst_unused:UNUSED_PAD src0_sel:BYTE_3 src1_sel:BYTE_3
	v_cmp_gt_i16_e64 s[8:9], 0, v39
	v_sub_u32_e32 v39, 0, v58
	v_cmp_eq_u16_e64 s[10:11], 0, v27
	v_sub_u32_e32 v47, 0, v30
	v_cmp_eq_u16_e64 s[28:29], 0, v48
	;; [unrolled: 2-line block ×4, first 2 shown]
	v_cmp_eq_u16_e64 s[52:53], 0, v17
	v_and_b32_e32 v17, 16, v43
	v_sub_u32_e32 v81, 0, v57
	v_cmp_eq_u16_e64 s[62:63], 0, v37
	v_cndmask_b32_e64 v6, v46, v6, s[26:27]
	v_cndmask_b32_e64 v31, v49, v31, s[34:35]
	;; [unrolled: 1-line block ×3, first 2 shown]
	v_sub_u32_e32 v27, 0, v59
	v_cmp_eq_u16_e64 s[12:13], 0, v36
	v_sub_u32_e32 v36, 0, v4
	v_cmp_eq_u16_e64 s[14:15], 0, v40
	v_cmp_eq_u16_e64 s[18:19], 0, v42
	v_sub_u32_e32 v42, 0, v29
	v_cmp_eq_u16_e64 s[20:21], 0, v44
	v_sub_u32_e32 v44, 0, v62
	;; [unrolled: 2-line block ×3, first 2 shown]
	v_sub_u32_e32 v53, 0, v32
	v_cmp_eq_u16_e64 s[42:43], 0, v54
	v_sub_u32_e32 v54, 0, v68
	v_cmp_eq_u16_e64 s[44:45], 0, v55
	v_cmp_eq_u16_e64 s[54:55], 0, v17
	v_sub_u32_e32 v17, 0, v3
	v_cmp_gt_i16_e64 s[56:57], 0, v43
	v_cndmask_b32_e64 v37, v81, v57, s[62:63]
	v_cndmask_b32_e64 v39, v39, v58, s[10:11]
	;; [unrolled: 1-line block ×5, first 2 shown]
	v_add_u32_e32 v31, v46, v31
	v_and_b32_e32 v56, 1, v43
	v_and_b32_e32 v35, 2, v43
	v_sub_u32_e32 v16, 0, v69
	v_cmp_gt_i16_e64 s[6:7], 0, v38
	v_sub_u32_e32 v38, 0, v1
	v_sub_u32_e32 v40, 0, v28
	v_cmp_eq_u16_e64 s[16:17], 0, v41
	v_sub_u32_e32 v41, 0, v60
	v_and_b32_e32 v43, 32, v43
	v_cndmask_b32_e64 v27, v27, v59, s[12:13]
	v_cndmask_b32_e64 v4, v36, v4, s[14:15]
	;; [unrolled: 1-line block ×8, first 2 shown]
	v_add_u32_e32 v17, v39, v37
	v_add3_u32 v0, v31, v47, v0
	v_sub_u32_e32 v74, 0, v61
	v_sub_u32_e32 v55, 0, v33
	v_cmp_eq_u16_e64 s[46:47], 0, v56
	v_sub_u32_e32 v56, 0, v70
	v_cmp_eq_u16_e64 s[48:49], 0, v35
	v_cmp_eq_u16_e64 s[58:59], 0, v43
	v_sub_u32_e32 v43, 0, v5
	v_cndmask_b32_e64 v28, v40, v28, s[16:17]
	v_cndmask_b32_e64 v40, v41, v60, s[18:19]
	;; [unrolled: 1-line block ×4, first 2 shown]
	v_add3_u32 v4, v17, v27, v4
	v_add3_u32 v0, v0, v32, v48
	v_sub_u32_e32 v35, 0, v71
	v_sub_u32_e32 v78, 0, v2
	v_cndmask_b32_e64 v41, v61, v74, s[4:5]
	v_cndmask_b32_e64 v5, v5, v43, s[60:61]
	;; [unrolled: 1-line block ×4, first 2 shown]
	v_add3_u32 v4, v4, v28, v40
	v_add3_u32 v0, v0, v16, v1
	v_sub_u32_e32 v45, 0, v63
	v_sub_u32_e32 v79, 0, v34
	;; [unrolled: 1-line block ×3, first 2 shown]
	v_cndmask_b32_e64 v35, v35, v71, s[50:51]
	v_cndmask_b32_e64 v2, v78, v2, s[52:53]
	v_add3_u32 v4, v4, v41, v5
	v_add3_u32 v0, v0, v33, v38
	v_sub_u32_e32 v76, 0, v73
	v_cndmask_b32_e64 v43, v45, v63, s[24:25]
	v_cndmask_b32_e64 v34, v79, v34, s[54:55]
	;; [unrolled: 1-line block ×3, first 2 shown]
	v_add3_u32 v1, v4, v29, v42
	v_add3_u32 v0, v0, v35, v2
	v_sub_u32_e32 v75, 0, v65
	v_sub_u32_e32 v77, 0, v7
	v_cndmask_b32_e32 v50, v73, v76, vcc
	v_add3_u32 v1, v1, v43, v6
	v_add3_u32 v0, v0, v34, v49
	v_cndmask_b32_e64 v45, v65, v75, s[2:3]
	v_cndmask_b32_e64 v7, v7, v77, s[6:7]
	v_add3_u32 v1, v1, v30, v44
	v_add3_u32 v0, v0, v50, v3
	;; [unrolled: 1-line block ×3, first 2 shown]
	v_cvt_f32_i32_e32 v0, v0
	v_lshrrev_b16_e32 v36, 4, v25
	v_cvt_f32_i32_e32 v1, v1
	v_and_b32_e32 v25, 15, v25
	v_cvt_f32_ubyte0_e32 v36, v36
	v_cvt_f32_ubyte0_e32 v25, v25
	v_add_f32_e32 v36, 0.5, v36
	v_add_f32_e32 v25, 0.5, v25
	v_mul_f32_e32 v2, v26, v24
	v_mul_f32_e32 v0, v36, v0
	v_cmp_le_u32_e64 s[10:11], s33, v20
	v_mul_f32_e32 v2, 0x3e800000, v2
	v_fmac_f32_e32 v0, v25, v1
	s_or_b64 s[64:65], s[10:11], s[64:65]
	v_fmac_f32_e32 v21, v2, v0
	s_andn2_b64 exec, exec, s[64:65]
	s_cbranch_execnz .LBB248_3
; %bb.4:
	s_or_b64 exec, exec, s[64:65]
.LBB248_5:
	s_or_b64 exec, exec, s[72:73]
	v_mbcnt_lo_u32_b32 v0, -1, 0
	v_mbcnt_hi_u32_b32 v1, -1, v0
	v_and_b32_e32 v0, 64, v1
	v_add_u32_e32 v2, 64, v0
	v_xor_b32_e32 v0, 32, v1
	v_cmp_lt_i32_e32 vcc, v0, v2
	v_xor_b32_e32 v3, 16, v1
	v_xor_b32_e32 v4, 8, v1
	v_cndmask_b32_e32 v0, v1, v0, vcc
	v_lshlrev_b32_e32 v0, 2, v0
	ds_bpermute_b32 v0, v0, v21
	v_cmp_lt_i32_e32 vcc, v3, v2
	s_waitcnt lgkmcnt(0)
	v_add_f32_e32 v0, v21, v0
	v_cndmask_b32_e32 v3, v1, v3, vcc
	v_lshlrev_b32_e32 v3, 2, v3
	ds_bpermute_b32 v3, v3, v0
	v_cmp_lt_i32_e32 vcc, v4, v2
	s_waitcnt lgkmcnt(0)
	v_add_f32_e32 v0, v0, v3
	v_cndmask_b32_e32 v3, v1, v4, vcc
	v_lshlrev_b32_e32 v3, 2, v3
	ds_bpermute_b32 v3, v3, v0
	v_xor_b32_e32 v4, 4, v1
	v_cmp_lt_i32_e32 vcc, v4, v2
	s_waitcnt lgkmcnt(0)
	v_add_f32_e32 v0, v0, v3
	v_cndmask_b32_e32 v3, v1, v4, vcc
	v_lshlrev_b32_e32 v3, 2, v3
	ds_bpermute_b32 v3, v3, v0
	v_xor_b32_e32 v4, 2, v1
	;; [unrolled: 7-line block ×3, first 2 shown]
	v_cmp_lt_i32_e32 vcc, v4, v2
	s_waitcnt lgkmcnt(0)
	v_add_f32_e32 v0, v0, v3
	v_cndmask_b32_e32 v1, v1, v4, vcc
	v_lshlrev_b32_e32 v1, 2, v1
	ds_bpermute_b32 v1, v1, v0
	v_cmp_eq_u32_e32 vcc, 0, v19
	s_and_b64 exec, exec, vcc
	s_cbranch_execz .LBB248_7
; %bb.6:
	s_mul_i32 s0, s68, s66
	s_waitcnt lgkmcnt(0)
	v_add_f32_e32 v2, v0, v1
	v_add_u32_e32 v0, s0, v18
	v_mov_b32_e32 v1, 0
	v_lshl_add_u64 v[0:1], v[0:1], 2, s[70:71]
	global_store_dword v[0:1], v2, off
.LBB248_7:
	s_endpgm
	.section	.rodata,"a",@progbits
	.p2align	6, 0x0
	.amdhsa_kernel _ZL9moe_vec_qIfLi256ELi8E12block_iq2_xsLi1EXadL_ZL19vec_dot_iq2_xs_q8_1PKvPK10block_q8_1RKiEEEvS2_S2_PT_PS6_iiii
		.amdhsa_group_segment_fixed_size 0
		.amdhsa_private_segment_fixed_size 0
		.amdhsa_kernarg_size 304
		.amdhsa_user_sgpr_count 2
		.amdhsa_user_sgpr_dispatch_ptr 0
		.amdhsa_user_sgpr_queue_ptr 0
		.amdhsa_user_sgpr_kernarg_segment_ptr 1
		.amdhsa_user_sgpr_dispatch_id 0
		.amdhsa_user_sgpr_kernarg_preload_length 0
		.amdhsa_user_sgpr_kernarg_preload_offset 0
		.amdhsa_user_sgpr_private_segment_size 0
		.amdhsa_uses_dynamic_stack 0
		.amdhsa_enable_private_segment 0
		.amdhsa_system_sgpr_workgroup_id_x 1
		.amdhsa_system_sgpr_workgroup_id_y 0
		.amdhsa_system_sgpr_workgroup_id_z 1
		.amdhsa_system_sgpr_workgroup_info 0
		.amdhsa_system_vgpr_workitem_id 1
		.amdhsa_next_free_vgpr 82
		.amdhsa_next_free_sgpr 75
		.amdhsa_accum_offset 84
		.amdhsa_reserve_vcc 1
		.amdhsa_float_round_mode_32 0
		.amdhsa_float_round_mode_16_64 0
		.amdhsa_float_denorm_mode_32 3
		.amdhsa_float_denorm_mode_16_64 3
		.amdhsa_dx10_clamp 1
		.amdhsa_ieee_mode 1
		.amdhsa_fp16_overflow 0
		.amdhsa_tg_split 0
		.amdhsa_exception_fp_ieee_invalid_op 0
		.amdhsa_exception_fp_denorm_src 0
		.amdhsa_exception_fp_ieee_div_zero 0
		.amdhsa_exception_fp_ieee_overflow 0
		.amdhsa_exception_fp_ieee_underflow 0
		.amdhsa_exception_fp_ieee_inexact 0
		.amdhsa_exception_int_div_zero 0
	.end_amdhsa_kernel
	.section	.text._ZL9moe_vec_qIfLi256ELi8E12block_iq2_xsLi1EXadL_ZL19vec_dot_iq2_xs_q8_1PKvPK10block_q8_1RKiEEEvS2_S2_PT_PS6_iiii,"axG",@progbits,_ZL9moe_vec_qIfLi256ELi8E12block_iq2_xsLi1EXadL_ZL19vec_dot_iq2_xs_q8_1PKvPK10block_q8_1RKiEEEvS2_S2_PT_PS6_iiii,comdat
.Lfunc_end248:
	.size	_ZL9moe_vec_qIfLi256ELi8E12block_iq2_xsLi1EXadL_ZL19vec_dot_iq2_xs_q8_1PKvPK10block_q8_1RKiEEEvS2_S2_PT_PS6_iiii, .Lfunc_end248-_ZL9moe_vec_qIfLi256ELi8E12block_iq2_xsLi1EXadL_ZL19vec_dot_iq2_xs_q8_1PKvPK10block_q8_1RKiEEEvS2_S2_PT_PS6_iiii
                                        ; -- End function
	.section	.AMDGPU.csdata,"",@progbits
; Kernel info:
; codeLenInByte = 2112
; NumSgprs: 81
; NumVgprs: 82
; NumAgprs: 0
; TotalNumVgprs: 82
; ScratchSize: 0
; MemoryBound: 0
; FloatMode: 240
; IeeeMode: 1
; LDSByteSize: 0 bytes/workgroup (compile time only)
; SGPRBlocks: 10
; VGPRBlocks: 10
; NumSGPRsForWavesPerEU: 81
; NumVGPRsForWavesPerEU: 82
; AccumOffset: 84
; Occupancy: 5
; WaveLimiterHint : 1
; COMPUTE_PGM_RSRC2:SCRATCH_EN: 0
; COMPUTE_PGM_RSRC2:USER_SGPR: 2
; COMPUTE_PGM_RSRC2:TRAP_HANDLER: 0
; COMPUTE_PGM_RSRC2:TGID_X_EN: 1
; COMPUTE_PGM_RSRC2:TGID_Y_EN: 0
; COMPUTE_PGM_RSRC2:TGID_Z_EN: 1
; COMPUTE_PGM_RSRC2:TIDIG_COMP_CNT: 1
; COMPUTE_PGM_RSRC3_GFX90A:ACCUM_OFFSET: 20
; COMPUTE_PGM_RSRC3_GFX90A:TG_SPLIT: 0
	.section	.text._ZL9moe_vec_qIfLi256ELi8E13block_iq3_xxsLi1EXadL_ZL20vec_dot_iq3_xxs_q8_1PKvPK10block_q8_1RKiEEEvS2_S2_PT_PS6_iiii,"axG",@progbits,_ZL9moe_vec_qIfLi256ELi8E13block_iq3_xxsLi1EXadL_ZL20vec_dot_iq3_xxs_q8_1PKvPK10block_q8_1RKiEEEvS2_S2_PT_PS6_iiii,comdat
	.globl	_ZL9moe_vec_qIfLi256ELi8E13block_iq3_xxsLi1EXadL_ZL20vec_dot_iq3_xxs_q8_1PKvPK10block_q8_1RKiEEEvS2_S2_PT_PS6_iiii ; -- Begin function _ZL9moe_vec_qIfLi256ELi8E13block_iq3_xxsLi1EXadL_ZL20vec_dot_iq3_xxs_q8_1PKvPK10block_q8_1RKiEEEvS2_S2_PT_PS6_iiii
	.p2align	8
	.type	_ZL9moe_vec_qIfLi256ELi8E13block_iq3_xxsLi1EXadL_ZL20vec_dot_iq3_xxs_q8_1PKvPK10block_q8_1RKiEEEvS2_S2_PT_PS6_iiii,@function
_ZL9moe_vec_qIfLi256ELi8E13block_iq3_xxsLi1EXadL_ZL20vec_dot_iq3_xxs_q8_1PKvPK10block_q8_1RKiEEEvS2_S2_PT_PS6_iiii: ; @_ZL9moe_vec_qIfLi256ELi8E13block_iq3_xxsLi1EXadL_ZL20vec_dot_iq3_xxs_q8_1PKvPK10block_q8_1RKiEEEvS2_S2_PT_PS6_iiii
; %bb.0:
	s_mov_b32 s8, s3
	s_load_dword s3, s[0:1], 0x3c
	s_load_dwordx4 s[4:7], s[0:1], 0x20
	v_bfe_u32 v1, v0, 10, 10
	s_waitcnt lgkmcnt(0)
	s_lshr_b32 s3, s3, 16
	s_mul_i32 s2, s2, s3
	v_add_u32_e32 v18, s2, v1
	v_cmp_gt_u32_e32 vcc, s6, v18
	s_and_saveexec_b64 s[2:3], vcc
	s_cbranch_execz .LBB249_7
; %bb.1:
	s_load_dwordx2 s[2:3], s[0:1], 0x10
	s_ashr_i32 s9, s5, 31
	s_lshr_b32 s9, s9, 24
	s_add_i32 s5, s5, s9
	v_and_b32_e32 v19, 0x3ff, v0
	s_ashr_i32 s14, s5, 8
	v_lshrrev_b32_e32 v20, 3, v19
	v_cmp_gt_u32_e32 vcc, s14, v20
	v_mov_b32_e32 v21, 0
	s_and_saveexec_b64 s[10:11], vcc
	s_cbranch_execz .LBB249_5
; %bb.2:
	s_load_dwordx2 s[12:13], s[0:1], 0x18
	v_cvt_f32_u32_e32 v0, s4
	s_mov_b32 s9, 0
	s_lshl_b64 s[16:17], s[8:9], 2
	v_and_b32_e32 v1, 7, v19
	s_waitcnt lgkmcnt(0)
	s_add_u32 s12, s12, s16
	v_rcp_iflag_f32_e32 v0, v0
	s_addc_u32 s13, s13, s17
	s_load_dword s5, s[12:13], 0x0
	s_load_dwordx4 s[16:19], s[0:1], 0x0
	s_mul_i32 s0, s14, s6
	v_mul_f32_e32 v0, 0x4f7ffffe, v0
	v_cvt_u32_f32_e32 v0, v0
	s_waitcnt lgkmcnt(0)
	s_mul_i32 s0, s0, s5
	s_mul_hi_i32 s1, s0, 0x62
	s_mulk_i32 s0, 0x62
	s_add_u32 s12, s16, s0
	s_addc_u32 s13, s17, s1
	s_sub_i32 s0, 0, s4
	v_readfirstlane_b32 s1, v0
	s_mul_i32 s0, s0, s1
	s_mul_hi_u32 s0, s1, s0
	s_add_i32 s1, s1, s0
	s_mul_hi_u32 s0, s8, s1
	s_mul_i32 s1, s0, s4
	s_sub_i32 s1, s8, s1
	s_add_i32 s5, s0, 1
	s_sub_i32 s16, s1, s4
	s_cmp_ge_u32 s1, s4
	s_cselect_b32 s0, s5, s0
	s_cselect_b32 s1, s16, s1
	s_add_i32 s5, s0, 1
	s_cmp_ge_u32 s1, s4
	s_cselect_b32 s0, s5, s0
	s_mul_i32 s0, s0, s7
	s_mov_b32 s1, s9
	s_lshl_b64 s[0:1], s[0:1], 2
	s_add_u32 s0, s18, s0
	s_addc_u32 s1, s19, s1
	v_mov_b32_e32 v9, 0
	v_lshlrev_b32_e32 v0, 1, v1
	v_mad_u64_u32 v[10:11], s[0:1], v1, 36, s[0:1]
	s_movk_i32 s15, 0x62
	v_mul_lo_u32 v22, v18, s14
	v_lshlrev_b32_e32 v8, 3, v1
	v_lshlrev_b32_e32 v23, 3, v20
	s_mov_b64 s[0:1], 0
	v_mov_b64_e32 v[12:13], s[12:13]
	v_lshlrev_b32_e32 v14, 1, v0
	v_mov_b32_e32 v15, v9
	s_mov_b32 s7, 0xffff
	s_mov_b32 s9, 0xc060c00
	v_mov_b32_e32 v24, 2
	v_mov_b32_e32 v21, v9
	s_getpc_b64 s[12:13]
	s_add_u32 s12, s12, _ZL11iq3xxs_grid@rel32@lo+4
	s_addc_u32 s13, s13, _ZL11iq3xxs_grid@rel32@hi+12
.LBB249_3:                              ; =>This Inner Loop Header: Depth=1
	v_add_u32_e32 v0, v22, v20
	v_mad_i64_i32 v[26:27], s[16:17], v0, s15, v[12:13]
	v_mad_i64_i32 v[16:17], s[4:5], v23, 36, v[10:11]
	v_lshl_add_u64 v[28:29], v[26:27], 0, v[14:15]
	global_load_dword v32, v[16:17], off offset:32
	global_load_dwordx4 v[4:7], v[16:17], off
	global_load_dwordx4 v[0:3], v[16:17], off offset:16
	v_lshl_add_u64 v[16:17], v[26:27], 0, v[8:9]
	global_load_dword v33, v[28:29], off offset:66
	global_load_dwordx2 v[30:31], v[16:17], off offset:2
	global_load_ushort v34, v[26:27], off
	s_getpc_b64 s[4:5]
	s_add_u32 s4, s4, _ZL8ksigns64@rel32@lo+4
	s_addc_u32 s5, s5, _ZL8ksigns64@rel32@hi+12
	v_mov_b32_e32 v25, 0
	v_add_u32_e32 v20, 8, v20
	v_cmp_le_u32_e32 vcc, s14, v20
	v_add_u32_e32 v23, 64, v23
	s_or_b64 s[0:1], vcc, s[0:1]
	s_waitcnt vmcnt(4)
	v_cvt_f32_f16_e32 v4, v4
	s_waitcnt vmcnt(2)
	v_and_b32_e32 v27, 0x7f, v33
	v_and_b32_e32 v16, 0xffff0000, v33
	s_waitcnt vmcnt(1)
	v_lshlrev_b32_sdwa v17, v24, v30 dst_sel:DWORD dst_unused:UNUSED_PAD src0_sel:DWORD src1_sel:BYTE_0
	v_lshlrev_b32_sdwa v26, v24, v30 dst_sel:DWORD dst_unused:UNUSED_PAD src0_sel:DWORD src1_sel:BYTE_1
	v_lshlrev_b32_sdwa v28, v24, v30 dst_sel:DWORD dst_unused:UNUSED_PAD src0_sel:DWORD src1_sel:BYTE_2
	v_lshlrev_b32_sdwa v29, v24, v30 dst_sel:DWORD dst_unused:UNUSED_PAD src0_sel:DWORD src1_sel:BYTE_3
	v_lshrrev_b32_e32 v30, 4, v33
	v_lshlrev_b32_sdwa v35, v24, v31 dst_sel:DWORD dst_unused:UNUSED_PAD src0_sel:DWORD src1_sel:BYTE_0
	v_lshlrev_b32_sdwa v36, v24, v31 dst_sel:DWORD dst_unused:UNUSED_PAD src0_sel:DWORD src1_sel:BYTE_1
	v_lshlrev_b32_sdwa v37, v24, v31 dst_sel:DWORD dst_unused:UNUSED_PAD src0_sel:DWORD src1_sel:BYTE_2
	v_lshrrev_b32_e32 v38, 18, v33
	v_lshlrev_b32_e32 v40, 3, v27
	v_lshlrev_b32_sdwa v31, v24, v31 dst_sel:DWORD dst_unused:UNUSED_PAD src0_sel:DWORD src1_sel:BYTE_3
	v_lshrrev_b32_e32 v39, 28, v33
	v_and_or_b32 v33, v33, s7, v16
	global_load_dword v41, v17, s[12:13]
	global_load_dword v42, v26, s[12:13]
	v_and_b32_e32 v30, 0x3f8, v30
	global_load_dword v43, v28, s[12:13]
	global_load_dword v44, v29, s[12:13]
	;; [unrolled: 1-line block ×4, first 2 shown]
	v_and_b32_e32 v35, 0x3f8, v38
	global_load_dword v36, v37, s[12:13]
	global_load_dword v38, v31, s[12:13]
	global_load_dwordx2 v[16:17], v40, s[4:5]
	global_load_dwordx2 v[26:27], v30, s[4:5]
	;; [unrolled: 1-line block ×3, first 2 shown]
	v_lshrrev_b32_e32 v30, 11, v33
	v_cvt_f32_ubyte0_e32 v31, v39
	v_and_b32_e32 v30, 0x3f8, v30
	v_add_f32_e32 v33, 0.5, v31
	global_load_dwordx2 v[30:31], v30, s[4:5]
	s_waitcnt vmcnt(12)
	v_cvt_f32_f16_e32 v34, v34
	s_waitcnt vmcnt(3)
	v_and_b32_e32 v37, 0xff000000, v16
	v_xor_b32_e32 v35, v16, v41
	v_and_b32_e32 v39, 0xff0000, v16
	v_and_b32_e32 v40, 0xff00, v16
	v_xor_b32_e32 v41, v17, v42
	v_and_b32_e32 v42, 0xff000000, v17
	v_and_b32_e32 v47, 0xff0000, v17
	;; [unrolled: 1-line block ×3, first 2 shown]
	s_waitcnt vmcnt(2)
	v_xor_b32_e32 v43, v26, v43
	v_and_b32_e32 v49, 0xff000000, v26
	v_and_b32_e32 v50, 0xff0000, v26
	;; [unrolled: 1-line block ×3, first 2 shown]
	v_xor_b32_e32 v44, v27, v44
	v_and_b32_e32 v52, 0xff000000, v27
	v_and_b32_e32 v53, 0xff0000, v27
	;; [unrolled: 1-line block ×3, first 2 shown]
	s_waitcnt vmcnt(1)
	v_xor_b32_e32 v36, v28, v36
	v_and_b32_e32 v55, 0xff000000, v28
	v_and_b32_e32 v56, 0xff0000, v28
	;; [unrolled: 1-line block ×3, first 2 shown]
	v_xor_b32_e32 v38, v29, v38
	v_and_b32_e32 v58, 0xff000000, v29
	v_and_b32_e32 v59, 0xff0000, v29
	;; [unrolled: 1-line block ×3, first 2 shown]
	v_sub_u32_e32 v37, v35, v37
	v_sub_u32_e32 v39, v35, v39
	v_sub_u32_e32 v40, v35, v40
	v_sub_u32_e32 v16, v35, v16
	v_sub_u32_e32 v35, v41, v42
	v_sub_u32_e32 v42, v41, v47
	v_sub_u32_e32 v47, v41, v48
	v_sub_u32_e32 v17, v41, v17
	v_sub_u32_e32 v41, v43, v49
	v_sub_u32_e32 v48, v43, v50
	v_sub_u32_e32 v49, v43, v51
	v_sub_u32_e32 v26, v43, v26
	v_sub_u32_e32 v43, v44, v52
	v_sub_u32_e32 v50, v44, v53
	v_sub_u32_e32 v51, v44, v54
	v_sub_u32_e32 v27, v44, v27
	v_sub_u32_e32 v44, v36, v55
	v_sub_u32_e32 v52, v36, v56
	v_sub_u32_e32 v53, v36, v57
	v_sub_u32_e32 v28, v36, v28
	v_sub_u32_e32 v36, v38, v58
	v_sub_u32_e32 v54, v38, v59
	v_sub_u32_e32 v55, v38, v60
	v_sub_u32_e32 v29, v38, v29
	v_and_b32_e32 v37, 0xff000000, v37
	v_and_b32_e32 v38, 0xff00, v40
	v_perm_b32 v16, v39, v16, s9
	v_and_b32_e32 v35, 0xff000000, v35
	v_and_b32_e32 v39, 0xff00, v47
	v_perm_b32 v17, v42, v17, s9
	v_or3_b32 v16, v16, v37, v38
	v_and_b32_e32 v40, 0xff000000, v41
	v_and_b32_e32 v41, 0xff00, v49
	v_perm_b32 v26, v48, v26, s9
	s_waitcnt vmcnt(0)
	v_xor_b32_e32 v45, v30, v45
	v_and_b32_e32 v47, 0xff000000, v30
	v_and_b32_e32 v48, 0xff0000, v30
	;; [unrolled: 1-line block ×3, first 2 shown]
	v_or3_b32 v17, v17, v35, v39
	v_dot4c_i32_i8_e32 v25, v16, v5
	v_and_b32_e32 v42, 0xff000000, v43
	v_and_b32_e32 v43, 0xff00, v51
	v_perm_b32 v27, v50, v27, s9
	v_xor_b32_e32 v46, v31, v46
	v_and_b32_e32 v50, 0xff000000, v31
	v_and_b32_e32 v51, 0xff0000, v31
	v_and_b32_e32 v56, 0xff00, v31
	v_or3_b32 v26, v26, v40, v41
	v_sub_u32_e32 v35, v45, v47
	v_sub_u32_e32 v37, v45, v48
	;; [unrolled: 1-line block ×4, first 2 shown]
	v_dot4c_i32_i8_e32 v25, v17, v6
	v_perm_b32 v28, v52, v28, s9
	v_and_b32_e32 v36, 0xff000000, v36
	v_and_b32_e32 v52, 0xff00, v55
	v_perm_b32 v29, v54, v29, s9
	v_or3_b32 v27, v27, v42, v43
	v_sub_u32_e32 v39, v46, v50
	v_sub_u32_e32 v40, v46, v51
	;; [unrolled: 1-line block ×4, first 2 shown]
	v_and_b32_e32 v5, 0xff000000, v35
	v_and_b32_e32 v16, 0xff00, v38
	v_perm_b32 v30, v37, v30, s9
	v_dot4c_i32_i8_e32 v25, v26, v7
	v_or3_b32 v29, v29, v36, v52
	v_and_b32_e32 v35, 0xff000000, v39
	v_and_b32_e32 v36, 0xff00, v41
	v_perm_b32 v31, v40, v31, s9
	v_or3_b32 v5, v30, v5, v16
	v_dot4c_i32_i8_e32 v25, v27, v0
	v_and_b32_e32 v44, 0xff000000, v44
	v_and_b32_e32 v53, 0xff00, v53
	v_or3_b32 v6, v31, v35, v36
	v_dot4c_i32_i8_e32 v25, v5, v1
	v_or3_b32 v28, v28, v44, v53
	v_dot4c_i32_i8_e32 v25, v6, v2
	v_dot4c_i32_i8_e32 v25, v28, v3
	;; [unrolled: 1-line block ×3, first 2 shown]
	v_mul_f32_e32 v1, v33, v34
	v_mul_f32_e32 v1, v1, v4
	v_mul_f32_e32 v1, 0.5, v1
	v_cvt_f32_i32_e32 v0, v25
	v_fmac_f32_e32 v21, v1, v0
	s_andn2_b64 exec, exec, s[0:1]
	s_cbranch_execnz .LBB249_3
; %bb.4:
	s_or_b64 exec, exec, s[0:1]
.LBB249_5:
	s_or_b64 exec, exec, s[10:11]
	v_mbcnt_lo_u32_b32 v0, -1, 0
	v_mbcnt_hi_u32_b32 v1, -1, v0
	v_and_b32_e32 v0, 64, v1
	v_add_u32_e32 v2, 64, v0
	v_xor_b32_e32 v0, 32, v1
	v_cmp_lt_i32_e32 vcc, v0, v2
	v_xor_b32_e32 v3, 16, v1
	v_xor_b32_e32 v4, 8, v1
	v_cndmask_b32_e32 v0, v1, v0, vcc
	v_lshlrev_b32_e32 v0, 2, v0
	ds_bpermute_b32 v0, v0, v21
	v_cmp_lt_i32_e32 vcc, v3, v2
	s_waitcnt lgkmcnt(0)
	v_add_f32_e32 v0, v21, v0
	v_cndmask_b32_e32 v3, v1, v3, vcc
	v_lshlrev_b32_e32 v3, 2, v3
	ds_bpermute_b32 v3, v3, v0
	v_cmp_lt_i32_e32 vcc, v4, v2
	s_waitcnt lgkmcnt(0)
	v_add_f32_e32 v0, v0, v3
	v_cndmask_b32_e32 v3, v1, v4, vcc
	v_lshlrev_b32_e32 v3, 2, v3
	ds_bpermute_b32 v3, v3, v0
	v_xor_b32_e32 v4, 4, v1
	v_cmp_lt_i32_e32 vcc, v4, v2
	s_waitcnt lgkmcnt(0)
	v_add_f32_e32 v0, v0, v3
	v_cndmask_b32_e32 v3, v1, v4, vcc
	v_lshlrev_b32_e32 v3, 2, v3
	ds_bpermute_b32 v3, v3, v0
	v_xor_b32_e32 v4, 2, v1
	;; [unrolled: 7-line block ×3, first 2 shown]
	v_cmp_lt_i32_e32 vcc, v4, v2
	s_waitcnt lgkmcnt(0)
	v_add_f32_e32 v0, v0, v3
	v_cndmask_b32_e32 v1, v1, v4, vcc
	v_lshlrev_b32_e32 v1, 2, v1
	ds_bpermute_b32 v1, v1, v0
	v_cmp_eq_u32_e32 vcc, 0, v19
	s_and_b64 exec, exec, vcc
	s_cbranch_execz .LBB249_7
; %bb.6:
	s_mul_i32 s0, s8, s6
	s_waitcnt lgkmcnt(0)
	v_add_f32_e32 v2, v0, v1
	v_add_u32_e32 v0, s0, v18
	v_mov_b32_e32 v1, 0
	v_lshl_add_u64 v[0:1], v[0:1], 2, s[2:3]
	global_store_dword v[0:1], v2, off
.LBB249_7:
	s_endpgm
	.section	.rodata,"a",@progbits
	.p2align	6, 0x0
	.amdhsa_kernel _ZL9moe_vec_qIfLi256ELi8E13block_iq3_xxsLi1EXadL_ZL20vec_dot_iq3_xxs_q8_1PKvPK10block_q8_1RKiEEEvS2_S2_PT_PS6_iiii
		.amdhsa_group_segment_fixed_size 0
		.amdhsa_private_segment_fixed_size 0
		.amdhsa_kernarg_size 304
		.amdhsa_user_sgpr_count 2
		.amdhsa_user_sgpr_dispatch_ptr 0
		.amdhsa_user_sgpr_queue_ptr 0
		.amdhsa_user_sgpr_kernarg_segment_ptr 1
		.amdhsa_user_sgpr_dispatch_id 0
		.amdhsa_user_sgpr_kernarg_preload_length 0
		.amdhsa_user_sgpr_kernarg_preload_offset 0
		.amdhsa_user_sgpr_private_segment_size 0
		.amdhsa_uses_dynamic_stack 0
		.amdhsa_enable_private_segment 0
		.amdhsa_system_sgpr_workgroup_id_x 1
		.amdhsa_system_sgpr_workgroup_id_y 0
		.amdhsa_system_sgpr_workgroup_id_z 1
		.amdhsa_system_sgpr_workgroup_info 0
		.amdhsa_system_vgpr_workitem_id 1
		.amdhsa_next_free_vgpr 61
		.amdhsa_next_free_sgpr 20
		.amdhsa_accum_offset 64
		.amdhsa_reserve_vcc 1
		.amdhsa_float_round_mode_32 0
		.amdhsa_float_round_mode_16_64 0
		.amdhsa_float_denorm_mode_32 3
		.amdhsa_float_denorm_mode_16_64 3
		.amdhsa_dx10_clamp 1
		.amdhsa_ieee_mode 1
		.amdhsa_fp16_overflow 0
		.amdhsa_tg_split 0
		.amdhsa_exception_fp_ieee_invalid_op 0
		.amdhsa_exception_fp_denorm_src 0
		.amdhsa_exception_fp_ieee_div_zero 0
		.amdhsa_exception_fp_ieee_overflow 0
		.amdhsa_exception_fp_ieee_underflow 0
		.amdhsa_exception_fp_ieee_inexact 0
		.amdhsa_exception_int_div_zero 0
	.end_amdhsa_kernel
	.section	.text._ZL9moe_vec_qIfLi256ELi8E13block_iq3_xxsLi1EXadL_ZL20vec_dot_iq3_xxs_q8_1PKvPK10block_q8_1RKiEEEvS2_S2_PT_PS6_iiii,"axG",@progbits,_ZL9moe_vec_qIfLi256ELi8E13block_iq3_xxsLi1EXadL_ZL20vec_dot_iq3_xxs_q8_1PKvPK10block_q8_1RKiEEEvS2_S2_PT_PS6_iiii,comdat
.Lfunc_end249:
	.size	_ZL9moe_vec_qIfLi256ELi8E13block_iq3_xxsLi1EXadL_ZL20vec_dot_iq3_xxs_q8_1PKvPK10block_q8_1RKiEEEvS2_S2_PT_PS6_iiii, .Lfunc_end249-_ZL9moe_vec_qIfLi256ELi8E13block_iq3_xxsLi1EXadL_ZL20vec_dot_iq3_xxs_q8_1PKvPK10block_q8_1RKiEEEvS2_S2_PT_PS6_iiii
                                        ; -- End function
	.section	.AMDGPU.csdata,"",@progbits
; Kernel info:
; codeLenInByte = 1724
; NumSgprs: 26
; NumVgprs: 61
; NumAgprs: 0
; TotalNumVgprs: 61
; ScratchSize: 0
; MemoryBound: 0
; FloatMode: 240
; IeeeMode: 1
; LDSByteSize: 0 bytes/workgroup (compile time only)
; SGPRBlocks: 3
; VGPRBlocks: 7
; NumSGPRsForWavesPerEU: 26
; NumVGPRsForWavesPerEU: 61
; AccumOffset: 64
; Occupancy: 8
; WaveLimiterHint : 1
; COMPUTE_PGM_RSRC2:SCRATCH_EN: 0
; COMPUTE_PGM_RSRC2:USER_SGPR: 2
; COMPUTE_PGM_RSRC2:TRAP_HANDLER: 0
; COMPUTE_PGM_RSRC2:TGID_X_EN: 1
; COMPUTE_PGM_RSRC2:TGID_Y_EN: 0
; COMPUTE_PGM_RSRC2:TGID_Z_EN: 1
; COMPUTE_PGM_RSRC2:TIDIG_COMP_CNT: 1
; COMPUTE_PGM_RSRC3_GFX90A:ACCUM_OFFSET: 15
; COMPUTE_PGM_RSRC3_GFX90A:TG_SPLIT: 0
	.section	.text._ZL9moe_vec_qIfLi256ELi8E11block_iq1_sLi1EXadL_ZL18vec_dot_iq1_s_q8_1PKvPK10block_q8_1RKiEEEvS2_S2_PT_PS6_iiii,"axG",@progbits,_ZL9moe_vec_qIfLi256ELi8E11block_iq1_sLi1EXadL_ZL18vec_dot_iq1_s_q8_1PKvPK10block_q8_1RKiEEEvS2_S2_PT_PS6_iiii,comdat
	.globl	_ZL9moe_vec_qIfLi256ELi8E11block_iq1_sLi1EXadL_ZL18vec_dot_iq1_s_q8_1PKvPK10block_q8_1RKiEEEvS2_S2_PT_PS6_iiii ; -- Begin function _ZL9moe_vec_qIfLi256ELi8E11block_iq1_sLi1EXadL_ZL18vec_dot_iq1_s_q8_1PKvPK10block_q8_1RKiEEEvS2_S2_PT_PS6_iiii
	.p2align	8
	.type	_ZL9moe_vec_qIfLi256ELi8E11block_iq1_sLi1EXadL_ZL18vec_dot_iq1_s_q8_1PKvPK10block_q8_1RKiEEEvS2_S2_PT_PS6_iiii,@function
_ZL9moe_vec_qIfLi256ELi8E11block_iq1_sLi1EXadL_ZL18vec_dot_iq1_s_q8_1PKvPK10block_q8_1RKiEEEvS2_S2_PT_PS6_iiii: ; @_ZL9moe_vec_qIfLi256ELi8E11block_iq1_sLi1EXadL_ZL18vec_dot_iq1_s_q8_1PKvPK10block_q8_1RKiEEEvS2_S2_PT_PS6_iiii
; %bb.0:
	s_mov_b32 s8, s3
	s_load_dword s3, s[0:1], 0x3c
	s_load_dwordx4 s[4:7], s[0:1], 0x20
	v_bfe_u32 v1, v0, 10, 10
	s_waitcnt lgkmcnt(0)
	s_lshr_b32 s3, s3, 16
	s_mul_i32 s2, s2, s3
	v_add_u32_e32 v1, s2, v1
	v_cmp_gt_u32_e32 vcc, s6, v1
	s_and_saveexec_b64 s[2:3], vcc
	s_cbranch_execz .LBB250_7
; %bb.1:
	v_cvt_f32_u32_e32 v2, s4
	v_and_b32_e32 v6, 0x3ff, v0
	s_load_dwordx2 s[2:3], s[0:1], 0x10
	s_ashr_i32 s9, s5, 31
	v_rcp_iflag_f32_e32 v2, v2
	s_lshr_b32 s9, s9, 24
	s_add_i32 s5, s5, s9
	v_lshrrev_b32_e32 v7, 3, v6
	v_mul_f32_e32 v0, 0x4f7ffffe, v2
	v_cvt_u32_f32_e32 v0, v0
	s_ashr_i32 s14, s5, 8
	v_cmp_gt_u32_e32 vcc, s14, v7
	v_mov_b32_e32 v8, 0
	v_readfirstlane_b32 s5, v0
	s_and_saveexec_b64 s[10:11], vcc
	s_cbranch_execz .LBB250_5
; %bb.2:
	s_sub_i32 s12, 0, s4
	s_mul_i32 s15, s12, s5
	s_load_dwordx4 s[16:19], s[0:1], 0x0
	s_load_dwordx2 s[12:13], s[0:1], 0x18
	s_mov_b32 s9, 0
	s_mul_hi_u32 s0, s5, s15
	s_add_i32 s5, s5, s0
	s_lshl_b64 s[0:1], s[8:9], 2
	s_waitcnt lgkmcnt(0)
	s_add_u32 s0, s12, s0
	s_mul_hi_u32 s5, s8, s5
	s_addc_u32 s1, s13, s1
	s_load_dword s0, s[0:1], 0x0
	s_mul_i32 s1, s5, s4
	s_sub_i32 s1, s8, s1
	s_add_i32 s12, s5, 1
	s_sub_i32 s13, s1, s4
	s_cmp_ge_u32 s1, s4
	s_cselect_b32 s5, s12, s5
	s_cselect_b32 s1, s13, s1
	s_add_i32 s12, s5, 1
	s_cmp_ge_u32 s1, s4
	s_mul_i32 s1, s14, s6
	s_waitcnt lgkmcnt(0)
	s_mul_i32 s0, s1, s0
	s_cselect_b32 s4, s12, s5
	s_mul_hi_i32 s1, s0, 50
	s_mul_i32 s0, s0, 50
	s_add_u32 s0, s16, s0
	s_mul_i32 s4, s4, s7
	s_mov_b32 s5, s9
	s_addc_u32 s1, s17, s1
	s_lshl_b64 s[4:5], s[4:5], 2
	v_and_b32_e32 v0, 7, v6
	s_add_u32 s4, s18, s4
	v_lshlrev_b32_e32 v2, 1, v0
	v_mov_b32_e32 v3, 0
	s_addc_u32 s5, s19, s5
	v_mul_lo_u32 v9, v1, s14
	v_lshlrev_b32_e32 v10, 3, v7
	s_mov_b64 s[12:13], 0
	v_lshlrev_b32_e32 v2, 1, v2
	v_lshlrev_b32_e32 v4, 1, v0
	s_movk_i32 s7, 0x700
	v_mov_b32_e32 v11, 0xbf600000
	v_mov_b32_e32 v5, v3
	v_mov_b32_e32 v8, v3
.LBB250_3:                              ; =>This Inner Loop Header: Depth=1
	v_add_u32_e32 v12, v9, v7
	v_mad_i64_i32 v[20:21], s[16:17], v12, 50, s[0:1]
	v_lshl_add_u64 v[12:13], v[20:21], 0, v[2:3]
	v_lshl_add_u64 v[14:15], v[20:21], 0, v[4:5]
	global_load_dword v24, v[12:13], off offset:2
	global_load_ushort v25, v[14:15], off offset:34
	v_mad_i64_i32 v[12:13], s[16:17], v10, 36, s[4:5]
	v_mad_u64_u32 v[22:23], s[18:19], v0, 36, v[12:13]
	global_load_dwordx4 v[12:15], v[22:23], off
	global_load_dwordx4 v[16:19], v[22:23], off offset:16
	global_load_ushort v26, v[20:21], off
	s_getpc_b64 s[16:17]
	s_add_u32 s16, s16, _ZL13iq1s_grid_gpu@rel32@lo+4
	s_addc_u32 s17, s17, _ZL13iq1s_grid_gpu@rel32@hi+12
	v_add_u32_e32 v7, 8, v7
	v_cmp_le_u32_e32 vcc, s14, v7
	v_add_u32_e32 v10, 64, v10
	s_or_b64 s[12:13], vcc, s[12:13]
	s_waitcnt vmcnt(4)
	v_and_b32_e32 v27, 0xff, v24
	s_waitcnt vmcnt(3)
	v_lshlrev_b32_e32 v28, 8, v25
	v_lshrrev_b16_e32 v20, 8, v24
	v_lshrrev_b32_e32 v21, 24, v24
	v_lshlrev_b32_e32 v29, 5, v25
	v_bfe_u32 v24, v24, 16, 8
	v_lshlrev_b32_e32 v30, 2, v25
	v_lshrrev_b32_e32 v31, 1, v25
	v_and_or_b32 v27, v28, s7, v27
	v_and_or_b32 v20, v29, s7, v20
	;; [unrolled: 1-line block ×4, first 2 shown]
	v_lshlrev_b32_e32 v27, 3, v27
	v_lshlrev_b32_e32 v20, 3, v20
	;; [unrolled: 1-line block ×4, first 2 shown]
	global_load_dword v28, v27, s[16:17]
	global_load_dword v29, v20, s[16:17]
	global_load_dword v30, v24, s[16:17]
	global_load_dword v31, v21, s[16:17]
	global_load_dword v32, v[22:23], off offset:32
	s_waitcnt vmcnt(7)
	v_cvt_f32_f16_e32 v20, v12
	v_cvt_f32_f16_sdwa v21, v12 dst_sel:DWORD dst_unused:UNUSED_PAD src0_sel:WORD_1
	v_lshrrev_b32_e32 v12, 11, v25
	v_mov_b32_e32 v22, 0
	s_waitcnt vmcnt(5)
	v_cvt_f32_f16_e32 v23, v26
	v_and_b32_e32 v24, 0x8000, v25
	v_and_or_b32 v25, v12, 14, 1
	v_cvt_f32_u32_e32 v24, v24
	s_waitcnt vmcnt(4)
	v_and_b32_e32 v12, 0xf0f0f0f, v28
	v_lshrrev_b32_e32 v26, 4, v28
	v_and_b32_e32 v26, 0xf0f0f0f, v26
	v_dot4c_i32_i8_e32 v22, v12, v13
	s_waitcnt vmcnt(3)
	v_and_b32_e32 v27, 0xf0f0f0f, v29
	v_lshrrev_b32_e32 v28, 4, v29
	v_dot4c_i32_i8_e32 v22, v26, v14
	v_and_b32_e32 v12, 0xf0f0f0f, v28
	v_dot4c_i32_i8_e32 v22, v27, v15
	s_waitcnt vmcnt(2)
	v_and_b32_e32 v29, 0xf0f0f0f, v30
	v_lshrrev_b32_e32 v30, 4, v30
	v_dot4c_i32_i8_e32 v22, v12, v16
	;; [unrolled: 6-line block ×3, first 2 shown]
	v_and_b32_e32 v28, 0xf0f0f0f, v31
	v_dot4c_i32_i8_e32 v22, v33, v19
	s_waitcnt vmcnt(0)
	v_dot4c_i32_i8_e32 v22, v28, v32
	v_cvt_f32_ubyte0_e32 v13, v25
	v_mul_f32_e32 v14, v13, v23
	v_fmamk_f32 v13, v24, 0xb7000000, v11
	v_cvt_f32_i32_e32 v12, v22
	v_pk_mul_f32 v[12:13], v[12:13], v[20:21]
	s_nop 0
	v_add_f32_e32 v12, v12, v13
	v_fmac_f32_e32 v8, v14, v12
	s_andn2_b64 exec, exec, s[12:13]
	s_cbranch_execnz .LBB250_3
; %bb.4:
	s_or_b64 exec, exec, s[12:13]
.LBB250_5:
	s_or_b64 exec, exec, s[10:11]
	v_mbcnt_lo_u32_b32 v0, -1, 0
	v_mbcnt_hi_u32_b32 v2, -1, v0
	v_and_b32_e32 v0, 64, v2
	v_add_u32_e32 v3, 64, v0
	v_xor_b32_e32 v0, 32, v2
	v_cmp_lt_i32_e32 vcc, v0, v3
	v_xor_b32_e32 v4, 16, v2
	v_xor_b32_e32 v5, 8, v2
	v_cndmask_b32_e32 v0, v2, v0, vcc
	v_lshlrev_b32_e32 v0, 2, v0
	ds_bpermute_b32 v0, v0, v8
	v_cmp_lt_i32_e32 vcc, v4, v3
	s_waitcnt lgkmcnt(0)
	v_add_f32_e32 v0, v8, v0
	v_cndmask_b32_e32 v4, v2, v4, vcc
	v_lshlrev_b32_e32 v4, 2, v4
	ds_bpermute_b32 v4, v4, v0
	v_cmp_lt_i32_e32 vcc, v5, v3
	s_waitcnt lgkmcnt(0)
	v_add_f32_e32 v0, v0, v4
	v_cndmask_b32_e32 v4, v2, v5, vcc
	v_lshlrev_b32_e32 v4, 2, v4
	ds_bpermute_b32 v4, v4, v0
	v_xor_b32_e32 v5, 4, v2
	v_cmp_lt_i32_e32 vcc, v5, v3
	s_waitcnt lgkmcnt(0)
	v_add_f32_e32 v0, v0, v4
	v_cndmask_b32_e32 v4, v2, v5, vcc
	v_lshlrev_b32_e32 v4, 2, v4
	ds_bpermute_b32 v4, v4, v0
	v_xor_b32_e32 v5, 2, v2
	;; [unrolled: 7-line block ×3, first 2 shown]
	v_cmp_lt_i32_e32 vcc, v5, v3
	s_waitcnt lgkmcnt(0)
	v_add_f32_e32 v0, v0, v4
	v_cndmask_b32_e32 v2, v2, v5, vcc
	v_lshlrev_b32_e32 v2, 2, v2
	ds_bpermute_b32 v2, v2, v0
	v_cmp_eq_u32_e32 vcc, 0, v6
	s_and_b64 exec, exec, vcc
	s_cbranch_execz .LBB250_7
; %bb.6:
	s_mul_i32 s0, s8, s6
	s_waitcnt lgkmcnt(0)
	v_add_f32_e32 v2, v0, v2
	v_add_u32_e32 v0, s0, v1
	v_mov_b32_e32 v1, 0
	v_lshl_add_u64 v[0:1], v[0:1], 2, s[2:3]
	global_store_dword v[0:1], v2, off
.LBB250_7:
	s_endpgm
	.section	.rodata,"a",@progbits
	.p2align	6, 0x0
	.amdhsa_kernel _ZL9moe_vec_qIfLi256ELi8E11block_iq1_sLi1EXadL_ZL18vec_dot_iq1_s_q8_1PKvPK10block_q8_1RKiEEEvS2_S2_PT_PS6_iiii
		.amdhsa_group_segment_fixed_size 0
		.amdhsa_private_segment_fixed_size 0
		.amdhsa_kernarg_size 304
		.amdhsa_user_sgpr_count 2
		.amdhsa_user_sgpr_dispatch_ptr 0
		.amdhsa_user_sgpr_queue_ptr 0
		.amdhsa_user_sgpr_kernarg_segment_ptr 1
		.amdhsa_user_sgpr_dispatch_id 0
		.amdhsa_user_sgpr_kernarg_preload_length 0
		.amdhsa_user_sgpr_kernarg_preload_offset 0
		.amdhsa_user_sgpr_private_segment_size 0
		.amdhsa_uses_dynamic_stack 0
		.amdhsa_enable_private_segment 0
		.amdhsa_system_sgpr_workgroup_id_x 1
		.amdhsa_system_sgpr_workgroup_id_y 0
		.amdhsa_system_sgpr_workgroup_id_z 1
		.amdhsa_system_sgpr_workgroup_info 0
		.amdhsa_system_vgpr_workitem_id 1
		.amdhsa_next_free_vgpr 34
		.amdhsa_next_free_sgpr 20
		.amdhsa_accum_offset 36
		.amdhsa_reserve_vcc 1
		.amdhsa_float_round_mode_32 0
		.amdhsa_float_round_mode_16_64 0
		.amdhsa_float_denorm_mode_32 3
		.amdhsa_float_denorm_mode_16_64 3
		.amdhsa_dx10_clamp 1
		.amdhsa_ieee_mode 1
		.amdhsa_fp16_overflow 0
		.amdhsa_tg_split 0
		.amdhsa_exception_fp_ieee_invalid_op 0
		.amdhsa_exception_fp_denorm_src 0
		.amdhsa_exception_fp_ieee_div_zero 0
		.amdhsa_exception_fp_ieee_overflow 0
		.amdhsa_exception_fp_ieee_underflow 0
		.amdhsa_exception_fp_ieee_inexact 0
		.amdhsa_exception_int_div_zero 0
	.end_amdhsa_kernel
	.section	.text._ZL9moe_vec_qIfLi256ELi8E11block_iq1_sLi1EXadL_ZL18vec_dot_iq1_s_q8_1PKvPK10block_q8_1RKiEEEvS2_S2_PT_PS6_iiii,"axG",@progbits,_ZL9moe_vec_qIfLi256ELi8E11block_iq1_sLi1EXadL_ZL18vec_dot_iq1_s_q8_1PKvPK10block_q8_1RKiEEEvS2_S2_PT_PS6_iiii,comdat
.Lfunc_end250:
	.size	_ZL9moe_vec_qIfLi256ELi8E11block_iq1_sLi1EXadL_ZL18vec_dot_iq1_s_q8_1PKvPK10block_q8_1RKiEEEvS2_S2_PT_PS6_iiii, .Lfunc_end250-_ZL9moe_vec_qIfLi256ELi8E11block_iq1_sLi1EXadL_ZL18vec_dot_iq1_s_q8_1PKvPK10block_q8_1RKiEEEvS2_S2_PT_PS6_iiii
                                        ; -- End function
	.section	.AMDGPU.csdata,"",@progbits
; Kernel info:
; codeLenInByte = 1096
; NumSgprs: 26
; NumVgprs: 34
; NumAgprs: 0
; TotalNumVgprs: 34
; ScratchSize: 0
; MemoryBound: 0
; FloatMode: 240
; IeeeMode: 1
; LDSByteSize: 0 bytes/workgroup (compile time only)
; SGPRBlocks: 3
; VGPRBlocks: 4
; NumSGPRsForWavesPerEU: 26
; NumVGPRsForWavesPerEU: 34
; AccumOffset: 36
; Occupancy: 8
; WaveLimiterHint : 1
; COMPUTE_PGM_RSRC2:SCRATCH_EN: 0
; COMPUTE_PGM_RSRC2:USER_SGPR: 2
; COMPUTE_PGM_RSRC2:TRAP_HANDLER: 0
; COMPUTE_PGM_RSRC2:TGID_X_EN: 1
; COMPUTE_PGM_RSRC2:TGID_Y_EN: 0
; COMPUTE_PGM_RSRC2:TGID_Z_EN: 1
; COMPUTE_PGM_RSRC2:TIDIG_COMP_CNT: 1
; COMPUTE_PGM_RSRC3_GFX90A:ACCUM_OFFSET: 8
; COMPUTE_PGM_RSRC3_GFX90A:TG_SPLIT: 0
	.section	.text._ZL9moe_vec_qIfLi32ELi4E12block_iq4_nlLi2EXadL_ZL19vec_dot_iq4_nl_q8_1PKvPK10block_q8_1RKiEEEvS2_S2_PT_PS6_iiii,"axG",@progbits,_ZL9moe_vec_qIfLi32ELi4E12block_iq4_nlLi2EXadL_ZL19vec_dot_iq4_nl_q8_1PKvPK10block_q8_1RKiEEEvS2_S2_PT_PS6_iiii,comdat
	.globl	_ZL9moe_vec_qIfLi32ELi4E12block_iq4_nlLi2EXadL_ZL19vec_dot_iq4_nl_q8_1PKvPK10block_q8_1RKiEEEvS2_S2_PT_PS6_iiii ; -- Begin function _ZL9moe_vec_qIfLi32ELi4E12block_iq4_nlLi2EXadL_ZL19vec_dot_iq4_nl_q8_1PKvPK10block_q8_1RKiEEEvS2_S2_PT_PS6_iiii
	.p2align	8
	.type	_ZL9moe_vec_qIfLi32ELi4E12block_iq4_nlLi2EXadL_ZL19vec_dot_iq4_nl_q8_1PKvPK10block_q8_1RKiEEEvS2_S2_PT_PS6_iiii,@function
_ZL9moe_vec_qIfLi32ELi4E12block_iq4_nlLi2EXadL_ZL19vec_dot_iq4_nl_q8_1PKvPK10block_q8_1RKiEEEvS2_S2_PT_PS6_iiii: ; @_ZL9moe_vec_qIfLi32ELi4E12block_iq4_nlLi2EXadL_ZL19vec_dot_iq4_nl_q8_1PKvPK10block_q8_1RKiEEEvS2_S2_PT_PS6_iiii
; %bb.0:
	s_mov_b32 s8, s3
	s_load_dword s3, s[0:1], 0x3c
	s_load_dwordx4 s[4:7], s[0:1], 0x20
	v_bfe_u32 v1, v0, 10, 10
	s_waitcnt lgkmcnt(0)
	s_lshr_b32 s3, s3, 16
	s_mul_i32 s2, s2, s3
	v_add_u32_e32 v4, s2, v1
	v_cmp_gt_u32_e32 vcc, s6, v4
	s_and_saveexec_b64 s[2:3], vcc
	s_cbranch_execz .LBB251_7
; %bb.1:
	v_cvt_f32_u32_e32 v1, s4
	v_and_b32_e32 v5, 0x3ff, v0
	s_load_dwordx2 s[2:3], s[0:1], 0x10
	s_ashr_i32 s9, s5, 31
	v_rcp_iflag_f32_e32 v1, v1
	s_lshr_b32 s9, s9, 27
	s_add_i32 s5, s5, s9
	v_lshrrev_b32_e32 v6, 1, v5
	v_mul_f32_e32 v0, 0x4f7ffffe, v1
	v_cvt_u32_f32_e32 v0, v0
	s_ashr_i32 s16, s5, 5
	v_cmp_gt_u32_e32 vcc, s16, v6
	v_mov_b32_e32 v7, 0
	v_readfirstlane_b32 s5, v0
	s_and_saveexec_b64 s[10:11], vcc
	s_cbranch_execz .LBB251_5
; %bb.2:
	s_sub_i32 s12, 0, s4
	s_mul_i32 s17, s12, s5
	s_load_dwordx4 s[12:15], s[0:1], 0x0
	s_load_dwordx2 s[18:19], s[0:1], 0x18
	s_mov_b32 s9, 0
	s_mul_hi_u32 s0, s5, s17
	s_add_i32 s5, s5, s0
	s_lshl_b64 s[0:1], s[8:9], 2
	s_waitcnt lgkmcnt(0)
	s_add_u32 s0, s18, s0
	s_mul_hi_u32 s5, s8, s5
	s_addc_u32 s1, s19, s1
	s_load_dword s0, s[0:1], 0x0
	s_mul_i32 s1, s5, s4
	s_sub_i32 s1, s8, s1
	s_add_i32 s17, s5, 1
	s_sub_i32 s18, s1, s4
	s_cmp_ge_u32 s1, s4
	s_cselect_b32 s5, s17, s5
	s_cselect_b32 s1, s18, s1
	s_add_i32 s17, s5, 1
	s_cmp_ge_u32 s1, s4
	s_mul_i32 s1, s16, s6
	s_waitcnt lgkmcnt(0)
	s_mul_i32 s0, s1, s0
	s_cselect_b32 s4, s17, s5
	s_mul_hi_i32 s1, s0, 18
	s_mul_i32 s0, s0, 18
	s_add_u32 s0, s12, s0
	s_mul_i32 s4, s4, s7
	s_mov_b32 s5, s9
	v_lshlrev_b32_e32 v0, 1, v5
	s_addc_u32 s1, s13, s1
	s_lshl_b64 s[4:5], s[4:5], 2
	v_and_b32_e32 v2, 2, v0
	s_add_u32 s4, s14, s4
	v_lshlrev_b32_e32 v0, 1, v2
	v_mov_b32_e32 v1, 0
	s_addc_u32 s5, s15, s5
	v_mul_lo_u32 v8, v4, s16
	s_mov_b64 s[12:13], 0
	v_lshlrev_b32_e32 v0, 1, v0
	v_lshlrev_b32_e32 v2, 2, v2
	v_mov_b32_e32 v3, v1
	v_mov_b32_e32 v7, v1
.LBB251_3:                              ; =>This Inner Loop Header: Depth=1
	v_add_u32_e32 v9, v8, v6
	v_mad_i64_i32 v[10:11], s[14:15], v9, 18, s[0:1]
	v_lshl_add_u64 v[12:13], v[10:11], 0, v[0:1]
	global_load_dwordx2 v[12:13], v[12:13], off offset:2
	v_mad_i64_i32 v[14:15], s[14:15], v6, 36, s[4:5]
	v_lshl_add_u64 v[16:17], v[14:15], 0, v[2:3]
	s_getpc_b64 s[14:15]
	s_add_u32 s14, s14, _ZL13kvalues_iq4nl@rel32@lo+4
	s_addc_u32 s15, s15, _ZL13kvalues_iq4nl@rel32@hi+12
	global_load_dword v9, v[14:15], off
	global_load_dwordx2 v[18:19], v[16:17], off offset:4
	global_load_dwordx2 v[20:21], v[16:17], off offset:20
	v_add_u32_e32 v6, 32, v6
	v_cmp_le_u32_e32 vcc, s16, v6
	s_or_b64 s[12:13], vcc, s[12:13]
	s_waitcnt vmcnt(3)
	v_bfe_u32 v14, v12, 24, 4
	v_and_b32_e32 v15, 15, v12
	v_bfe_u32 v16, v12, 8, 4
	v_bfe_u32 v17, v12, 16, 4
	;; [unrolled: 1-line block ×4, first 2 shown]
	v_lshrrev_b32_e32 v24, 28, v12
	v_bfe_u32 v12, v12, 4, 4
	v_bfe_u32 v25, v13, 24, 4
	v_and_b32_e32 v26, 15, v13
	v_bfe_u32 v27, v13, 8, 4
	v_bfe_u32 v28, v13, 16, 4
	;; [unrolled: 1-line block ×4, first 2 shown]
	v_lshrrev_b32_e32 v31, 28, v13
	v_bfe_u32 v13, v13, 4, 4
	global_load_ubyte v32, v16, s[14:15]
	global_load_ubyte v33, v17, s[14:15]
	;; [unrolled: 1-line block ×15, first 2 shown]
                                        ; kill: killed $vgpr13
                                        ; kill: killed $vgpr15
                                        ; kill: killed $vgpr12
                                        ; kill: killed $vgpr26
                                        ; kill: killed $vgpr30
                                        ; kill: killed $vgpr17
                                        ; kill: killed $vgpr14
                                        ; kill: killed $vgpr16
                                        ; kill: killed $vgpr22
                                        ; kill: killed $vgpr31
                                        ; kill: killed $vgpr24
                                        ; kill: killed $vgpr29
                                        ; kill: killed $vgpr28
                                        ; kill: killed $vgpr23
                                        ; kill: killed $vgpr27
	global_load_ubyte v12, v25, s[14:15]
	s_nop 0
	global_load_ushort v13, v[10:11], off
	v_mov_b32_e32 v10, 0
	v_mov_b32_e32 v11, 0
	s_waitcnt vmcnt(19)
	v_cvt_f32_f16_e32 v9, v9
	s_waitcnt vmcnt(15)
	v_lshlrev_b32_e32 v15, 16, v33
	s_waitcnt vmcnt(13)
	v_lshlrev_b32_e32 v22, 16, v35
	s_waitcnt vmcnt(12)
	v_lshl_or_b32 v23, v34, 8, v36
	s_waitcnt vmcnt(11)
	v_lshlrev_b32_e32 v17, 24, v37
	s_waitcnt vmcnt(10)
	v_lshl_or_b32 v16, v32, 8, v38
	s_waitcnt vmcnt(9)
	v_lshlrev_b32_e32 v14, 24, v39
	v_or3_b32 v14, v16, v15, v14
	s_waitcnt vmcnt(7)
	v_lshlrev_b32_e32 v24, 16, v41
	v_or3_b32 v15, v23, v22, v17
	s_waitcnt vmcnt(5)
	v_lshlrev_b32_e32 v27, 16, v43
	s_waitcnt vmcnt(4)
	v_lshl_or_b32 v28, v42, 8, v44
	s_waitcnt vmcnt(3)
	v_lshlrev_b32_e32 v26, 24, v45
	s_waitcnt vmcnt(2)
	v_lshl_or_b32 v25, v40, 8, v46
	v_or3_b32 v16, v28, v27, v26
	v_dot4c_i32_i8_e32 v10, v14, v18
	v_dot4c_i32_i8_e32 v11, v15, v20
	;; [unrolled: 1-line block ×3, first 2 shown]
	s_waitcnt vmcnt(1)
	v_lshlrev_b32_e32 v12, 24, v12
	v_or3_b32 v12, v25, v24, v12
	v_dot4c_i32_i8_e32 v10, v12, v19
	s_waitcnt vmcnt(0)
	v_cvt_f32_f16_e32 v13, v13
	v_mul_f32_e32 v9, v13, v9
	v_add_u32_e32 v10, v11, v10
	v_cvt_f32_i32_e32 v10, v10
	v_fmac_f32_e32 v7, v9, v10
	s_andn2_b64 exec, exec, s[12:13]
	s_cbranch_execnz .LBB251_3
; %bb.4:
	s_or_b64 exec, exec, s[12:13]
.LBB251_5:
	s_or_b64 exec, exec, s[10:11]
	v_mbcnt_lo_u32_b32 v0, -1, 0
	v_mbcnt_hi_u32_b32 v1, -1, v0
	v_and_b32_e32 v0, 64, v1
	v_add_u32_e32 v2, 64, v0
	v_xor_b32_e32 v0, 32, v1
	v_cmp_lt_i32_e32 vcc, v0, v2
	v_xor_b32_e32 v3, 16, v1
	v_xor_b32_e32 v6, 8, v1
	v_cndmask_b32_e32 v0, v1, v0, vcc
	v_lshlrev_b32_e32 v0, 2, v0
	ds_bpermute_b32 v0, v0, v7
	v_cmp_lt_i32_e32 vcc, v3, v2
	s_waitcnt lgkmcnt(0)
	v_add_f32_e32 v0, v7, v0
	v_cndmask_b32_e32 v3, v1, v3, vcc
	v_lshlrev_b32_e32 v3, 2, v3
	ds_bpermute_b32 v3, v3, v0
	v_cmp_lt_i32_e32 vcc, v6, v2
	s_waitcnt lgkmcnt(0)
	v_add_f32_e32 v0, v0, v3
	v_cndmask_b32_e32 v3, v1, v6, vcc
	v_lshlrev_b32_e32 v3, 2, v3
	ds_bpermute_b32 v3, v3, v0
	v_xor_b32_e32 v6, 4, v1
	v_cmp_lt_i32_e32 vcc, v6, v2
	s_waitcnt lgkmcnt(0)
	v_add_f32_e32 v0, v0, v3
	v_cndmask_b32_e32 v3, v1, v6, vcc
	v_lshlrev_b32_e32 v3, 2, v3
	ds_bpermute_b32 v3, v3, v0
	v_xor_b32_e32 v6, 2, v1
	;; [unrolled: 7-line block ×3, first 2 shown]
	v_cmp_lt_i32_e32 vcc, v6, v2
	s_waitcnt lgkmcnt(0)
	v_add_f32_e32 v0, v0, v3
	v_cndmask_b32_e32 v1, v1, v6, vcc
	v_lshlrev_b32_e32 v1, 2, v1
	ds_bpermute_b32 v1, v1, v0
	v_cmp_eq_u32_e32 vcc, 0, v5
	s_and_b64 exec, exec, vcc
	s_cbranch_execz .LBB251_7
; %bb.6:
	s_mul_i32 s0, s8, s6
	s_waitcnt lgkmcnt(0)
	v_add_f32_e32 v2, v0, v1
	v_add_u32_e32 v0, s0, v4
	v_mov_b32_e32 v1, 0
	v_lshl_add_u64 v[0:1], v[0:1], 2, s[2:3]
	global_store_dword v[0:1], v2, off
.LBB251_7:
	s_endpgm
	.section	.rodata,"a",@progbits
	.p2align	6, 0x0
	.amdhsa_kernel _ZL9moe_vec_qIfLi32ELi4E12block_iq4_nlLi2EXadL_ZL19vec_dot_iq4_nl_q8_1PKvPK10block_q8_1RKiEEEvS2_S2_PT_PS6_iiii
		.amdhsa_group_segment_fixed_size 0
		.amdhsa_private_segment_fixed_size 0
		.amdhsa_kernarg_size 304
		.amdhsa_user_sgpr_count 2
		.amdhsa_user_sgpr_dispatch_ptr 0
		.amdhsa_user_sgpr_queue_ptr 0
		.amdhsa_user_sgpr_kernarg_segment_ptr 1
		.amdhsa_user_sgpr_dispatch_id 0
		.amdhsa_user_sgpr_kernarg_preload_length 0
		.amdhsa_user_sgpr_kernarg_preload_offset 0
		.amdhsa_user_sgpr_private_segment_size 0
		.amdhsa_uses_dynamic_stack 0
		.amdhsa_enable_private_segment 0
		.amdhsa_system_sgpr_workgroup_id_x 1
		.amdhsa_system_sgpr_workgroup_id_y 0
		.amdhsa_system_sgpr_workgroup_id_z 1
		.amdhsa_system_sgpr_workgroup_info 0
		.amdhsa_system_vgpr_workitem_id 1
		.amdhsa_next_free_vgpr 47
		.amdhsa_next_free_sgpr 20
		.amdhsa_accum_offset 48
		.amdhsa_reserve_vcc 1
		.amdhsa_float_round_mode_32 0
		.amdhsa_float_round_mode_16_64 0
		.amdhsa_float_denorm_mode_32 3
		.amdhsa_float_denorm_mode_16_64 3
		.amdhsa_dx10_clamp 1
		.amdhsa_ieee_mode 1
		.amdhsa_fp16_overflow 0
		.amdhsa_tg_split 0
		.amdhsa_exception_fp_ieee_invalid_op 0
		.amdhsa_exception_fp_denorm_src 0
		.amdhsa_exception_fp_ieee_div_zero 0
		.amdhsa_exception_fp_ieee_overflow 0
		.amdhsa_exception_fp_ieee_underflow 0
		.amdhsa_exception_fp_ieee_inexact 0
		.amdhsa_exception_int_div_zero 0
	.end_amdhsa_kernel
	.section	.text._ZL9moe_vec_qIfLi32ELi4E12block_iq4_nlLi2EXadL_ZL19vec_dot_iq4_nl_q8_1PKvPK10block_q8_1RKiEEEvS2_S2_PT_PS6_iiii,"axG",@progbits,_ZL9moe_vec_qIfLi32ELi4E12block_iq4_nlLi2EXadL_ZL19vec_dot_iq4_nl_q8_1PKvPK10block_q8_1RKiEEEvS2_S2_PT_PS6_iiii,comdat
.Lfunc_end251:
	.size	_ZL9moe_vec_qIfLi32ELi4E12block_iq4_nlLi2EXadL_ZL19vec_dot_iq4_nl_q8_1PKvPK10block_q8_1RKiEEEvS2_S2_PT_PS6_iiii, .Lfunc_end251-_ZL9moe_vec_qIfLi32ELi4E12block_iq4_nlLi2EXadL_ZL19vec_dot_iq4_nl_q8_1PKvPK10block_q8_1RKiEEEvS2_S2_PT_PS6_iiii
                                        ; -- End function
	.section	.AMDGPU.csdata,"",@progbits
; Kernel info:
; codeLenInByte = 1160
; NumSgprs: 26
; NumVgprs: 47
; NumAgprs: 0
; TotalNumVgprs: 47
; ScratchSize: 0
; MemoryBound: 0
; FloatMode: 240
; IeeeMode: 1
; LDSByteSize: 0 bytes/workgroup (compile time only)
; SGPRBlocks: 3
; VGPRBlocks: 5
; NumSGPRsForWavesPerEU: 26
; NumVGPRsForWavesPerEU: 47
; AccumOffset: 48
; Occupancy: 8
; WaveLimiterHint : 1
; COMPUTE_PGM_RSRC2:SCRATCH_EN: 0
; COMPUTE_PGM_RSRC2:USER_SGPR: 2
; COMPUTE_PGM_RSRC2:TRAP_HANDLER: 0
; COMPUTE_PGM_RSRC2:TGID_X_EN: 1
; COMPUTE_PGM_RSRC2:TGID_Y_EN: 0
; COMPUTE_PGM_RSRC2:TGID_Z_EN: 1
; COMPUTE_PGM_RSRC2:TIDIG_COMP_CNT: 1
; COMPUTE_PGM_RSRC3_GFX90A:ACCUM_OFFSET: 11
; COMPUTE_PGM_RSRC3_GFX90A:TG_SPLIT: 0
	.section	.text._ZL9moe_vec_qIfLi256ELi8E11block_iq3_sLi1EXadL_ZL18vec_dot_iq3_s_q8_1PKvPK10block_q8_1RKiEEEvS2_S2_PT_PS6_iiii,"axG",@progbits,_ZL9moe_vec_qIfLi256ELi8E11block_iq3_sLi1EXadL_ZL18vec_dot_iq3_s_q8_1PKvPK10block_q8_1RKiEEEvS2_S2_PT_PS6_iiii,comdat
	.globl	_ZL9moe_vec_qIfLi256ELi8E11block_iq3_sLi1EXadL_ZL18vec_dot_iq3_s_q8_1PKvPK10block_q8_1RKiEEEvS2_S2_PT_PS6_iiii ; -- Begin function _ZL9moe_vec_qIfLi256ELi8E11block_iq3_sLi1EXadL_ZL18vec_dot_iq3_s_q8_1PKvPK10block_q8_1RKiEEEvS2_S2_PT_PS6_iiii
	.p2align	8
	.type	_ZL9moe_vec_qIfLi256ELi8E11block_iq3_sLi1EXadL_ZL18vec_dot_iq3_s_q8_1PKvPK10block_q8_1RKiEEEvS2_S2_PT_PS6_iiii,@function
_ZL9moe_vec_qIfLi256ELi8E11block_iq3_sLi1EXadL_ZL18vec_dot_iq3_s_q8_1PKvPK10block_q8_1RKiEEEvS2_S2_PT_PS6_iiii: ; @_ZL9moe_vec_qIfLi256ELi8E11block_iq3_sLi1EXadL_ZL18vec_dot_iq3_s_q8_1PKvPK10block_q8_1RKiEEEvS2_S2_PT_PS6_iiii
; %bb.0:
	s_mov_b32 s8, s3
	s_load_dword s3, s[0:1], 0x3c
	s_load_dwordx4 s[4:7], s[0:1], 0x20
	v_bfe_u32 v1, v0, 10, 10
	s_waitcnt lgkmcnt(0)
	s_lshr_b32 s3, s3, 16
	s_mul_i32 s2, s2, s3
	v_add_u32_e32 v24, s2, v1
	v_cmp_gt_u32_e32 vcc, s6, v24
	s_and_saveexec_b64 s[2:3], vcc
	s_cbranch_execz .LBB252_9
; %bb.1:
	s_load_dwordx2 s[2:3], s[0:1], 0x10
	s_ashr_i32 s9, s5, 31
	s_lshr_b32 s9, s9, 24
	s_add_i32 s5, s5, s9
	v_and_b32_e32 v25, 0x3ff, v0
	s_ashr_i32 s5, s5, 8
	v_lshrrev_b32_e32 v26, 3, v25
	v_cmp_gt_u32_e32 vcc, s5, v26
	v_mov_b32_e32 v1, 0
	s_and_saveexec_b64 s[10:11], vcc
	s_cbranch_execz .LBB252_7
; %bb.2:
	s_load_dwordx2 s[12:13], s[0:1], 0x18
	v_cvt_f32_u32_e32 v0, s4
	s_mov_b32 s9, 0
	s_lshl_b64 s[14:15], s[8:9], 2
	v_and_b32_e32 v2, 7, v25
	s_waitcnt lgkmcnt(0)
	s_add_u32 s12, s12, s14
	v_rcp_iflag_f32_e32 v0, v0
	s_addc_u32 s13, s13, s15
	s_load_dword s14, s[12:13], 0x0
	s_load_dwordx4 s[16:19], s[0:1], 0x0
	s_mul_i32 s0, s5, s6
	v_mul_f32_e32 v0, 0x4f7ffffe, v0
	v_cvt_u32_f32_e32 v0, v0
	s_waitcnt lgkmcnt(0)
	s_mul_i32 s0, s0, s14
	s_mul_hi_i32 s1, s0, 0x6e
	s_mulk_i32 s0, 0x6e
	s_add_u32 s14, s16, s0
	s_addc_u32 s15, s17, s1
	s_sub_i32 s0, 0, s4
	v_readfirstlane_b32 s1, v0
	s_mul_i32 s0, s0, s1
	s_mul_hi_u32 s0, s1, s0
	s_add_i32 s1, s1, s0
	s_mul_hi_u32 s0, s8, s1
	s_mul_i32 s1, s0, s4
	s_sub_i32 s1, s8, s1
	s_add_i32 s13, s0, 1
	s_sub_i32 s16, s1, s4
	s_cmp_ge_u32 s1, s4
	s_cselect_b32 s0, s13, s0
	s_cselect_b32 s1, s16, s1
	s_add_i32 s13, s0, 1
	s_cmp_ge_u32 s1, s4
	s_cselect_b32 s0, s13, s0
	s_mul_i32 s0, s0, s7
	s_mov_b32 s1, s9
	s_lshl_b64 s[0:1], s[0:1], 2
	s_add_u32 s0, s18, s0
	s_addc_u32 s1, s19, s1
	v_mov_b32_e32 v1, 0
	v_lshlrev_b32_e32 v8, 2, v25
	v_lshlrev_b32_e32 v0, 3, v2
	v_mad_u64_u32 v[4:5], s[0:1], v2, 36, s[0:1]
	v_and_b32_e32 v28, 4, v8
	v_lshlrev_b32_e32 v8, 2, v2
	v_mov_b32_e32 v9, v1
	v_mul_lo_u32 v27, v24, s5
	v_lshl_add_u64 v[8:9], s[14:15], 0, v[8:9]
	s_mov_b64 s[0:1], 0x4a
	v_lshl_add_u64 v[10:11], s[14:15], 0, v[0:1]
	s_movk_i32 s12, 0x6e
	v_mov_b32_e32 v3, v1
	v_bfe_u32 v6, v25, 1, 2
	v_mov_b32_e32 v7, v1
	v_lshl_add_u64 v[8:9], v[8:9], 0, s[0:1]
	v_add_u32_e32 v29, v26, v27
	v_lshl_add_u64 v[10:11], v[10:11], 0, 2
	s_mov_b64 s[0:1], 0
	v_mov_b64_e32 v[12:13], s[14:15]
	s_movk_i32 s4, 0x100
	s_mov_b32 s7, 0x1010101
	s_mov_b32 s9, 0x1000000
	v_mov_b32_e32 v0, 0xff0000
	v_mov_b32_e32 v30, 0xff00
	;; [unrolled: 1-line block ×3, first 2 shown]
	s_mov_b32 s13, 0xc060c00
	s_getpc_b64 s[16:17]
	s_add_u32 s16, s16, _ZL10iq3xs_grid@rel32@lo+4
	s_addc_u32 s17, s17, _ZL10iq3xs_grid@rel32@hi+12
.LBB252_3:                              ; =>This Loop Header: Depth=1
                                        ;     Child Loop BB252_4 Depth 2
	v_add_u32_e32 v14, v26, v27
	v_mad_i64_i32 v[16:17], s[14:15], v14, s12, v[12:13]
	v_lshl_add_u64 v[14:15], v[16:17], 0, v[2:3]
	global_load_ubyte v33, v[14:15], off offset:66
	v_lshlrev_b32_e32 v14, 3, v26
	v_mad_i64_i32 v[18:19], s[14:15], v29, s12, v[8:9]
	v_mad_i64_i32 v[20:21], s[14:15], v29, s12, v[10:11]
	;; [unrolled: 1-line block ×3, first 2 shown]
	v_lshl_add_u64 v[22:23], v[14:15], 0, 4
	s_mov_b32 s14, 7
	v_mov_b32_e32 v32, 0
.LBB252_4:                              ;   Parent Loop BB252_3 Depth=1
                                        ; =>  This Inner Loop Header: Depth=2
	global_load_ushort v34, v[20:21], off
	global_load_ubyte v36, v[18:19], off
	s_add_i32 s15, s14, 1
	s_waitcnt vmcnt(2)
	v_lshlrev_b32_e32 v37, s15, v33
	v_lshlrev_b32_e32 v35, s14, v33
	s_add_i32 s14, s14, -2
	v_lshl_add_u64 v[18:19], v[18:19], 0, 1
	v_lshl_add_u64 v[20:21], v[20:21], 0, 2
	s_cmp_lg_u32 s14, -1
	s_waitcnt vmcnt(1)
	v_and_b32_e32 v38, 0xff, v34
	v_lshrrev_b16_e32 v34, 8, v34
	v_and_or_b32 v37, v37, s4, v38
	v_and_or_b32 v34, v35, s4, v34
	v_lshlrev_b32_e32 v37, 2, v37
	v_lshlrev_b32_e32 v38, 2, v34
	global_load_dword v39, v37, s[16:17]
	global_load_dword v40, v38, s[16:17]
	global_load_dwordx2 v[34:35], v[22:23], off
	s_waitcnt vmcnt(3)
	v_and_b32_e32 v37, 15, v36
	v_lshrrev_b16_e32 v36, 4, v36
	v_mul_lo_u32 v36, v36, s7
	v_not_b32_e32 v36, v36
	v_and_b32_e32 v38, 0x8040201, v36
	v_and_b32_e32 v37, 0xffff, v37
	;; [unrolled: 1-line block ×3, first 2 shown]
	v_cmp_gt_u32_e32 vcc, s9, v38
	v_mul_lo_u32 v37, v37, s7
	v_and_b32_e32 v42, 0x200, v36
	v_cndmask_b32_e64 v38, 0, -1, vcc
	v_cmp_eq_u32_e32 vcc, 0, v41
	v_not_b32_e32 v37, v37
	v_and_b32_e32 v36, 1, v36
	v_cndmask_b32_e32 v41, 0, v0, vcc
	v_cmp_eq_u32_e32 vcc, 0, v42
	v_and_b32_e32 v43, 0x8040201, v37
	v_and_b32_e32 v44, 0x40000, v37
	v_cndmask_b32_e32 v42, 0, v30, vcc
	v_cmp_eq_u32_e32 vcc, 0, v36
	v_and_b32_e32 v45, 0x200, v37
	v_and_b32_e32 v37, 1, v37
	v_cndmask_b32_e32 v36, 0, v31, vcc
	v_cmp_gt_u32_e32 vcc, s9, v43
	v_lshlrev_b32_e32 v38, 24, v38
	v_or_b32_e32 v46, v42, v36
	v_cndmask_b32_e64 v43, 0, -1, vcc
	v_cmp_eq_u32_e32 vcc, 0, v44
	v_lshlrev_b32_e32 v43, 24, v43
	v_or3_b32 v46, v46, v41, v38
	v_cndmask_b32_e32 v44, 0, v0, vcc
	v_cmp_eq_u32_e32 vcc, 0, v45
	v_lshl_add_u64 v[22:23], v[22:23], 0, 8
	s_waitcnt vmcnt(1)
	v_xor_b32_e32 v40, v46, v40
	v_cndmask_b32_e32 v45, 0, v30, vcc
	v_cmp_eq_u32_e32 vcc, 0, v37
	v_sub_u32_e32 v38, v40, v38
	v_sub_u32_e32 v36, v40, v36
	v_cndmask_b32_e32 v37, 0, v31, vcc
	v_or_b32_e32 v47, v45, v37
	v_or3_b32 v47, v47, v44, v43
	v_xor_b32_e32 v39, v47, v39
	v_sub_u32_e32 v43, v39, v43
	v_sub_u32_e32 v44, v39, v44
	;; [unrolled: 1-line block ×6, first 2 shown]
	v_and_b32_e32 v40, 0xff000000, v43
	v_and_b32_e32 v42, 0xff00, v45
	v_perm_b32 v37, v44, v37, s13
	v_and_b32_e32 v38, 0xff000000, v38
	v_and_b32_e32 v41, 0xff00, v41
	v_perm_b32 v36, v39, v36, s13
	v_or3_b32 v37, v37, v40, v42
	v_or3_b32 v36, v36, v38, v41
	s_waitcnt vmcnt(0)
	v_dot4c_i32_i8_e32 v32, v37, v34
	v_dot4c_i32_i8_e32 v32, v36, v35
	s_cbranch_scc1 .LBB252_4
; %bb.5:                                ;   in Loop: Header=BB252_3 Depth=1
	global_load_ushort v18, v[16:17], off
	v_lshl_add_u64 v[16:17], v[16:17], 0, v[6:7]
	global_load_dword v19, v[14:15], off
	global_load_ubyte v20, v[16:17], off offset:106
	v_cvt_f32_i32_e32 v14, v32
	v_add_u32_e32 v26, 8, v26
	v_cmp_le_u32_e32 vcc, s5, v26
	s_or_b64 s[0:1], vcc, s[0:1]
	v_add_u32_e32 v29, 8, v29
	s_waitcnt vmcnt(2)
	v_cvt_f32_f16_e32 v15, v18
	s_waitcnt vmcnt(1)
	v_cvt_f32_f16_e32 v16, v19
	s_waitcnt vmcnt(0)
	v_bfe_u32 v17, v20, v28, 4
	v_cvt_f32_ubyte0_e32 v17, v17
	v_add_f32_e32 v17, 0.5, v17
	v_mul_f32_e32 v15, v17, v15
	v_mul_f32_e32 v15, v15, v16
	v_mul_f32_e32 v15, 0.5, v15
	v_fmac_f32_e32 v1, v15, v14
	s_andn2_b64 exec, exec, s[0:1]
	s_cbranch_execnz .LBB252_3
; %bb.6:
	s_or_b64 exec, exec, s[0:1]
.LBB252_7:
	s_or_b64 exec, exec, s[10:11]
	v_mbcnt_lo_u32_b32 v0, -1, 0
	v_mbcnt_hi_u32_b32 v2, -1, v0
	v_and_b32_e32 v0, 64, v2
	v_add_u32_e32 v3, 64, v0
	v_xor_b32_e32 v0, 32, v2
	v_cmp_lt_i32_e32 vcc, v0, v3
	v_xor_b32_e32 v4, 16, v2
	s_nop 0
	v_cndmask_b32_e32 v0, v2, v0, vcc
	v_lshlrev_b32_e32 v0, 2, v0
	ds_bpermute_b32 v0, v0, v1
	v_cmp_lt_i32_e32 vcc, v4, v3
	s_waitcnt lgkmcnt(0)
	v_add_f32_e32 v0, v1, v0
	v_cndmask_b32_e32 v1, v2, v4, vcc
	v_lshlrev_b32_e32 v1, 2, v1
	ds_bpermute_b32 v1, v1, v0
	v_xor_b32_e32 v4, 8, v2
	v_cmp_lt_i32_e32 vcc, v4, v3
	s_waitcnt lgkmcnt(0)
	v_add_f32_e32 v0, v0, v1
	v_cndmask_b32_e32 v1, v2, v4, vcc
	v_lshlrev_b32_e32 v1, 2, v1
	ds_bpermute_b32 v1, v1, v0
	v_xor_b32_e32 v4, 4, v2
	;; [unrolled: 7-line block ×4, first 2 shown]
	v_cmp_lt_i32_e32 vcc, v4, v3
	s_waitcnt lgkmcnt(0)
	v_add_f32_e32 v0, v0, v1
	v_cndmask_b32_e32 v1, v2, v4, vcc
	v_lshlrev_b32_e32 v1, 2, v1
	ds_bpermute_b32 v1, v1, v0
	v_cmp_eq_u32_e32 vcc, 0, v25
	s_and_b64 exec, exec, vcc
	s_cbranch_execz .LBB252_9
; %bb.8:
	s_mul_i32 s0, s8, s6
	s_waitcnt lgkmcnt(0)
	v_add_f32_e32 v2, v0, v1
	v_add_u32_e32 v0, s0, v24
	v_mov_b32_e32 v1, 0
	v_lshl_add_u64 v[0:1], v[0:1], 2, s[2:3]
	global_store_dword v[0:1], v2, off
.LBB252_9:
	s_endpgm
	.section	.rodata,"a",@progbits
	.p2align	6, 0x0
	.amdhsa_kernel _ZL9moe_vec_qIfLi256ELi8E11block_iq3_sLi1EXadL_ZL18vec_dot_iq3_s_q8_1PKvPK10block_q8_1RKiEEEvS2_S2_PT_PS6_iiii
		.amdhsa_group_segment_fixed_size 0
		.amdhsa_private_segment_fixed_size 0
		.amdhsa_kernarg_size 304
		.amdhsa_user_sgpr_count 2
		.amdhsa_user_sgpr_dispatch_ptr 0
		.amdhsa_user_sgpr_queue_ptr 0
		.amdhsa_user_sgpr_kernarg_segment_ptr 1
		.amdhsa_user_sgpr_dispatch_id 0
		.amdhsa_user_sgpr_kernarg_preload_length 0
		.amdhsa_user_sgpr_kernarg_preload_offset 0
		.amdhsa_user_sgpr_private_segment_size 0
		.amdhsa_uses_dynamic_stack 0
		.amdhsa_enable_private_segment 0
		.amdhsa_system_sgpr_workgroup_id_x 1
		.amdhsa_system_sgpr_workgroup_id_y 0
		.amdhsa_system_sgpr_workgroup_id_z 1
		.amdhsa_system_sgpr_workgroup_info 0
		.amdhsa_system_vgpr_workitem_id 1
		.amdhsa_next_free_vgpr 48
		.amdhsa_next_free_sgpr 20
		.amdhsa_accum_offset 48
		.amdhsa_reserve_vcc 1
		.amdhsa_float_round_mode_32 0
		.amdhsa_float_round_mode_16_64 0
		.amdhsa_float_denorm_mode_32 3
		.amdhsa_float_denorm_mode_16_64 3
		.amdhsa_dx10_clamp 1
		.amdhsa_ieee_mode 1
		.amdhsa_fp16_overflow 0
		.amdhsa_tg_split 0
		.amdhsa_exception_fp_ieee_invalid_op 0
		.amdhsa_exception_fp_denorm_src 0
		.amdhsa_exception_fp_ieee_div_zero 0
		.amdhsa_exception_fp_ieee_overflow 0
		.amdhsa_exception_fp_ieee_underflow 0
		.amdhsa_exception_fp_ieee_inexact 0
		.amdhsa_exception_int_div_zero 0
	.end_amdhsa_kernel
	.section	.text._ZL9moe_vec_qIfLi256ELi8E11block_iq3_sLi1EXadL_ZL18vec_dot_iq3_s_q8_1PKvPK10block_q8_1RKiEEEvS2_S2_PT_PS6_iiii,"axG",@progbits,_ZL9moe_vec_qIfLi256ELi8E11block_iq3_sLi1EXadL_ZL18vec_dot_iq3_s_q8_1PKvPK10block_q8_1RKiEEEvS2_S2_PT_PS6_iiii,comdat
.Lfunc_end252:
	.size	_ZL9moe_vec_qIfLi256ELi8E11block_iq3_sLi1EXadL_ZL18vec_dot_iq3_s_q8_1PKvPK10block_q8_1RKiEEEvS2_S2_PT_PS6_iiii, .Lfunc_end252-_ZL9moe_vec_qIfLi256ELi8E11block_iq3_sLi1EXadL_ZL18vec_dot_iq3_s_q8_1PKvPK10block_q8_1RKiEEEvS2_S2_PT_PS6_iiii
                                        ; -- End function
	.section	.AMDGPU.csdata,"",@progbits
; Kernel info:
; codeLenInByte = 1388
; NumSgprs: 26
; NumVgprs: 48
; NumAgprs: 0
; TotalNumVgprs: 48
; ScratchSize: 0
; MemoryBound: 0
; FloatMode: 240
; IeeeMode: 1
; LDSByteSize: 0 bytes/workgroup (compile time only)
; SGPRBlocks: 3
; VGPRBlocks: 5
; NumSGPRsForWavesPerEU: 26
; NumVGPRsForWavesPerEU: 48
; AccumOffset: 48
; Occupancy: 8
; WaveLimiterHint : 1
; COMPUTE_PGM_RSRC2:SCRATCH_EN: 0
; COMPUTE_PGM_RSRC2:USER_SGPR: 2
; COMPUTE_PGM_RSRC2:TRAP_HANDLER: 0
; COMPUTE_PGM_RSRC2:TGID_X_EN: 1
; COMPUTE_PGM_RSRC2:TGID_Y_EN: 0
; COMPUTE_PGM_RSRC2:TGID_Z_EN: 1
; COMPUTE_PGM_RSRC2:TIDIG_COMP_CNT: 1
; COMPUTE_PGM_RSRC3_GFX90A:ACCUM_OFFSET: 11
; COMPUTE_PGM_RSRC3_GFX90A:TG_SPLIT: 0
	.section	.text._ZL9moe_vec_qIfLi256ELi8E11block_iq2_sLi1EXadL_ZL18vec_dot_iq2_s_q8_1PKvPK10block_q8_1RKiEEEvS2_S2_PT_PS6_iiii,"axG",@progbits,_ZL9moe_vec_qIfLi256ELi8E11block_iq2_sLi1EXadL_ZL18vec_dot_iq2_s_q8_1PKvPK10block_q8_1RKiEEEvS2_S2_PT_PS6_iiii,comdat
	.globl	_ZL9moe_vec_qIfLi256ELi8E11block_iq2_sLi1EXadL_ZL18vec_dot_iq2_s_q8_1PKvPK10block_q8_1RKiEEEvS2_S2_PT_PS6_iiii ; -- Begin function _ZL9moe_vec_qIfLi256ELi8E11block_iq2_sLi1EXadL_ZL18vec_dot_iq2_s_q8_1PKvPK10block_q8_1RKiEEEvS2_S2_PT_PS6_iiii
	.p2align	8
	.type	_ZL9moe_vec_qIfLi256ELi8E11block_iq2_sLi1EXadL_ZL18vec_dot_iq2_s_q8_1PKvPK10block_q8_1RKiEEEvS2_S2_PT_PS6_iiii,@function
_ZL9moe_vec_qIfLi256ELi8E11block_iq2_sLi1EXadL_ZL18vec_dot_iq2_s_q8_1PKvPK10block_q8_1RKiEEEvS2_S2_PT_PS6_iiii: ; @_ZL9moe_vec_qIfLi256ELi8E11block_iq2_sLi1EXadL_ZL18vec_dot_iq2_s_q8_1PKvPK10block_q8_1RKiEEEvS2_S2_PT_PS6_iiii
; %bb.0:
	s_mov_b32 s8, s3
	s_load_dword s3, s[0:1], 0x3c
	s_load_dwordx4 s[4:7], s[0:1], 0x20
	v_bfe_u32 v1, v0, 10, 10
	s_waitcnt lgkmcnt(0)
	s_lshr_b32 s3, s3, 16
	s_mul_i32 s2, s2, s3
	v_add_u32_e32 v14, s2, v1
	v_cmp_gt_u32_e32 vcc, s6, v14
	s_and_saveexec_b64 s[2:3], vcc
	s_cbranch_execz .LBB253_7
; %bb.1:
	s_load_dwordx2 s[2:3], s[0:1], 0x10
	s_ashr_i32 s9, s5, 31
	s_lshr_b32 s9, s9, 24
	s_add_i32 s5, s5, s9
	v_and_b32_e32 v15, 0x3ff, v0
	s_ashr_i32 s12, s5, 8
	v_lshrrev_b32_e32 v16, 3, v15
	v_cmp_gt_u32_e32 vcc, s12, v16
	v_mov_b32_e32 v17, 0
	s_and_saveexec_b64 s[10:11], vcc
	s_cbranch_execz .LBB253_5
; %bb.2:
	s_load_dwordx2 s[14:15], s[0:1], 0x18
	v_cvt_f32_u32_e32 v0, s4
	s_mov_b32 s9, 0
	s_lshl_b64 s[16:17], s[8:9], 2
	v_mov_b32_e32 v1, 0
	s_waitcnt lgkmcnt(0)
	s_add_u32 s14, s14, s16
	v_rcp_iflag_f32_e32 v0, v0
	s_addc_u32 s15, s15, s17
	s_load_dword s5, s[14:15], 0x0
	s_load_dwordx4 s[16:19], s[0:1], 0x0
	s_mul_i32 s0, s12, s6
	v_mul_f32_e32 v0, 0x4f7ffffe, v0
	v_cvt_u32_f32_e32 v0, v0
	s_waitcnt lgkmcnt(0)
	s_mul_i32 s0, s0, s5
	s_mul_hi_i32 s1, s0, 0x52
	s_mulk_i32 s0, 0x52
	s_add_u32 s0, s16, s0
	s_addc_u32 s1, s17, s1
	s_sub_i32 s5, 0, s4
	v_readfirstlane_b32 s14, v0
	s_mul_i32 s5, s5, s14
	s_mul_hi_u32 s5, s14, s5
	s_add_i32 s14, s14, s5
	s_mul_hi_u32 s5, s8, s14
	s_mul_i32 s14, s5, s4
	s_sub_i32 s14, s8, s14
	s_add_i32 s15, s5, 1
	s_sub_i32 s16, s14, s4
	s_cmp_ge_u32 s14, s4
	s_cselect_b32 s5, s15, s5
	s_cselect_b32 s14, s16, s14
	s_add_i32 s15, s5, 1
	s_cmp_ge_u32 s14, s4
	s_cselect_b32 s4, s15, s5
	s_mul_i32 s4, s4, s7
	s_mov_b32 s5, s9
	s_lshl_b64 s[4:5], s[4:5], 2
	s_add_u32 s4, s18, s4
	s_addc_u32 s5, s19, s5
	v_and_b32_e32 v0, 7, v15
	v_mad_u64_u32 v[2:3], s[4:5], v0, 36, s[4:5]
	s_movk_i32 s13, 0x52
	v_mul_lo_u32 v18, v14, s12
	v_lshlrev_b32_e32 v4, 2, v0
	v_mov_b32_e32 v5, v1
	v_lshlrev_b32_e32 v19, 3, v16
	s_mov_b64 s[4:5], 0
	v_mov_b64_e32 v[6:7], s[0:1]
	s_movk_i32 s7, 0x300
	s_mov_b32 s9, 0x1010101
	s_mov_b32 s14, 0x1000000
	v_mov_b32_e32 v20, 0xff0000
	v_mov_b32_e32 v21, 0xff00
	;; [unrolled: 1-line block ×3, first 2 shown]
	s_mov_b32 s15, 0xc060c00
	v_mov_b32_e32 v23, 4
	v_mov_b32_e32 v17, v1
.LBB253_3:                              ; =>This Inner Loop Header: Depth=1
	v_add_u32_e32 v8, v18, v16
	v_mad_i64_i32 v[8:9], s[16:17], v8, s13, v[6:7]
	v_lshl_add_u64 v[10:11], v[8:9], 0, v[4:5]
	v_lshl_add_u64 v[12:13], v[8:9], 0, v[0:1]
	global_load_ushort v28, v[8:9], off
	global_load_dword v24, v[10:11], off offset:2
	global_load_ubyte v25, v[12:13], off offset:66
	global_load_dword v26, v[10:11], off offset:34
	global_load_ubyte v29, v[12:13], off offset:74
	s_getpc_b64 s[0:1]
	s_add_u32 s0, s0, _ZL9iq2s_grid@rel32@lo+4
	s_addc_u32 s1, s1, _ZL9iq2s_grid@rel32@hi+12
	v_add_u32_e32 v16, 8, v16
	s_waitcnt vmcnt(4)
	v_cvt_f32_f16_e32 v28, v28
	s_waitcnt vmcnt(3)
	v_lshrrev_b32_e32 v8, 24, v24
	v_and_b32_e32 v9, 0xff, v24
	s_waitcnt vmcnt(2)
	v_lshlrev_b32_e32 v10, 8, v25
	s_waitcnt vmcnt(1)
	v_lshrrev_b32_e32 v11, 8, v26
	v_and_b32_e32 v12, 15, v26
	v_lshrrev_b16_e32 v13, 4, v26
	v_bfe_u32 v27, v24, 8, 8
	v_lshlrev_b32_e32 v30, 6, v25
	v_bfe_u32 v31, v26, 8, 4
	v_bfe_u32 v24, v24, 16, 8
	v_lshlrev_b32_e32 v32, 4, v25
	v_bfe_u32 v33, v26, 16, 4
	;; [unrolled: 3-line block ×3, first 2 shown]
	v_lshrrev_b16_sdwa v26, v23, v26 dst_sel:DWORD dst_unused:UNUSED_PAD src0_sel:DWORD src1_sel:BYTE_3
	v_and_or_b32 v9, v10, s7, v9
	v_mul_lo_u32 v10, v12, s9
	v_and_b32_e32 v12, 15, v13
	v_and_or_b32 v13, v30, s7, v27
	v_mul_lo_u32 v27, v31, s9
	v_lshrrev_b16_e32 v11, 4, v11
	v_and_or_b32 v24, v32, s7, v24
	v_mul_lo_u32 v30, v33, s9
	v_mul_lo_u32 v31, v34, s9
	v_and_or_b32 v8, v25, s7, v8
	v_mul_lo_u32 v25, v35, s9
	v_mul_lo_u32 v26, v26, s9
	v_lshlrev_b32_e32 v32, 3, v9
	v_not_b32_e32 v9, v10
	v_and_b32_e32 v10, 0xffff, v12
	v_lshlrev_b32_e32 v33, 3, v13
	v_not_b32_e32 v12, v27
	v_and_b32_e32 v11, 15, v11
	v_lshlrev_b32_e32 v27, 3, v24
	v_not_b32_e32 v13, v30
	v_not_b32_e32 v24, v31
	v_lshlrev_b32_e32 v30, 3, v8
	v_not_b32_e32 v8, v25
	v_not_b32_e32 v25, v26
	v_and_b32_e32 v26, 0x8040201, v9
	v_and_b32_e32 v31, 0x40000, v9
	;; [unrolled: 1-line block ×4, first 2 shown]
	v_mul_lo_u32 v36, v10, s9
	v_and_b32_e32 v37, 0x8040201, v12
	v_and_b32_e32 v38, 0x40000, v12
	;; [unrolled: 1-line block ×21, first 2 shown]
	global_load_dwordx2 v[8:9], v32, s[0:1]
	global_load_dwordx2 v[10:11], v33, s[0:1]
	;; [unrolled: 1-line block ×4, first 2 shown]
	v_cmp_gt_u32_e32 vcc, s14, v26
	v_not_b32_e32 v32, v36
	s_nop 0
	v_cndmask_b32_e64 v26, 0, -1, vcc
	v_cmp_eq_u32_e32 vcc, 0, v31
	v_lshlrev_b32_e32 v26, 24, v26
	s_nop 0
	v_cndmask_b32_e32 v27, 0, v20, vcc
	v_cmp_eq_u32_e32 vcc, 0, v34
	s_nop 1
	v_cndmask_b32_e32 v30, 0, v21, vcc
	v_cmp_eq_u32_e32 vcc, 0, v35
	s_nop 1
	v_cndmask_b32_e32 v31, 0, v22, vcc
	v_cmp_gt_u32_e32 vcc, s14, v37
	v_mul_lo_u32 v37, v41, s9
	v_not_b32_e32 v37, v37
	v_cndmask_b32_e64 v33, 0, -1, vcc
	v_cmp_eq_u32_e32 vcc, 0, v38
	v_and_b32_e32 v59, 0x8040201, v37
	v_and_b32_e32 v60, 0x40000, v37
	v_cndmask_b32_e32 v34, 0, v20, vcc
	v_cmp_eq_u32_e32 vcc, 0, v39
	v_and_b32_e32 v61, 0x200, v37
	v_and_b32_e32 v37, 1, v37
	v_cndmask_b32_e32 v35, 0, v21, vcc
	v_cmp_eq_u32_e32 vcc, 0, v40
	v_cmp_gt_u32_e64 s[0:1], s14, v59
	v_lshlrev_b32_e32 v33, 24, v33
	v_cndmask_b32_e32 v36, 0, v22, vcc
	v_cmp_gt_u32_e32 vcc, s14, v42
	v_cndmask_b32_e64 v59, 0, -1, s[0:1]
	v_cmp_eq_u32_e64 s[0:1], 0, v60
	v_cndmask_b32_e64 v38, 0, -1, vcc
	v_cmp_eq_u32_e32 vcc, 0, v43
	v_cndmask_b32_e64 v60, 0, v20, s[0:1]
	v_cmp_eq_u32_e64 s[0:1], 0, v61
	v_cndmask_b32_e32 v39, 0, v20, vcc
	v_cmp_eq_u32_e32 vcc, 0, v44
	v_cndmask_b32_e64 v61, 0, v21, s[0:1]
	v_or_b32_e32 v58, v35, v36
	v_cndmask_b32_e32 v40, 0, v21, vcc
	v_cmp_eq_u32_e32 vcc, 0, v45
	v_or3_b32 v58, v58, v34, v33
	v_lshlrev_b32_e32 v38, 24, v38
	v_cndmask_b32_e32 v41, 0, v22, vcc
	v_cmp_gt_u32_e32 vcc, s14, v46
	s_waitcnt vmcnt(2)
	v_xor_b32_e32 v10, v58, v10
	v_cndmask_b32_e64 v42, 0, -1, vcc
	v_cmp_eq_u32_e32 vcc, 0, v47
	v_or_b32_e32 v58, v40, v41
	v_lshlrev_b32_e32 v42, 24, v42
	v_cndmask_b32_e32 v43, 0, v20, vcc
	v_cmp_eq_u32_e32 vcc, 0, v48
	v_or3_b32 v58, v58, v39, v38
	s_waitcnt vmcnt(1)
	v_xor_b32_e32 v58, v58, v12
	v_cndmask_b32_e32 v44, 0, v21, vcc
	v_cmp_eq_u32_e32 vcc, 0, v49
	v_sub_u32_e32 v33, v10, v33
	v_sub_u32_e32 v34, v10, v34
	v_cndmask_b32_e32 v45, 0, v22, vcc
	v_cmp_gt_u32_e32 vcc, s14, v50
	v_sub_u32_e32 v35, v10, v35
	v_sub_u32_e32 v36, v10, v36
	v_cndmask_b32_e64 v46, 0, -1, vcc
	v_cmp_eq_u32_e32 vcc, 0, v51
	v_lshlrev_b32_e32 v46, 24, v46
	v_sub_u32_e32 v38, v58, v38
	v_cndmask_b32_e32 v47, 0, v20, vcc
	v_cmp_eq_u32_e32 vcc, 0, v52
	v_sub_u32_e32 v39, v58, v39
	v_sub_u32_e32 v40, v58, v40
	v_cndmask_b32_e32 v48, 0, v21, vcc
	v_cmp_eq_u32_e32 vcc, 0, v53
	v_sub_u32_e32 v41, v58, v41
	v_and_b32_e32 v38, 0xff000000, v38
	v_cndmask_b32_e32 v49, 0, v22, vcc
	v_cmp_gt_u32_e32 vcc, s14, v54
	v_or_b32_e32 v54, v30, v31
	v_or3_b32 v54, v54, v27, v26
	v_cndmask_b32_e64 v50, 0, -1, vcc
	v_cmp_eq_u32_e32 vcc, 0, v55
	v_and_b32_e32 v55, 0x8040201, v32
	v_xor_b32_e32 v8, v54, v8
	v_cndmask_b32_e32 v51, 0, v20, vcc
	v_cmp_eq_u32_e32 vcc, 0, v56
	v_and_b32_e32 v56, 0x40000, v32
	v_lshlrev_b32_e32 v54, 24, v59
	v_cndmask_b32_e32 v52, 0, v21, vcc
	v_cmp_eq_u32_e32 vcc, 0, v57
	v_and_b32_e32 v57, 0x200, v32
	v_and_b32_e32 v32, 1, v32
	v_cndmask_b32_e32 v53, 0, v22, vcc
	v_cmp_gt_u32_e32 vcc, s14, v55
	v_or_b32_e32 v12, v48, v49
	v_lshlrev_b32_e32 v50, 24, v50
	v_cndmask_b32_e64 v55, 0, -1, vcc
	v_cmp_eq_u32_e32 vcc, 0, v56
	v_lshlrev_b32_e32 v55, 24, v55
	v_or3_b32 v12, v12, v47, v46
	v_cndmask_b32_e32 v56, 0, v20, vcc
	v_cmp_eq_u32_e32 vcc, 0, v57
	s_waitcnt vmcnt(0)
	v_xor_b32_e32 v24, v12, v24
	v_sub_u32_e32 v63, v8, v26
	v_cndmask_b32_e32 v57, 0, v21, vcc
	v_cmp_eq_u32_e32 vcc, 0, v32
	v_sub_u32_e32 v64, v8, v27
	v_sub_u32_e32 v30, v8, v30
	v_cndmask_b32_e32 v32, 0, v22, vcc
	v_cmp_eq_u32_e32 vcc, 0, v37
	v_or_b32_e32 v37, v57, v32
	v_or3_b32 v37, v37, v56, v55
	v_xor_b32_e32 v9, v37, v9
	v_cndmask_b32_e32 v37, 0, v22, vcc
	v_or_b32_e32 v59, v61, v37
	v_or3_b32 v59, v59, v60, v54
	v_xor_b32_e32 v11, v59, v11
	v_or_b32_e32 v59, v44, v45
	v_or3_b32 v59, v59, v43, v42
	v_xor_b32_e32 v59, v59, v13
	;; [unrolled: 3-line block ×3, first 2 shown]
	v_mad_i64_i32 v[12:13], s[0:1], v19, 36, v[2:3]
	v_sub_u32_e32 v31, v8, v31
	v_sub_u32_e32 v55, v9, v55
	;; [unrolled: 1-line block ×9, first 2 shown]
	global_load_dwordx4 v[8:11], v[12:13], off
	v_sub_u32_e32 v46, v24, v46
	v_sub_u32_e32 v47, v24, v47
	;; [unrolled: 1-line block ×4, first 2 shown]
	global_load_dwordx4 v[24:27], v[12:13], off offset:16
	global_load_dword v58, v[12:13], off offset:32
	v_sub_u32_e32 v42, v59, v42
	v_sub_u32_e32 v43, v59, v43
	;; [unrolled: 1-line block ×8, first 2 shown]
	v_and_b32_e32 v40, 0xff00, v40
	v_perm_b32 v39, v39, v41, s15
	v_mov_b32_e32 v52, 0
	v_perm_b32 v31, v64, v31, s15
	v_perm_b32 v32, v56, v32, s15
	v_and_b32_e32 v56, 0xff000000, v63
	v_and_b32_e32 v41, 0xff000000, v42
	;; [unrolled: 1-line block ×3, first 2 shown]
	v_perm_b32 v43, v43, v45, s15
	v_and_b32_e32 v44, 0xff000000, v46
	v_perm_b32 v46, v47, v49, s15
	v_and_b32_e32 v12, 0xff000000, v12
	v_and_b32_e32 v47, 0xff00, v50
	v_perm_b32 v13, v13, v51, s15
	v_and_b32_e32 v30, 0xff00, v30
	v_or3_b32 v38, v39, v38, v40
	v_mov_b32_e32 v53, 0
	v_and_b32_e32 v55, 0xff000000, v55
	v_and_b32_e32 v45, 0xff00, v48
	;; [unrolled: 1-line block ×3, first 2 shown]
	v_or3_b32 v39, v43, v41, v42
	v_or3_b32 v12, v13, v12, v47
	;; [unrolled: 1-line block ×3, first 2 shown]
	v_perm_b32 v34, v34, v36, s15
	v_and_b32_e32 v33, 0xff000000, v33
	v_and_b32_e32 v35, 0xff00, v35
	v_or3_b32 v40, v46, v44, v45
	v_or3_b32 v30, v32, v55, v48
	v_and_b32_e32 v54, 0xff000000, v54
	v_perm_b32 v37, v60, v37, s15
	v_and_b32_e32 v49, 0xff00, v61
	v_or3_b32 v31, v34, v33, v35
	v_or3_b32 v32, v37, v54, v49
	v_lshrrev_b16_e32 v36, 4, v29
	v_and_b32_e32 v29, 15, v29
	v_cvt_f32_ubyte0_e32 v36, v36
	v_cvt_f32_ubyte0_e32 v29, v29
	v_add_f32_e32 v36, 0.5, v36
	v_add_f32_e32 v29, 0.5, v29
	v_cmp_le_u32_e32 vcc, s12, v16
	v_add_u32_e32 v19, 64, v19
	s_or_b64 s[4:5], vcc, s[4:5]
	s_waitcnt vmcnt(2)
	v_dot4c_i32_i8_e32 v53, v13, v9
	v_dot4c_i32_i8_e32 v53, v30, v10
	v_dot4c_i32_i8_e32 v53, v31, v11
	v_cvt_f32_f16_e32 v8, v8
	s_waitcnt vmcnt(1)
	v_dot4c_i32_i8_e32 v52, v38, v25
	v_dot4c_i32_i8_e32 v52, v39, v26
	;; [unrolled: 1-line block ×3, first 2 shown]
	s_waitcnt vmcnt(0)
	v_dot4c_i32_i8_e32 v52, v12, v58
	v_dot4c_i32_i8_e32 v53, v32, v24
	v_mul_f32_e32 v8, v28, v8
	v_mul_f32_e32 v8, 0x3e800000, v8
	v_cvt_f32_i32_e32 v9, v52
	v_cvt_f32_i32_e32 v10, v53
	v_mul_f32_e32 v9, v36, v9
	v_fmac_f32_e32 v9, v29, v10
	v_fmac_f32_e32 v17, v8, v9
	s_andn2_b64 exec, exec, s[4:5]
	s_cbranch_execnz .LBB253_3
; %bb.4:
	s_or_b64 exec, exec, s[4:5]
.LBB253_5:
	s_or_b64 exec, exec, s[10:11]
	v_mbcnt_lo_u32_b32 v0, -1, 0
	v_mbcnt_hi_u32_b32 v1, -1, v0
	v_and_b32_e32 v0, 64, v1
	v_add_u32_e32 v2, 64, v0
	v_xor_b32_e32 v0, 32, v1
	v_cmp_lt_i32_e32 vcc, v0, v2
	v_xor_b32_e32 v3, 16, v1
	v_xor_b32_e32 v4, 8, v1
	v_cndmask_b32_e32 v0, v1, v0, vcc
	v_lshlrev_b32_e32 v0, 2, v0
	ds_bpermute_b32 v0, v0, v17
	v_cmp_lt_i32_e32 vcc, v3, v2
	s_waitcnt lgkmcnt(0)
	v_add_f32_e32 v0, v17, v0
	v_cndmask_b32_e32 v3, v1, v3, vcc
	v_lshlrev_b32_e32 v3, 2, v3
	ds_bpermute_b32 v3, v3, v0
	v_cmp_lt_i32_e32 vcc, v4, v2
	s_waitcnt lgkmcnt(0)
	v_add_f32_e32 v0, v0, v3
	v_cndmask_b32_e32 v3, v1, v4, vcc
	v_lshlrev_b32_e32 v3, 2, v3
	ds_bpermute_b32 v3, v3, v0
	v_xor_b32_e32 v4, 4, v1
	v_cmp_lt_i32_e32 vcc, v4, v2
	s_waitcnt lgkmcnt(0)
	v_add_f32_e32 v0, v0, v3
	v_cndmask_b32_e32 v3, v1, v4, vcc
	v_lshlrev_b32_e32 v3, 2, v3
	ds_bpermute_b32 v3, v3, v0
	v_xor_b32_e32 v4, 2, v1
	;; [unrolled: 7-line block ×3, first 2 shown]
	v_cmp_lt_i32_e32 vcc, v4, v2
	s_waitcnt lgkmcnt(0)
	v_add_f32_e32 v0, v0, v3
	v_cndmask_b32_e32 v1, v1, v4, vcc
	v_lshlrev_b32_e32 v1, 2, v1
	ds_bpermute_b32 v1, v1, v0
	v_cmp_eq_u32_e32 vcc, 0, v15
	s_and_b64 exec, exec, vcc
	s_cbranch_execz .LBB253_7
; %bb.6:
	s_mul_i32 s0, s8, s6
	s_waitcnt lgkmcnt(0)
	v_add_f32_e32 v2, v0, v1
	v_add_u32_e32 v0, s0, v14
	v_mov_b32_e32 v1, 0
	v_lshl_add_u64 v[0:1], v[0:1], 2, s[2:3]
	global_store_dword v[0:1], v2, off
.LBB253_7:
	s_endpgm
	.section	.rodata,"a",@progbits
	.p2align	6, 0x0
	.amdhsa_kernel _ZL9moe_vec_qIfLi256ELi8E11block_iq2_sLi1EXadL_ZL18vec_dot_iq2_s_q8_1PKvPK10block_q8_1RKiEEEvS2_S2_PT_PS6_iiii
		.amdhsa_group_segment_fixed_size 0
		.amdhsa_private_segment_fixed_size 0
		.amdhsa_kernarg_size 304
		.amdhsa_user_sgpr_count 2
		.amdhsa_user_sgpr_dispatch_ptr 0
		.amdhsa_user_sgpr_queue_ptr 0
		.amdhsa_user_sgpr_kernarg_segment_ptr 1
		.amdhsa_user_sgpr_dispatch_id 0
		.amdhsa_user_sgpr_kernarg_preload_length 0
		.amdhsa_user_sgpr_kernarg_preload_offset 0
		.amdhsa_user_sgpr_private_segment_size 0
		.amdhsa_uses_dynamic_stack 0
		.amdhsa_enable_private_segment 0
		.amdhsa_system_sgpr_workgroup_id_x 1
		.amdhsa_system_sgpr_workgroup_id_y 0
		.amdhsa_system_sgpr_workgroup_id_z 1
		.amdhsa_system_sgpr_workgroup_info 0
		.amdhsa_system_vgpr_workitem_id 1
		.amdhsa_next_free_vgpr 65
		.amdhsa_next_free_sgpr 20
		.amdhsa_accum_offset 68
		.amdhsa_reserve_vcc 1
		.amdhsa_float_round_mode_32 0
		.amdhsa_float_round_mode_16_64 0
		.amdhsa_float_denorm_mode_32 3
		.amdhsa_float_denorm_mode_16_64 3
		.amdhsa_dx10_clamp 1
		.amdhsa_ieee_mode 1
		.amdhsa_fp16_overflow 0
		.amdhsa_tg_split 0
		.amdhsa_exception_fp_ieee_invalid_op 0
		.amdhsa_exception_fp_denorm_src 0
		.amdhsa_exception_fp_ieee_div_zero 0
		.amdhsa_exception_fp_ieee_overflow 0
		.amdhsa_exception_fp_ieee_underflow 0
		.amdhsa_exception_fp_ieee_inexact 0
		.amdhsa_exception_int_div_zero 0
	.end_amdhsa_kernel
	.section	.text._ZL9moe_vec_qIfLi256ELi8E11block_iq2_sLi1EXadL_ZL18vec_dot_iq2_s_q8_1PKvPK10block_q8_1RKiEEEvS2_S2_PT_PS6_iiii,"axG",@progbits,_ZL9moe_vec_qIfLi256ELi8E11block_iq2_sLi1EXadL_ZL18vec_dot_iq2_s_q8_1PKvPK10block_q8_1RKiEEEvS2_S2_PT_PS6_iiii,comdat
.Lfunc_end253:
	.size	_ZL9moe_vec_qIfLi256ELi8E11block_iq2_sLi1EXadL_ZL18vec_dot_iq2_s_q8_1PKvPK10block_q8_1RKiEEEvS2_S2_PT_PS6_iiii, .Lfunc_end253-_ZL9moe_vec_qIfLi256ELi8E11block_iq2_sLi1EXadL_ZL18vec_dot_iq2_s_q8_1PKvPK10block_q8_1RKiEEEvS2_S2_PT_PS6_iiii
                                        ; -- End function
	.section	.AMDGPU.csdata,"",@progbits
; Kernel info:
; codeLenInByte = 2344
; NumSgprs: 26
; NumVgprs: 65
; NumAgprs: 0
; TotalNumVgprs: 65
; ScratchSize: 0
; MemoryBound: 0
; FloatMode: 240
; IeeeMode: 1
; LDSByteSize: 0 bytes/workgroup (compile time only)
; SGPRBlocks: 3
; VGPRBlocks: 8
; NumSGPRsForWavesPerEU: 26
; NumVGPRsForWavesPerEU: 65
; AccumOffset: 68
; Occupancy: 7
; WaveLimiterHint : 1
; COMPUTE_PGM_RSRC2:SCRATCH_EN: 0
; COMPUTE_PGM_RSRC2:USER_SGPR: 2
; COMPUTE_PGM_RSRC2:TRAP_HANDLER: 0
; COMPUTE_PGM_RSRC2:TGID_X_EN: 1
; COMPUTE_PGM_RSRC2:TGID_Y_EN: 0
; COMPUTE_PGM_RSRC2:TGID_Z_EN: 1
; COMPUTE_PGM_RSRC2:TIDIG_COMP_CNT: 1
; COMPUTE_PGM_RSRC3_GFX90A:ACCUM_OFFSET: 16
; COMPUTE_PGM_RSRC3_GFX90A:TG_SPLIT: 0
	.section	.text._ZL9moe_vec_qIfLi256ELi8E12block_iq4_xsLi1EXadL_ZL19vec_dot_iq4_xs_q8_1PKvPK10block_q8_1RKiEEEvS2_S2_PT_PS6_iiii,"axG",@progbits,_ZL9moe_vec_qIfLi256ELi8E12block_iq4_xsLi1EXadL_ZL19vec_dot_iq4_xs_q8_1PKvPK10block_q8_1RKiEEEvS2_S2_PT_PS6_iiii,comdat
	.globl	_ZL9moe_vec_qIfLi256ELi8E12block_iq4_xsLi1EXadL_ZL19vec_dot_iq4_xs_q8_1PKvPK10block_q8_1RKiEEEvS2_S2_PT_PS6_iiii ; -- Begin function _ZL9moe_vec_qIfLi256ELi8E12block_iq4_xsLi1EXadL_ZL19vec_dot_iq4_xs_q8_1PKvPK10block_q8_1RKiEEEvS2_S2_PT_PS6_iiii
	.p2align	8
	.type	_ZL9moe_vec_qIfLi256ELi8E12block_iq4_xsLi1EXadL_ZL19vec_dot_iq4_xs_q8_1PKvPK10block_q8_1RKiEEEvS2_S2_PT_PS6_iiii,@function
_ZL9moe_vec_qIfLi256ELi8E12block_iq4_xsLi1EXadL_ZL19vec_dot_iq4_xs_q8_1PKvPK10block_q8_1RKiEEEvS2_S2_PT_PS6_iiii: ; @_ZL9moe_vec_qIfLi256ELi8E12block_iq4_xsLi1EXadL_ZL19vec_dot_iq4_xs_q8_1PKvPK10block_q8_1RKiEEEvS2_S2_PT_PS6_iiii
; %bb.0:
	s_mov_b32 s8, s3
	s_load_dword s3, s[0:1], 0x3c
	s_load_dwordx4 s[4:7], s[0:1], 0x20
	v_bfe_u32 v1, v0, 10, 10
	s_waitcnt lgkmcnt(0)
	s_lshr_b32 s3, s3, 16
	s_mul_i32 s2, s2, s3
	v_add_u32_e32 v18, s2, v1
	v_cmp_gt_u32_e32 vcc, s6, v18
	s_and_saveexec_b64 s[2:3], vcc
	s_cbranch_execz .LBB254_7
; %bb.1:
	s_load_dwordx2 s[2:3], s[0:1], 0x10
	s_ashr_i32 s9, s5, 31
	s_lshr_b32 s9, s9, 24
	s_add_i32 s5, s5, s9
	v_and_b32_e32 v19, 0x3ff, v0
	s_ashr_i32 s12, s5, 8
	v_lshrrev_b32_e32 v20, 3, v19
	v_cmp_gt_u32_e32 vcc, s12, v20
	v_mov_b32_e32 v21, 0
	s_and_saveexec_b64 s[10:11], vcc
	s_cbranch_execz .LBB254_5
; %bb.2:
	s_load_dwordx2 s[14:15], s[0:1], 0x18
	v_cvt_f32_u32_e32 v0, s4
	s_mov_b32 s9, 0
	s_lshl_b64 s[16:17], s[8:9], 2
	v_and_b32_e32 v1, 7, v19
	s_waitcnt lgkmcnt(0)
	s_add_u32 s14, s14, s16
	v_rcp_iflag_f32_e32 v0, v0
	s_addc_u32 s15, s15, s17
	s_load_dword s5, s[14:15], 0x0
	s_load_dwordx4 s[16:19], s[0:1], 0x0
	s_mul_i32 s0, s12, s6
	v_mul_f32_e32 v0, 0x4f7ffffe, v0
	v_cvt_u32_f32_e32 v0, v0
	s_waitcnt lgkmcnt(0)
	s_mul_i32 s0, s0, s5
	s_mul_hi_i32 s1, s0, 0x88
	s_mulk_i32 s0, 0x88
	s_add_u32 s14, s16, s0
	s_addc_u32 s15, s17, s1
	s_sub_i32 s0, 0, s4
	v_readfirstlane_b32 s1, v0
	s_mul_i32 s0, s0, s1
	s_mul_hi_u32 s0, s1, s0
	s_add_i32 s1, s1, s0
	s_mul_hi_u32 s0, s8, s1
	s_mul_i32 s1, s0, s4
	s_sub_i32 s1, s8, s1
	s_add_i32 s5, s0, 1
	s_sub_i32 s16, s1, s4
	s_cmp_ge_u32 s1, s4
	s_cselect_b32 s0, s5, s0
	s_cselect_b32 s1, s16, s1
	s_add_i32 s5, s0, 1
	s_cmp_ge_u32 s1, s4
	s_cselect_b32 s0, s5, s0
	s_mul_i32 s0, s0, s7
	s_mov_b32 s1, s9
	s_lshl_b64 s[0:1], s[0:1], 2
	s_add_u32 s0, s18, s0
	s_addc_u32 s1, s19, s1
	v_mad_u64_u32 v[8:9], s[0:1], v1, 36, s[0:1]
	v_lshlrev_b32_e32 v0, 2, v1
	v_mov_b32_e32 v11, 0
	v_lshlrev_b32_e32 v2, 2, v19
	s_movk_i32 s13, 0x88
	v_mul_lo_u32 v22, v18, s12
	v_bfe_u32 v10, v19, 1, 2
	v_and_b32_e32 v23, 4, v2
	v_lshlrev_b32_e32 v24, 1, v1
	v_lshlrev_b32_e32 v25, 3, v20
	s_mov_b64 s[0:1], 0
	v_mov_b64_e32 v[12:13], s[14:15]
	v_lshlrev_b32_e32 v14, 2, v0
	v_mov_b32_e32 v15, v11
	v_mov_b32_e32 v21, v11
.LBB254_3:                              ; =>This Inner Loop Header: Depth=1
	v_add_u32_e32 v0, v22, v20
	v_mad_i64_i32 v[26:27], s[14:15], v0, s13, v[12:13]
	v_lshl_add_u64 v[28:29], v[26:27], 0, v[14:15]
	v_mad_i64_i32 v[16:17], s[4:5], v25, 36, v[8:9]
	v_lshl_add_u64 v[30:31], v[26:27], 0, v[10:11]
	global_load_dwordx4 v[4:7], v[28:29], off offset:8
	global_load_ubyte v32, v[30:31], off offset:4
	global_load_dwordx4 v[0:3], v[16:17], off
	s_getpc_b64 s[4:5]
	s_add_u32 s4, s4, _ZL13kvalues_iq4nl@rel32@lo+4
	s_addc_u32 s5, s5, _ZL13kvalues_iq4nl@rel32@hi+12
	v_add_u32_e32 v20, 8, v20
	v_cmp_le_u32_e32 vcc, s12, v20
	v_add_u32_e32 v25, 64, v25
	s_or_b64 s[0:1], vcc, s[0:1]
	s_waitcnt vmcnt(2)
	v_bfe_u32 v28, v4, 24, 4
	v_and_b32_e32 v29, 15, v4
	v_bfe_u32 v30, v4, 8, 4
	v_bfe_u32 v31, v4, 16, 4
	v_bfe_u32 v33, v4, 20, 4
	v_lshrrev_b32_e32 v34, 28, v4
	v_bfe_u32 v35, v4, 4, 4
	v_bfe_u32 v36, v4, 12, 4
	v_bfe_u32 v37, v5, 24, 4
	v_and_b32_e32 v38, 15, v5
	v_bfe_u32 v39, v5, 8, 4
	v_bfe_u32 v40, v5, 16, 4
	v_bfe_u32 v41, v5, 20, 4
	v_lshrrev_b32_e32 v42, 28, v5
	v_bfe_u32 v43, v5, 4, 4
	v_bfe_u32 v44, v5, 12, 4
	;; [unrolled: 8-line block ×3, first 2 shown]
	v_bfe_u32 v53, v7, 24, 4
	v_bfe_u32 v55, v7, 8, 4
	;; [unrolled: 1-line block ×5, first 2 shown]
	v_and_b32_e32 v54, 15, v7
	v_lshrrev_b32_e32 v58, 28, v7
	v_bfe_u32 v59, v7, 4, 4
	global_load_dwordx4 v[4:7], v[16:17], off offset:16
	global_load_dword v61, v[26:27], off
	global_load_ubyte v62, v36, s[4:5]
	global_load_ubyte v63, v30, s[4:5]
                                        ; kill: killed $vgpr26_vgpr27
                                        ; kill: killed $vgpr36
                                        ; kill: killed $vgpr30
	s_nop 0
	global_load_ubyte v26, v31, s[4:5]
	global_load_ubyte v27, v33, s[4:5]
	global_load_ubyte v30, v35, s[4:5]
	global_load_ubyte v36, v34, s[4:5]
                                        ; kill: killed $vgpr34
                                        ; kill: killed $vgpr33
                                        ; kill: killed $vgpr31
                                        ; kill: killed $vgpr35
	s_nop 0
	global_load_ubyte v31, v29, s[4:5]
	global_load_ubyte v33, v28, s[4:5]
	;; [unrolled: 1-line block ×4, first 2 shown]
                                        ; kill: killed $vgpr39
                                        ; kill: killed $vgpr29
                                        ; kill: killed $vgpr28
                                        ; kill: killed $vgpr44
	s_nop 0
	global_load_ubyte v28, v40, s[4:5]
	global_load_ubyte v29, v41, s[4:5]
	;; [unrolled: 1-line block ×4, first 2 shown]
                                        ; kill: killed $vgpr43
                                        ; kill: killed $vgpr41
                                        ; kill: killed $vgpr40
                                        ; kill: killed $vgpr42
	s_nop 0
	global_load_ubyte v40, v38, s[4:5]
	global_load_ubyte v41, v37, s[4:5]
	;; [unrolled: 1-line block ×4, first 2 shown]
                                        ; kill: killed $vgpr37
                                        ; kill: killed $vgpr47
                                        ; kill: killed $vgpr38
                                        ; kill: killed $vgpr52
	s_nop 0
	global_load_ubyte v37, v48, s[4:5]
	global_load_ubyte v38, v49, s[4:5]
	;; [unrolled: 1-line block ×4, first 2 shown]
                                        ; kill: killed $vgpr51
                                        ; kill: killed $vgpr49
                                        ; kill: killed $vgpr48
                                        ; kill: killed $vgpr50
	s_nop 0
	global_load_ubyte v48, v46, s[4:5]
	global_load_ubyte v49, v45, s[4:5]
	;; [unrolled: 1-line block ×4, first 2 shown]
                                        ; kill: killed $vgpr45
                                        ; kill: killed $vgpr55
                                        ; kill: killed $vgpr46
                                        ; kill: killed $vgpr60
	s_nop 0
	global_load_ubyte v45, v56, s[4:5]
	global_load_ubyte v46, v57, s[4:5]
	;; [unrolled: 1-line block ×4, first 2 shown]
                                        ; kill: killed $vgpr53
                                        ; kill: killed $vgpr57
                                        ; kill: killed $vgpr56
                                        ; kill: killed $vgpr58
	s_nop 0
	global_load_ubyte v53, v54, s[4:5]
	global_load_ubyte v56, v59, s[4:5]
	global_load_dword v57, v[16:17], off offset:32
	v_mov_b32_e32 v16, 0
	v_mov_b32_e32 v17, 0
	s_waitcnt vmcnt(36)
	v_bfe_u32 v32, v32, v23, 4
	s_waitcnt vmcnt(35)
	v_cvt_f32_f16_e32 v0, v0
	s_waitcnt vmcnt(33)
	v_lshrrev_b32_sdwa v54, v24, v61 dst_sel:DWORD dst_unused:UNUSED_PAD src0_sel:DWORD src1_sel:WORD_1
	v_lshlrev_b32_e32 v54, 4, v54
	v_and_or_b32 v32, v54, 48, v32
	v_subrev_u32_e32 v32, 32, v32
	v_cvt_f32_f16_e32 v54, v61
	v_cvt_f32_i32_e32 v32, v32
	s_waitcnt vmcnt(30)
	v_lshlrev_b32_e32 v26, 16, v26
	s_waitcnt vmcnt(29)
	v_lshlrev_b32_e32 v27, 16, v27
	s_waitcnt vmcnt(28)
	v_lshl_or_b32 v30, v62, 8, v30
	s_waitcnt vmcnt(27)
	v_lshlrev_b32_e32 v36, 24, v36
	v_or3_b32 v27, v30, v27, v36
	v_dot4c_i32_i8_e32 v17, v27, v5
	s_waitcnt vmcnt(26)
	v_lshl_or_b32 v31, v63, 8, v31
	s_waitcnt vmcnt(25)
	v_lshlrev_b32_e32 v33, 24, v33
	v_or3_b32 v26, v31, v26, v33
	v_dot4c_i32_i8_e32 v16, v26, v1
	s_waitcnt vmcnt(22)
	v_lshlrev_b32_e32 v28, 16, v28
	s_waitcnt vmcnt(21)
	v_lshlrev_b32_e32 v29, 16, v29
	s_waitcnt vmcnt(20)
	v_lshl_or_b32 v34, v34, 8, v39
	s_waitcnt vmcnt(18)
	v_lshl_or_b32 v35, v35, 8, v40
	s_waitcnt vmcnt(17)
	v_lshlrev_b32_e32 v41, 24, v41
	v_lshlrev_b32_e32 v40, 24, v44
	v_or3_b32 v28, v35, v28, v41
	v_or3_b32 v29, v34, v29, v40
	v_dot4c_i32_i8_e32 v16, v28, v2
	v_dot4c_i32_i8_e32 v17, v29, v6
	v_mul_f32_e32 v2, v54, v32
	s_waitcnt vmcnt(14)
	v_lshlrev_b32_e32 v37, 16, v37
	s_waitcnt vmcnt(13)
	v_lshlrev_b32_e32 v38, 16, v38
	s_waitcnt vmcnt(12)
	v_lshl_or_b32 v42, v42, 8, v47
	s_waitcnt vmcnt(11)
	v_lshlrev_b32_e32 v44, 24, v52
	v_or3_b32 v31, v42, v38, v44
	v_dot4c_i32_i8_e32 v17, v31, v7
	v_mul_f32_e32 v0, v2, v0
	s_waitcnt vmcnt(10)
	v_lshl_or_b32 v43, v43, 8, v48
	s_waitcnt vmcnt(9)
	v_lshlrev_b32_e32 v39, 24, v49
	v_or3_b32 v30, v43, v37, v39
	v_dot4c_i32_i8_e32 v16, v30, v3
	s_waitcnt vmcnt(6)
	v_lshlrev_b32_e32 v45, 16, v45
	s_waitcnt vmcnt(5)
	v_lshlrev_b32_e32 v46, 16, v46
	;; [unrolled: 2-line block ×4, first 2 shown]
	s_waitcnt vmcnt(2)
	v_lshl_or_b32 v48, v51, 8, v53
	s_waitcnt vmcnt(1)
	v_lshl_or_b32 v50, v50, 8, v56
	v_or3_b32 v33, v48, v45, v47
	v_or3_b32 v34, v50, v46, v49
	v_dot4c_i32_i8_e32 v16, v33, v4
	s_waitcnt vmcnt(0)
	v_dot4c_i32_i8_e32 v17, v34, v57
	s_nop 2
	v_add_u32_e32 v1, v17, v16
	v_cvt_f32_i32_e32 v1, v1
	v_fmac_f32_e32 v21, v0, v1
	s_andn2_b64 exec, exec, s[0:1]
	s_cbranch_execnz .LBB254_3
; %bb.4:
	s_or_b64 exec, exec, s[0:1]
.LBB254_5:
	s_or_b64 exec, exec, s[10:11]
	v_mbcnt_lo_u32_b32 v0, -1, 0
	v_mbcnt_hi_u32_b32 v1, -1, v0
	v_and_b32_e32 v0, 64, v1
	v_add_u32_e32 v2, 64, v0
	v_xor_b32_e32 v0, 32, v1
	v_cmp_lt_i32_e32 vcc, v0, v2
	v_xor_b32_e32 v3, 16, v1
	v_xor_b32_e32 v4, 8, v1
	v_cndmask_b32_e32 v0, v1, v0, vcc
	v_lshlrev_b32_e32 v0, 2, v0
	ds_bpermute_b32 v0, v0, v21
	v_cmp_lt_i32_e32 vcc, v3, v2
	s_waitcnt lgkmcnt(0)
	v_add_f32_e32 v0, v21, v0
	v_cndmask_b32_e32 v3, v1, v3, vcc
	v_lshlrev_b32_e32 v3, 2, v3
	ds_bpermute_b32 v3, v3, v0
	v_cmp_lt_i32_e32 vcc, v4, v2
	s_waitcnt lgkmcnt(0)
	v_add_f32_e32 v0, v0, v3
	v_cndmask_b32_e32 v3, v1, v4, vcc
	v_lshlrev_b32_e32 v3, 2, v3
	ds_bpermute_b32 v3, v3, v0
	v_xor_b32_e32 v4, 4, v1
	v_cmp_lt_i32_e32 vcc, v4, v2
	s_waitcnt lgkmcnt(0)
	v_add_f32_e32 v0, v0, v3
	v_cndmask_b32_e32 v3, v1, v4, vcc
	v_lshlrev_b32_e32 v3, 2, v3
	ds_bpermute_b32 v3, v3, v0
	v_xor_b32_e32 v4, 2, v1
	;; [unrolled: 7-line block ×3, first 2 shown]
	v_cmp_lt_i32_e32 vcc, v4, v2
	s_waitcnt lgkmcnt(0)
	v_add_f32_e32 v0, v0, v3
	v_cndmask_b32_e32 v1, v1, v4, vcc
	v_lshlrev_b32_e32 v1, 2, v1
	ds_bpermute_b32 v1, v1, v0
	v_cmp_eq_u32_e32 vcc, 0, v19
	s_and_b64 exec, exec, vcc
	s_cbranch_execz .LBB254_7
; %bb.6:
	s_mul_i32 s0, s8, s6
	s_waitcnt lgkmcnt(0)
	v_add_f32_e32 v2, v0, v1
	v_add_u32_e32 v0, s0, v18
	v_mov_b32_e32 v1, 0
	v_lshl_add_u64 v[0:1], v[0:1], 2, s[2:3]
	global_store_dword v[0:1], v2, off
.LBB254_7:
	s_endpgm
	.section	.rodata,"a",@progbits
	.p2align	6, 0x0
	.amdhsa_kernel _ZL9moe_vec_qIfLi256ELi8E12block_iq4_xsLi1EXadL_ZL19vec_dot_iq4_xs_q8_1PKvPK10block_q8_1RKiEEEvS2_S2_PT_PS6_iiii
		.amdhsa_group_segment_fixed_size 0
		.amdhsa_private_segment_fixed_size 0
		.amdhsa_kernarg_size 304
		.amdhsa_user_sgpr_count 2
		.amdhsa_user_sgpr_dispatch_ptr 0
		.amdhsa_user_sgpr_queue_ptr 0
		.amdhsa_user_sgpr_kernarg_segment_ptr 1
		.amdhsa_user_sgpr_dispatch_id 0
		.amdhsa_user_sgpr_kernarg_preload_length 0
		.amdhsa_user_sgpr_kernarg_preload_offset 0
		.amdhsa_user_sgpr_private_segment_size 0
		.amdhsa_uses_dynamic_stack 0
		.amdhsa_enable_private_segment 0
		.amdhsa_system_sgpr_workgroup_id_x 1
		.amdhsa_system_sgpr_workgroup_id_y 0
		.amdhsa_system_sgpr_workgroup_id_z 1
		.amdhsa_system_sgpr_workgroup_info 0
		.amdhsa_system_vgpr_workitem_id 1
		.amdhsa_next_free_vgpr 64
		.amdhsa_next_free_sgpr 20
		.amdhsa_accum_offset 64
		.amdhsa_reserve_vcc 1
		.amdhsa_float_round_mode_32 0
		.amdhsa_float_round_mode_16_64 0
		.amdhsa_float_denorm_mode_32 3
		.amdhsa_float_denorm_mode_16_64 3
		.amdhsa_dx10_clamp 1
		.amdhsa_ieee_mode 1
		.amdhsa_fp16_overflow 0
		.amdhsa_tg_split 0
		.amdhsa_exception_fp_ieee_invalid_op 0
		.amdhsa_exception_fp_denorm_src 0
		.amdhsa_exception_fp_ieee_div_zero 0
		.amdhsa_exception_fp_ieee_overflow 0
		.amdhsa_exception_fp_ieee_underflow 0
		.amdhsa_exception_fp_ieee_inexact 0
		.amdhsa_exception_int_div_zero 0
	.end_amdhsa_kernel
	.section	.text._ZL9moe_vec_qIfLi256ELi8E12block_iq4_xsLi1EXadL_ZL19vec_dot_iq4_xs_q8_1PKvPK10block_q8_1RKiEEEvS2_S2_PT_PS6_iiii,"axG",@progbits,_ZL9moe_vec_qIfLi256ELi8E12block_iq4_xsLi1EXadL_ZL19vec_dot_iq4_xs_q8_1PKvPK10block_q8_1RKiEEEvS2_S2_PT_PS6_iiii,comdat
.Lfunc_end254:
	.size	_ZL9moe_vec_qIfLi256ELi8E12block_iq4_xsLi1EXadL_ZL19vec_dot_iq4_xs_q8_1PKvPK10block_q8_1RKiEEEvS2_S2_PT_PS6_iiii, .Lfunc_end254-_ZL9moe_vec_qIfLi256ELi8E12block_iq4_xsLi1EXadL_ZL19vec_dot_iq4_xs_q8_1PKvPK10block_q8_1RKiEEEvS2_S2_PT_PS6_iiii
                                        ; -- End function
	.section	.AMDGPU.csdata,"",@progbits
; Kernel info:
; codeLenInByte = 1684
; NumSgprs: 26
; NumVgprs: 64
; NumAgprs: 0
; TotalNumVgprs: 64
; ScratchSize: 0
; MemoryBound: 0
; FloatMode: 240
; IeeeMode: 1
; LDSByteSize: 0 bytes/workgroup (compile time only)
; SGPRBlocks: 3
; VGPRBlocks: 7
; NumSGPRsForWavesPerEU: 26
; NumVGPRsForWavesPerEU: 64
; AccumOffset: 64
; Occupancy: 8
; WaveLimiterHint : 1
; COMPUTE_PGM_RSRC2:SCRATCH_EN: 0
; COMPUTE_PGM_RSRC2:USER_SGPR: 2
; COMPUTE_PGM_RSRC2:TRAP_HANDLER: 0
; COMPUTE_PGM_RSRC2:TGID_X_EN: 1
; COMPUTE_PGM_RSRC2:TGID_Y_EN: 0
; COMPUTE_PGM_RSRC2:TGID_Z_EN: 1
; COMPUTE_PGM_RSRC2:TIDIG_COMP_CNT: 1
; COMPUTE_PGM_RSRC3_GFX90A:ACCUM_OFFSET: 15
; COMPUTE_PGM_RSRC3_GFX90A:TG_SPLIT: 0
	.section	.text._ZL9moe_vec_qIfLi256ELi8E11block_iq1_mLi1EXadL_ZL18vec_dot_iq1_m_q8_1PKvPK10block_q8_1RKiEEEvS2_S2_PT_PS6_iiii,"axG",@progbits,_ZL9moe_vec_qIfLi256ELi8E11block_iq1_mLi1EXadL_ZL18vec_dot_iq1_m_q8_1PKvPK10block_q8_1RKiEEEvS2_S2_PT_PS6_iiii,comdat
	.globl	_ZL9moe_vec_qIfLi256ELi8E11block_iq1_mLi1EXadL_ZL18vec_dot_iq1_m_q8_1PKvPK10block_q8_1RKiEEEvS2_S2_PT_PS6_iiii ; -- Begin function _ZL9moe_vec_qIfLi256ELi8E11block_iq1_mLi1EXadL_ZL18vec_dot_iq1_m_q8_1PKvPK10block_q8_1RKiEEEvS2_S2_PT_PS6_iiii
	.p2align	8
	.type	_ZL9moe_vec_qIfLi256ELi8E11block_iq1_mLi1EXadL_ZL18vec_dot_iq1_m_q8_1PKvPK10block_q8_1RKiEEEvS2_S2_PT_PS6_iiii,@function
_ZL9moe_vec_qIfLi256ELi8E11block_iq1_mLi1EXadL_ZL18vec_dot_iq1_m_q8_1PKvPK10block_q8_1RKiEEEvS2_S2_PT_PS6_iiii: ; @_ZL9moe_vec_qIfLi256ELi8E11block_iq1_mLi1EXadL_ZL18vec_dot_iq1_m_q8_1PKvPK10block_q8_1RKiEEEvS2_S2_PT_PS6_iiii
; %bb.0:
	s_mov_b32 s8, s3
	s_load_dword s3, s[0:1], 0x3c
	s_load_dwordx4 s[4:7], s[0:1], 0x20
	v_bfe_u32 v1, v0, 10, 10
	s_waitcnt lgkmcnt(0)
	s_lshr_b32 s3, s3, 16
	s_mul_i32 s2, s2, s3
	v_add_u32_e32 v9, s2, v1
	v_cmp_gt_u32_e32 vcc, s6, v9
	s_and_saveexec_b64 s[2:3], vcc
	s_cbranch_execz .LBB255_7
; %bb.1:
	v_cvt_f32_u32_e32 v1, s4
	v_and_b32_e32 v18, 0x3ff, v0
	s_load_dwordx2 s[2:3], s[0:1], 0x10
	s_ashr_i32 s9, s5, 31
	v_rcp_iflag_f32_e32 v1, v1
	s_lshr_b32 s9, s9, 24
	s_add_i32 s5, s5, s9
	v_lshrrev_b32_e32 v19, 3, v18
	v_mul_f32_e32 v0, 0x4f7ffffe, v1
	v_cvt_u32_f32_e32 v0, v0
	s_ashr_i32 s15, s5, 8
	v_cmp_gt_u32_e32 vcc, s15, v19
	v_mov_b32_e32 v21, 0
	v_readfirstlane_b32 s5, v0
	s_and_saveexec_b64 s[10:11], vcc
	s_cbranch_execz .LBB255_5
; %bb.2:
	s_sub_i32 s12, 0, s4
	s_mul_i32 s14, s12, s5
	s_load_dwordx4 s[16:19], s[0:1], 0x0
	s_load_dwordx2 s[12:13], s[0:1], 0x18
	s_mov_b32 s9, 0
	s_mul_hi_u32 s0, s5, s14
	s_add_i32 s5, s5, s0
	s_lshl_b64 s[0:1], s[8:9], 2
	s_waitcnt lgkmcnt(0)
	s_add_u32 s0, s12, s0
	s_mul_hi_u32 s5, s8, s5
	s_addc_u32 s1, s13, s1
	s_load_dword s0, s[0:1], 0x0
	s_mul_i32 s1, s5, s4
	s_sub_i32 s1, s8, s1
	s_add_i32 s12, s5, 1
	s_sub_i32 s13, s1, s4
	s_cmp_ge_u32 s1, s4
	s_cselect_b32 s5, s12, s5
	s_cselect_b32 s1, s13, s1
	s_add_i32 s12, s5, 1
	s_cmp_ge_u32 s1, s4
	s_mul_i32 s1, s15, s6
	s_waitcnt lgkmcnt(0)
	s_mul_i32 s0, s1, s0
	s_cselect_b32 s4, s12, s5
	s_mul_hi_i32 s1, s0, 56
	s_mul_i32 s0, s0, 56
	s_add_u32 s0, s16, s0
	s_mul_i32 s4, s4, s7
	s_mov_b32 s5, s9
	s_addc_u32 s1, s17, s1
	s_lshl_b64 s[4:5], s[4:5], 2
	v_and_b32_e32 v1, 1, v18
	s_add_u32 s4, s18, s4
	v_and_b32_e32 v8, 7, v18
	v_mov_b32_e32 v11, 0
	v_bfe_u32 v0, v18, 1, 2
	v_cmp_eq_u32_e32 vcc, 1, v1
	s_mov_b32 s18, 0xbf600000
	s_addc_u32 s5, s19, s5
	v_mul_lo_u32 v20, v9, s15
	v_lshlrev_b32_e32 v10, 1, v8
	v_cndmask_b32_e64 v22, 0, 6, vcc
	v_lshlrev_b32_e32 v23, 3, v19
	s_mov_b64 s[12:13], 0
	v_lshlrev_b32_e32 v12, 2, v8
	s_mov_b32 s7, 0x40008
	s_movk_i32 s9, 0xf000
	v_lshlrev_b32_e32 v14, 1, v0
	s_movk_i32 s16, 0x700
	s_mov_b32 s14, 0x3d000000
	v_mov_b64_e32 v[16:17], s[18:19]
	v_mov_b32_e32 v13, v11
	v_mov_b32_e32 v15, v11
	;; [unrolled: 1-line block ×4, first 2 shown]
.LBB255_3:                              ; =>This Inner Loop Header: Depth=1
	v_add_u32_e32 v0, v20, v19
	v_mad_i64_i32 v[26:27], s[18:19], v0, 56, s[0:1]
	v_lshl_add_u64 v[0:1], v[26:27], 0, v[12:13]
	v_lshl_add_u64 v[2:3], v[26:27], 0, v[10:11]
	global_load_dword v25, v[0:1], off
	global_load_ushort v30, v[2:3], off offset:32
	v_mad_i64_i32 v[0:1], s[18:19], v23, 36, s[4:5]
	v_mad_u64_u32 v[28:29], s[20:21], v8, 36, v[0:1]
	s_getpc_b64 s[18:19]
	s_add_u32 s18, s18, _ZL13iq1s_grid_gpu@rel32@lo+4
	s_addc_u32 s19, s19, _ZL13iq1s_grid_gpu@rel32@hi+12
	global_load_dword v36, v[28:29], off offset:32
	global_load_dwordx4 v[4:7], v[28:29], off
	global_load_dwordx4 v[0:3], v[28:29], off offset:16
	v_lshl_add_u64 v[28:29], v[26:27], 0, v[14:15]
	global_load_dwordx2 v[26:27], v[26:27], off offset:48
	v_mov_b32_e32 v42, 0
	v_mov_b32_e32 v43, 0
	v_add_u32_e32 v19, 8, v19
	v_cmp_le_u32_e32 vcc, s15, v19
	v_add_u32_e32 v23, 64, v23
	s_or_b64 s[12:13], vcc, s[12:13]
	s_waitcnt vmcnt(5)
	v_and_b32_e32 v31, 0xff, v25
	s_waitcnt vmcnt(4)
	v_lshlrev_b32_e32 v34, 8, v30
	v_lshrrev_b16_e32 v37, 4, v30
	v_and_or_b32 v31, v34, s16, v31
	v_and_b32_e32 v34, 15, v37
	v_bfe_u32 v32, v25, 8, 8
	v_lshrrev_b16_e32 v35, 12, v30
	v_lshlrev_b32_e32 v34, 8, v34
	v_bfe_u32 v33, v25, 16, 8
	v_lshlrev_b32_sdwa v38, v24, v30 dst_sel:DWORD dst_unused:UNUSED_PAD src0_sel:DWORD src1_sel:BYTE_1
	v_alignbit_b32 v25, v35, v25, 24
	v_lshlrev_b32_e32 v31, 3, v31
	v_and_or_b32 v32, v34, s16, v32
	v_and_or_b32 v33, v38, s16, v33
	v_and_b32_e32 v25, 0x7ff, v25
	global_load_dword v38, v31, s[18:19]
	v_lshlrev_b32_e32 v31, 3, v32
	v_lshlrev_b32_e32 v33, 3, v33
	;; [unrolled: 1-line block ×3, first 2 shown]
	global_load_dword v39, v31, s[18:19]
	global_load_dword v40, v33, s[18:19]
	;; [unrolled: 1-line block ×3, first 2 shown]
	global_load_ushort v32, v[28:29], off offset:48
	v_mov_b32_e32 v25, 0
	v_mov_b32_e32 v28, 0
	s_waitcnt vmcnt(7)
	v_dot4c_i32_i8_e32 v25, 0x1010101, v5
	s_waitcnt vmcnt(6)
	v_dot4c_i32_i8_e32 v28, 0x1010101, v1
	v_dot4c_i32_i8_e32 v25, 0x1010101, v6
	;; [unrolled: 1-line block ×3, first 2 shown]
	s_waitcnt vmcnt(5)
	v_alignbit_b32 v29, v27, v26, 16
	v_lshrrev_b16_e32 v34, 12, v26
	v_and_b32_sdwa v44, v27, s9 dst_sel:DWORD dst_unused:UNUSED_PAD src0_sel:WORD_1 src1_sel:DWORD
	v_and_b32_sdwa v27, v30, v24 dst_sel:DWORD dst_unused:UNUSED_PAD src0_sel:BYTE_1 src1_sel:DWORD
	v_and_b32_e32 v30, 8, v30
	v_cvt_f32_ubyte0_e32 v27, v27
	v_mov_b32_e32 v33, 0
	v_mov_b32_e32 v31, 0
	v_dot4c_i32_i8_e32 v33, 0x1010101, v7
	v_dot4c_i32_i8_e32 v31, 0x1010101, v3
	v_dot4c_i32_i8_e32 v33, 0x1010101, v0
	v_dot4c_i32_i8_e32 v31, 0x1010101, v36
	v_and_b32_e32 v35, 8, v35
	v_cvt_f32_f16_e32 v4, v4
	s_waitcnt vmcnt(0)
	v_lshrrev_b32_e32 v26, v22, v32
	v_pk_lshrrev_b16 v32, s7, v29
	v_cvt_f32_i32_e32 v29, v28
	v_cvt_f32_i32_e32 v28, v25
	v_lshlrev_b32_e32 v45, 1, v26
	v_lshrrev_b32_e32 v46, 2, v26
	v_cvt_f32_ubyte0_e32 v26, v30
	v_pk_fma_f32 v[26:27], v[26:27], s[14:15], v[16:17] op_sel_hi:[1,0,0] neg_lo:[1,0,0] neg_hi:[1,0,0]
	v_and_b32_e32 v25, 8, v37
	v_pk_fma_f32 v[26:27], v[26:27], v[28:29], 0 op_sel_hi:[1,1,0]
	v_and_b32_e32 v28, 0xf0f0f0f, v38
	v_lshrrev_b32_e32 v29, 4, v38
	v_and_b32_e32 v29, 0xf0f0f0f, v29
	v_dot4c_i32_i8_e32 v42, v28, v5
	v_and_b32_e32 v37, 0xf0000f0, v32
	v_dot4c_i32_i8_e32 v42, v29, v6
	v_and_b32_e32 v5, 0xf0f0f0f, v39
	v_and_b32_e32 v28, 0xf0f0f0f, v40
	v_lshrrev_b32_e32 v29, 4, v40
	v_cvt_f32_ubyte0_e32 v32, v25
	v_and_or_b32 v25, v45, 14, 1
	v_or_b32_e32 v45, v37, v34
	v_dot4c_i32_i8_e32 v42, v5, v7
	v_and_b32_e32 v5, 0xf0f0f0f, v29
	v_dot4c_i32_i8_e32 v43, v28, v1
	v_cvt_f32_ubyte0_e32 v34, v25
	v_or_b32_sdwa v25, v45, v37 dst_sel:DWORD dst_unused:UNUSED_PAD src0_sel:DWORD src1_sel:WORD_1
	v_lshrrev_b32_e32 v6, 4, v39
	v_and_b32_e32 v37, 0xf0f0f0f, v41
	v_lshrrev_b32_e32 v38, 4, v41
	v_dot4c_i32_i8_e32 v43, v5, v2
	v_and_b32_e32 v6, 0xf0f0f0f, v6
	v_and_b32_e32 v1, 0xf0f0f0f, v38
	v_dot4c_i32_i8_e32 v43, v37, v3
	v_cvt_f32_i32_e32 v31, v31
	v_cvt_f32_i32_e32 v30, v33
	v_dot4c_i32_i8_e32 v42, v6, v0
	v_dot4c_i32_i8_e32 v43, v1, v36
	v_cvt_f32_ubyte0_e32 v33, v35
	v_or_b32_e32 v25, v25, v44
	v_cvt_f32_i32_e32 v0, v42
	v_cvt_f32_i32_e32 v1, v43
	v_pk_fma_f32 v[32:33], v[32:33], s[14:15], v[16:17] op_sel_hi:[1,0,0] neg_lo:[1,0,0] neg_hi:[1,0,0]
	v_cvt_f32_f16_e32 v5, v25
	v_and_or_b32 v35, v46, 14, 1
	v_pk_fma_f32 v[2:3], v[32:33], v[30:31], v[26:27]
	v_cvt_f32_ubyte0_e32 v35, v35
	v_pk_add_f32 v[0:1], v[2:3], v[0:1]
	v_mul_f32_e32 v4, v5, v4
	v_pk_mul_f32 v[0:1], v[0:1], v[34:35]
	s_nop 0
	v_add_f32_e32 v0, v0, v1
	v_fmac_f32_e32 v21, v4, v0
	s_andn2_b64 exec, exec, s[12:13]
	s_cbranch_execnz .LBB255_3
; %bb.4:
	s_or_b64 exec, exec, s[12:13]
.LBB255_5:
	s_or_b64 exec, exec, s[10:11]
	v_mbcnt_lo_u32_b32 v0, -1, 0
	v_mbcnt_hi_u32_b32 v1, -1, v0
	v_and_b32_e32 v0, 64, v1
	v_add_u32_e32 v2, 64, v0
	v_xor_b32_e32 v0, 32, v1
	v_cmp_lt_i32_e32 vcc, v0, v2
	v_xor_b32_e32 v3, 16, v1
	v_xor_b32_e32 v4, 8, v1
	v_cndmask_b32_e32 v0, v1, v0, vcc
	v_lshlrev_b32_e32 v0, 2, v0
	ds_bpermute_b32 v0, v0, v21
	v_cmp_lt_i32_e32 vcc, v3, v2
	s_waitcnt lgkmcnt(0)
	v_add_f32_e32 v0, v21, v0
	v_cndmask_b32_e32 v3, v1, v3, vcc
	v_lshlrev_b32_e32 v3, 2, v3
	ds_bpermute_b32 v3, v3, v0
	v_cmp_lt_i32_e32 vcc, v4, v2
	s_waitcnt lgkmcnt(0)
	v_add_f32_e32 v0, v0, v3
	v_cndmask_b32_e32 v3, v1, v4, vcc
	v_lshlrev_b32_e32 v3, 2, v3
	ds_bpermute_b32 v3, v3, v0
	v_xor_b32_e32 v4, 4, v1
	v_cmp_lt_i32_e32 vcc, v4, v2
	s_waitcnt lgkmcnt(0)
	v_add_f32_e32 v0, v0, v3
	v_cndmask_b32_e32 v3, v1, v4, vcc
	v_lshlrev_b32_e32 v3, 2, v3
	ds_bpermute_b32 v3, v3, v0
	v_xor_b32_e32 v4, 2, v1
	;; [unrolled: 7-line block ×3, first 2 shown]
	v_cmp_lt_i32_e32 vcc, v4, v2
	s_waitcnt lgkmcnt(0)
	v_add_f32_e32 v0, v0, v3
	v_cndmask_b32_e32 v1, v1, v4, vcc
	v_lshlrev_b32_e32 v1, 2, v1
	ds_bpermute_b32 v1, v1, v0
	v_cmp_eq_u32_e32 vcc, 0, v18
	s_and_b64 exec, exec, vcc
	s_cbranch_execz .LBB255_7
; %bb.6:
	s_mul_i32 s0, s8, s6
	s_waitcnt lgkmcnt(0)
	v_add_f32_e32 v2, v0, v1
	v_add_u32_e32 v0, s0, v9
	v_mov_b32_e32 v1, 0
	v_lshl_add_u64 v[0:1], v[0:1], 2, s[2:3]
	global_store_dword v[0:1], v2, off
.LBB255_7:
	s_endpgm
	.section	.rodata,"a",@progbits
	.p2align	6, 0x0
	.amdhsa_kernel _ZL9moe_vec_qIfLi256ELi8E11block_iq1_mLi1EXadL_ZL18vec_dot_iq1_m_q8_1PKvPK10block_q8_1RKiEEEvS2_S2_PT_PS6_iiii
		.amdhsa_group_segment_fixed_size 0
		.amdhsa_private_segment_fixed_size 0
		.amdhsa_kernarg_size 304
		.amdhsa_user_sgpr_count 2
		.amdhsa_user_sgpr_dispatch_ptr 0
		.amdhsa_user_sgpr_queue_ptr 0
		.amdhsa_user_sgpr_kernarg_segment_ptr 1
		.amdhsa_user_sgpr_dispatch_id 0
		.amdhsa_user_sgpr_kernarg_preload_length 0
		.amdhsa_user_sgpr_kernarg_preload_offset 0
		.amdhsa_user_sgpr_private_segment_size 0
		.amdhsa_uses_dynamic_stack 0
		.amdhsa_enable_private_segment 0
		.amdhsa_system_sgpr_workgroup_id_x 1
		.amdhsa_system_sgpr_workgroup_id_y 0
		.amdhsa_system_sgpr_workgroup_id_z 1
		.amdhsa_system_sgpr_workgroup_info 0
		.amdhsa_system_vgpr_workitem_id 1
		.amdhsa_next_free_vgpr 47
		.amdhsa_next_free_sgpr 22
		.amdhsa_accum_offset 48
		.amdhsa_reserve_vcc 1
		.amdhsa_float_round_mode_32 0
		.amdhsa_float_round_mode_16_64 0
		.amdhsa_float_denorm_mode_32 3
		.amdhsa_float_denorm_mode_16_64 3
		.amdhsa_dx10_clamp 1
		.amdhsa_ieee_mode 1
		.amdhsa_fp16_overflow 0
		.amdhsa_tg_split 0
		.amdhsa_exception_fp_ieee_invalid_op 0
		.amdhsa_exception_fp_denorm_src 0
		.amdhsa_exception_fp_ieee_div_zero 0
		.amdhsa_exception_fp_ieee_overflow 0
		.amdhsa_exception_fp_ieee_underflow 0
		.amdhsa_exception_fp_ieee_inexact 0
		.amdhsa_exception_int_div_zero 0
	.end_amdhsa_kernel
	.section	.text._ZL9moe_vec_qIfLi256ELi8E11block_iq1_mLi1EXadL_ZL18vec_dot_iq1_m_q8_1PKvPK10block_q8_1RKiEEEvS2_S2_PT_PS6_iiii,"axG",@progbits,_ZL9moe_vec_qIfLi256ELi8E11block_iq1_mLi1EXadL_ZL18vec_dot_iq1_m_q8_1PKvPK10block_q8_1RKiEEEvS2_S2_PT_PS6_iiii,comdat
.Lfunc_end255:
	.size	_ZL9moe_vec_qIfLi256ELi8E11block_iq1_mLi1EXadL_ZL18vec_dot_iq1_m_q8_1PKvPK10block_q8_1RKiEEEvS2_S2_PT_PS6_iiii, .Lfunc_end255-_ZL9moe_vec_qIfLi256ELi8E11block_iq1_mLi1EXadL_ZL18vec_dot_iq1_m_q8_1PKvPK10block_q8_1RKiEEEvS2_S2_PT_PS6_iiii
                                        ; -- End function
	.section	.AMDGPU.csdata,"",@progbits
; Kernel info:
; codeLenInByte = 1400
; NumSgprs: 28
; NumVgprs: 47
; NumAgprs: 0
; TotalNumVgprs: 47
; ScratchSize: 0
; MemoryBound: 0
; FloatMode: 240
; IeeeMode: 1
; LDSByteSize: 0 bytes/workgroup (compile time only)
; SGPRBlocks: 3
; VGPRBlocks: 5
; NumSGPRsForWavesPerEU: 28
; NumVGPRsForWavesPerEU: 47
; AccumOffset: 48
; Occupancy: 8
; WaveLimiterHint : 1
; COMPUTE_PGM_RSRC2:SCRATCH_EN: 0
; COMPUTE_PGM_RSRC2:USER_SGPR: 2
; COMPUTE_PGM_RSRC2:TRAP_HANDLER: 0
; COMPUTE_PGM_RSRC2:TGID_X_EN: 1
; COMPUTE_PGM_RSRC2:TGID_Y_EN: 0
; COMPUTE_PGM_RSRC2:TGID_Z_EN: 1
; COMPUTE_PGM_RSRC2:TIDIG_COMP_CNT: 1
; COMPUTE_PGM_RSRC3_GFX90A:ACCUM_OFFSET: 11
; COMPUTE_PGM_RSRC3_GFX90A:TG_SPLIT: 0
	.section	.text._ZL9moe_vec_qIN3c104HalfELi32ELi4E10block_q4_0Li2EXadL_ZL17vec_dot_q4_0_q8_1PKvPK10block_q8_1RKiEEEvS4_S4_PT_PS8_iiii,"axG",@progbits,_ZL9moe_vec_qIN3c104HalfELi32ELi4E10block_q4_0Li2EXadL_ZL17vec_dot_q4_0_q8_1PKvPK10block_q8_1RKiEEEvS4_S4_PT_PS8_iiii,comdat
	.globl	_ZL9moe_vec_qIN3c104HalfELi32ELi4E10block_q4_0Li2EXadL_ZL17vec_dot_q4_0_q8_1PKvPK10block_q8_1RKiEEEvS4_S4_PT_PS8_iiii ; -- Begin function _ZL9moe_vec_qIN3c104HalfELi32ELi4E10block_q4_0Li2EXadL_ZL17vec_dot_q4_0_q8_1PKvPK10block_q8_1RKiEEEvS4_S4_PT_PS8_iiii
	.p2align	8
	.type	_ZL9moe_vec_qIN3c104HalfELi32ELi4E10block_q4_0Li2EXadL_ZL17vec_dot_q4_0_q8_1PKvPK10block_q8_1RKiEEEvS4_S4_PT_PS8_iiii,@function
_ZL9moe_vec_qIN3c104HalfELi32ELi4E10block_q4_0Li2EXadL_ZL17vec_dot_q4_0_q8_1PKvPK10block_q8_1RKiEEEvS4_S4_PT_PS8_iiii: ; @_ZL9moe_vec_qIN3c104HalfELi32ELi4E10block_q4_0Li2EXadL_ZL17vec_dot_q4_0_q8_1PKvPK10block_q8_1RKiEEEvS4_S4_PT_PS8_iiii
; %bb.0:
	s_mov_b32 s8, s3
	s_load_dword s3, s[0:1], 0x3c
	s_load_dwordx4 s[4:7], s[0:1], 0x20
	v_bfe_u32 v1, v0, 10, 10
	s_waitcnt lgkmcnt(0)
	s_lshr_b32 s3, s3, 16
	s_mul_i32 s2, s2, s3
	v_add_u32_e32 v4, s2, v1
	v_cmp_gt_u32_e32 vcc, s6, v4
	s_and_saveexec_b64 s[2:3], vcc
	s_cbranch_execz .LBB256_7
; %bb.1:
	v_cvt_f32_u32_e32 v1, s4
	v_and_b32_e32 v5, 0x3ff, v0
	s_load_dwordx2 s[2:3], s[0:1], 0x10
	s_ashr_i32 s9, s5, 31
	v_rcp_iflag_f32_e32 v1, v1
	s_lshr_b32 s9, s9, 27
	s_add_i32 s5, s5, s9
	v_lshrrev_b32_e32 v6, 1, v5
	v_mul_f32_e32 v0, 0x4f7ffffe, v1
	v_cvt_u32_f32_e32 v0, v0
	s_ashr_i32 s14, s5, 5
	v_cmp_gt_u32_e32 vcc, s14, v6
	v_mov_b32_e32 v7, 0
	v_readfirstlane_b32 s5, v0
	s_and_saveexec_b64 s[10:11], vcc
	s_cbranch_execz .LBB256_5
; %bb.2:
	s_sub_i32 s12, 0, s4
	s_mul_i32 s15, s12, s5
	s_load_dwordx4 s[16:19], s[0:1], 0x0
	s_load_dwordx2 s[12:13], s[0:1], 0x18
	s_mov_b32 s9, 0
	s_mul_hi_u32 s0, s5, s15
	s_add_i32 s5, s5, s0
	s_lshl_b64 s[0:1], s[8:9], 2
	s_waitcnt lgkmcnt(0)
	s_add_u32 s0, s12, s0
	s_mul_hi_u32 s5, s8, s5
	s_addc_u32 s1, s13, s1
	s_load_dword s0, s[0:1], 0x0
	s_mul_i32 s1, s5, s4
	s_sub_i32 s1, s8, s1
	s_add_i32 s12, s5, 1
	s_sub_i32 s13, s1, s4
	s_cmp_ge_u32 s1, s4
	s_cselect_b32 s5, s12, s5
	s_cselect_b32 s1, s13, s1
	s_add_i32 s12, s5, 1
	s_cmp_ge_u32 s1, s4
	s_mul_i32 s1, s14, s6
	s_waitcnt lgkmcnt(0)
	s_mul_i32 s0, s1, s0
	s_cselect_b32 s4, s12, s5
	s_mul_hi_i32 s1, s0, 18
	s_mul_i32 s0, s0, 18
	s_add_u32 s0, s16, s0
	s_mul_i32 s4, s4, s7
	s_mov_b32 s5, s9
	s_addc_u32 s1, s17, s1
	s_lshl_b64 s[4:5], s[4:5], 2
	s_add_u32 s4, s18, s4
	v_lshlrev_b32_e32 v0, 3, v5
	v_mov_b32_e32 v1, 0
	s_addc_u32 s5, s19, s5
	v_mul_lo_u32 v8, v4, s14
	v_and_b32_e32 v0, 8, v0
	s_mov_b64 s[12:13], 0
	v_mov_b32_e32 v3, 4.0
	v_mov_b32_e32 v7, v1
.LBB256_3:                              ; =>This Inner Loop Header: Depth=1
	v_add_u32_e32 v2, v8, v6
	v_mad_i64_i32 v[10:11], s[16:17], v6, 36, s[4:5]
	v_mad_i64_i32 v[12:13], s[16:17], v2, 18, s[0:1]
	v_lshl_add_u64 v[14:15], v[10:11], 0, v[0:1]
	v_lshl_add_u64 v[16:17], v[12:13], 0, v[0:1]
	global_load_dwordx2 v[18:19], v[14:15], off offset:4
	global_load_dwordx2 v[20:21], v[14:15], off offset:20
	global_load_dword v2, v[16:17], off offset:2
	global_load_dword v9, v[16:17], off offset:6
	global_load_dword v22, v[10:11], off
	global_load_ushort v23, v[12:13], off
	v_mov_b32_e32 v12, 0
	v_add_u32_e32 v6, 32, v6
	v_cmp_le_u32_e32 vcc, s14, v6
	s_or_b64 s[12:13], vcc, s[12:13]
	s_waitcnt vmcnt(3)
	v_and_b32_e32 v13, 0xf0f0f0f, v2
	v_lshrrev_b32_e32 v2, 4, v2
	v_and_b32_e32 v2, 0xf0f0f0f, v2
	v_dot4c_i32_i8_e32 v12, v13, v18
	s_waitcnt vmcnt(2)
	v_and_b32_e32 v14, 0xf0f0f0f, v9
	v_lshrrev_b32_e32 v9, 4, v9
	v_dot4c_i32_i8_e32 v12, v2, v20
	v_and_b32_e32 v9, 0xf0f0f0f, v9
	v_dot4c_i32_i8_e32 v12, v14, v19
	v_dot4c_i32_i8_e32 v12, v9, v21
	s_waitcnt vmcnt(1)
	v_cvt_f32_f16_e32 v10, v22
	v_cvt_f32_f16_sdwa v11, v22 dst_sel:DWORD dst_unused:UNUSED_PAD src0_sel:WORD_1
	v_cvt_f32_i32_e32 v2, v12
	v_pk_mul_f32 v[10:11], v[2:3], v[10:11]
	s_nop 0
	v_sub_f32_e32 v2, v10, v11
	s_waitcnt vmcnt(0)
	v_fma_mix_f32 v7, v2, v23, v7 op_sel_hi:[0,1,0]
	s_andn2_b64 exec, exec, s[12:13]
	s_cbranch_execnz .LBB256_3
; %bb.4:
	s_or_b64 exec, exec, s[12:13]
.LBB256_5:
	s_or_b64 exec, exec, s[10:11]
	v_mbcnt_lo_u32_b32 v0, -1, 0
	v_mbcnt_hi_u32_b32 v1, -1, v0
	v_and_b32_e32 v0, 64, v1
	v_add_u32_e32 v2, 64, v0
	v_xor_b32_e32 v0, 32, v1
	v_cmp_lt_i32_e32 vcc, v0, v2
	v_xor_b32_e32 v3, 16, v1
	v_xor_b32_e32 v6, 8, v1
	v_cndmask_b32_e32 v0, v1, v0, vcc
	v_lshlrev_b32_e32 v0, 2, v0
	ds_bpermute_b32 v0, v0, v7
	v_cmp_lt_i32_e32 vcc, v3, v2
	s_waitcnt lgkmcnt(0)
	v_add_f32_e32 v0, v7, v0
	v_cndmask_b32_e32 v3, v1, v3, vcc
	v_lshlrev_b32_e32 v3, 2, v3
	ds_bpermute_b32 v3, v3, v0
	v_cmp_lt_i32_e32 vcc, v6, v2
	s_waitcnt lgkmcnt(0)
	v_add_f32_e32 v0, v0, v3
	v_cndmask_b32_e32 v3, v1, v6, vcc
	v_lshlrev_b32_e32 v3, 2, v3
	ds_bpermute_b32 v3, v3, v0
	v_xor_b32_e32 v6, 4, v1
	v_cmp_lt_i32_e32 vcc, v6, v2
	s_waitcnt lgkmcnt(0)
	v_add_f32_e32 v0, v0, v3
	v_cndmask_b32_e32 v3, v1, v6, vcc
	v_lshlrev_b32_e32 v3, 2, v3
	ds_bpermute_b32 v3, v3, v0
	v_xor_b32_e32 v6, 2, v1
	;; [unrolled: 7-line block ×3, first 2 shown]
	v_cmp_lt_i32_e32 vcc, v6, v2
	s_waitcnt lgkmcnt(0)
	v_add_f32_e32 v0, v0, v3
	v_cndmask_b32_e32 v1, v1, v6, vcc
	v_lshlrev_b32_e32 v1, 2, v1
	ds_bpermute_b32 v1, v1, v0
	v_cmp_eq_u32_e32 vcc, 0, v5
	s_and_b64 exec, exec, vcc
	s_cbranch_execz .LBB256_7
; %bb.6:
	s_waitcnt lgkmcnt(0)
	v_add_f32_e32 v0, v0, v1
	v_cvt_f16_f32_e32 v2, v0
	s_mul_i32 s0, s8, s6
	v_add_u32_e32 v0, s0, v4
	v_mov_b32_e32 v1, 0
	v_lshl_add_u64 v[0:1], v[0:1], 1, s[2:3]
	global_store_short v[0:1], v2, off
.LBB256_7:
	s_endpgm
	.section	.rodata,"a",@progbits
	.p2align	6, 0x0
	.amdhsa_kernel _ZL9moe_vec_qIN3c104HalfELi32ELi4E10block_q4_0Li2EXadL_ZL17vec_dot_q4_0_q8_1PKvPK10block_q8_1RKiEEEvS4_S4_PT_PS8_iiii
		.amdhsa_group_segment_fixed_size 0
		.amdhsa_private_segment_fixed_size 0
		.amdhsa_kernarg_size 304
		.amdhsa_user_sgpr_count 2
		.amdhsa_user_sgpr_dispatch_ptr 0
		.amdhsa_user_sgpr_queue_ptr 0
		.amdhsa_user_sgpr_kernarg_segment_ptr 1
		.amdhsa_user_sgpr_dispatch_id 0
		.amdhsa_user_sgpr_kernarg_preload_length 0
		.amdhsa_user_sgpr_kernarg_preload_offset 0
		.amdhsa_user_sgpr_private_segment_size 0
		.amdhsa_uses_dynamic_stack 0
		.amdhsa_enable_private_segment 0
		.amdhsa_system_sgpr_workgroup_id_x 1
		.amdhsa_system_sgpr_workgroup_id_y 0
		.amdhsa_system_sgpr_workgroup_id_z 1
		.amdhsa_system_sgpr_workgroup_info 0
		.amdhsa_system_vgpr_workitem_id 1
		.amdhsa_next_free_vgpr 24
		.amdhsa_next_free_sgpr 20
		.amdhsa_accum_offset 24
		.amdhsa_reserve_vcc 1
		.amdhsa_float_round_mode_32 0
		.amdhsa_float_round_mode_16_64 0
		.amdhsa_float_denorm_mode_32 3
		.amdhsa_float_denorm_mode_16_64 3
		.amdhsa_dx10_clamp 1
		.amdhsa_ieee_mode 1
		.amdhsa_fp16_overflow 0
		.amdhsa_tg_split 0
		.amdhsa_exception_fp_ieee_invalid_op 0
		.amdhsa_exception_fp_denorm_src 0
		.amdhsa_exception_fp_ieee_div_zero 0
		.amdhsa_exception_fp_ieee_overflow 0
		.amdhsa_exception_fp_ieee_underflow 0
		.amdhsa_exception_fp_ieee_inexact 0
		.amdhsa_exception_int_div_zero 0
	.end_amdhsa_kernel
	.section	.text._ZL9moe_vec_qIN3c104HalfELi32ELi4E10block_q4_0Li2EXadL_ZL17vec_dot_q4_0_q8_1PKvPK10block_q8_1RKiEEEvS4_S4_PT_PS8_iiii,"axG",@progbits,_ZL9moe_vec_qIN3c104HalfELi32ELi4E10block_q4_0Li2EXadL_ZL17vec_dot_q4_0_q8_1PKvPK10block_q8_1RKiEEEvS4_S4_PT_PS8_iiii,comdat
.Lfunc_end256:
	.size	_ZL9moe_vec_qIN3c104HalfELi32ELi4E10block_q4_0Li2EXadL_ZL17vec_dot_q4_0_q8_1PKvPK10block_q8_1RKiEEEvS4_S4_PT_PS8_iiii, .Lfunc_end256-_ZL9moe_vec_qIN3c104HalfELi32ELi4E10block_q4_0Li2EXadL_ZL17vec_dot_q4_0_q8_1PKvPK10block_q8_1RKiEEEvS4_S4_PT_PS8_iiii
                                        ; -- End function
	.section	.AMDGPU.csdata,"",@progbits
; Kernel info:
; codeLenInByte = 808
; NumSgprs: 26
; NumVgprs: 24
; NumAgprs: 0
; TotalNumVgprs: 24
; ScratchSize: 0
; MemoryBound: 0
; FloatMode: 240
; IeeeMode: 1
; LDSByteSize: 0 bytes/workgroup (compile time only)
; SGPRBlocks: 3
; VGPRBlocks: 2
; NumSGPRsForWavesPerEU: 26
; NumVGPRsForWavesPerEU: 24
; AccumOffset: 24
; Occupancy: 8
; WaveLimiterHint : 1
; COMPUTE_PGM_RSRC2:SCRATCH_EN: 0
; COMPUTE_PGM_RSRC2:USER_SGPR: 2
; COMPUTE_PGM_RSRC2:TRAP_HANDLER: 0
; COMPUTE_PGM_RSRC2:TGID_X_EN: 1
; COMPUTE_PGM_RSRC2:TGID_Y_EN: 0
; COMPUTE_PGM_RSRC2:TGID_Z_EN: 1
; COMPUTE_PGM_RSRC2:TIDIG_COMP_CNT: 1
; COMPUTE_PGM_RSRC3_GFX90A:ACCUM_OFFSET: 5
; COMPUTE_PGM_RSRC3_GFX90A:TG_SPLIT: 0
	.section	.text._ZL9moe_vec_qIN3c104HalfELi32ELi4E10block_q4_1Li2EXadL_ZL17vec_dot_q4_1_q8_1PKvPK10block_q8_1RKiEEEvS4_S4_PT_PS8_iiii,"axG",@progbits,_ZL9moe_vec_qIN3c104HalfELi32ELi4E10block_q4_1Li2EXadL_ZL17vec_dot_q4_1_q8_1PKvPK10block_q8_1RKiEEEvS4_S4_PT_PS8_iiii,comdat
	.globl	_ZL9moe_vec_qIN3c104HalfELi32ELi4E10block_q4_1Li2EXadL_ZL17vec_dot_q4_1_q8_1PKvPK10block_q8_1RKiEEEvS4_S4_PT_PS8_iiii ; -- Begin function _ZL9moe_vec_qIN3c104HalfELi32ELi4E10block_q4_1Li2EXadL_ZL17vec_dot_q4_1_q8_1PKvPK10block_q8_1RKiEEEvS4_S4_PT_PS8_iiii
	.p2align	8
	.type	_ZL9moe_vec_qIN3c104HalfELi32ELi4E10block_q4_1Li2EXadL_ZL17vec_dot_q4_1_q8_1PKvPK10block_q8_1RKiEEEvS4_S4_PT_PS8_iiii,@function
_ZL9moe_vec_qIN3c104HalfELi32ELi4E10block_q4_1Li2EXadL_ZL17vec_dot_q4_1_q8_1PKvPK10block_q8_1RKiEEEvS4_S4_PT_PS8_iiii: ; @_ZL9moe_vec_qIN3c104HalfELi32ELi4E10block_q4_1Li2EXadL_ZL17vec_dot_q4_1_q8_1PKvPK10block_q8_1RKiEEEvS4_S4_PT_PS8_iiii
; %bb.0:
	s_mov_b32 s8, s3
	s_load_dword s3, s[0:1], 0x3c
	s_load_dwordx4 s[4:7], s[0:1], 0x20
	v_bfe_u32 v1, v0, 10, 10
	s_waitcnt lgkmcnt(0)
	s_lshr_b32 s3, s3, 16
	s_mul_i32 s2, s2, s3
	v_add_u32_e32 v2, s2, v1
	v_cmp_gt_u32_e32 vcc, s6, v2
	s_and_saveexec_b64 s[2:3], vcc
	s_cbranch_execz .LBB257_7
; %bb.1:
	v_cvt_f32_u32_e32 v1, s4
	v_and_b32_e32 v3, 0x3ff, v0
	s_load_dwordx2 s[2:3], s[0:1], 0x10
	s_ashr_i32 s9, s5, 31
	v_rcp_iflag_f32_e32 v1, v1
	s_lshr_b32 s9, s9, 27
	s_add_i32 s5, s5, s9
	v_lshrrev_b32_e32 v4, 1, v3
	v_mul_f32_e32 v0, 0x4f7ffffe, v1
	v_cvt_u32_f32_e32 v0, v0
	s_ashr_i32 s14, s5, 5
	v_cmp_gt_u32_e32 vcc, s14, v4
	v_mov_b32_e32 v5, 0
	v_readfirstlane_b32 s5, v0
	s_and_saveexec_b64 s[10:11], vcc
	s_cbranch_execz .LBB257_5
; %bb.2:
	s_sub_i32 s12, 0, s4
	s_mul_i32 s15, s12, s5
	s_load_dwordx4 s[16:19], s[0:1], 0x0
	s_load_dwordx2 s[12:13], s[0:1], 0x18
	s_mov_b32 s9, 0
	s_mul_hi_u32 s0, s5, s15
	s_add_i32 s5, s5, s0
	s_lshl_b64 s[0:1], s[8:9], 2
	s_waitcnt lgkmcnt(0)
	s_add_u32 s0, s12, s0
	s_mul_hi_u32 s5, s8, s5
	s_addc_u32 s1, s13, s1
	s_load_dword s0, s[0:1], 0x0
	s_mul_i32 s1, s5, s4
	s_sub_i32 s1, s8, s1
	s_add_i32 s12, s5, 1
	s_sub_i32 s13, s1, s4
	s_cmp_ge_u32 s1, s4
	s_cselect_b32 s5, s12, s5
	s_cselect_b32 s1, s13, s1
	s_add_i32 s12, s5, 1
	s_cmp_ge_u32 s1, s4
	s_mul_i32 s1, s14, s6
	s_waitcnt lgkmcnt(0)
	s_mul_i32 s0, s1, s0
	s_cselect_b32 s4, s12, s5
	s_mul_hi_i32 s1, s0, 20
	s_mul_i32 s0, s0, 20
	s_add_u32 s0, s16, s0
	s_mul_i32 s4, s4, s7
	s_mov_b32 s5, s9
	s_addc_u32 s1, s17, s1
	s_lshl_b64 s[4:5], s[4:5], 2
	s_add_u32 s4, s18, s4
	v_lshlrev_b32_e32 v0, 3, v3
	v_mov_b32_e32 v1, 0
	s_addc_u32 s5, s19, s5
	v_mul_lo_u32 v6, v2, s14
	v_and_b32_e32 v0, 8, v0
	s_mov_b64 s[12:13], 0
	s_mov_b32 s7, 0.5
	v_mov_b32_e32 v5, v1
.LBB257_3:                              ; =>This Inner Loop Header: Depth=1
	v_add_u32_e32 v7, v6, v4
	v_mad_i64_i32 v[8:9], s[16:17], v4, 36, s[4:5]
	v_mad_i64_i32 v[10:11], s[16:17], v7, 20, s[0:1]
	v_lshl_add_u64 v[12:13], v[8:9], 0, v[0:1]
	global_load_dword v7, v[8:9], off
	v_lshl_add_u64 v[8:9], v[10:11], 0, v[0:1]
	global_load_dwordx2 v[14:15], v[12:13], off offset:4
	global_load_dwordx2 v[16:17], v[12:13], off offset:20
	;; [unrolled: 1-line block ×3, first 2 shown]
	global_load_dword v20, v[10:11], off
	v_mov_b32_e32 v8, 0
	v_add_u32_e32 v4, 32, v4
	v_cmp_le_u32_e32 vcc, s14, v4
	s_or_b64 s[12:13], vcc, s[12:13]
	s_waitcnt vmcnt(1)
	v_and_b32_e32 v9, 0xf0f0f0f, v18
	v_lshrrev_b32_e32 v10, 4, v18
	v_and_b32_e32 v10, 0xf0f0f0f, v10
	v_dot4c_i32_i8_e32 v8, v9, v14
	v_and_b32_e32 v11, 0xf0f0f0f, v19
	v_lshrrev_b32_e32 v12, 4, v19
	v_dot4c_i32_i8_e32 v8, v10, v16
	v_and_b32_e32 v9, 0xf0f0f0f, v12
	v_dot4c_i32_i8_e32 v8, v11, v15
	s_waitcnt vmcnt(0)
	v_pk_mul_f16 v7, v20, v7
	v_dot4c_i32_i8_e32 v8, v9, v17
	v_cvt_f32_f16_e32 v13, v7
	s_nop 1
	v_cvt_f32_i32_e32 v8, v8
	v_mul_f32_e32 v8, v8, v13
	v_fma_mix_f32 v7, v7, s7, v8 op_sel:[1,0,0] op_sel_hi:[1,0,0]
	s_nop 0
	v_add_f32_e32 v5, v5, v7
	s_andn2_b64 exec, exec, s[12:13]
	s_cbranch_execnz .LBB257_3
; %bb.4:
	s_or_b64 exec, exec, s[12:13]
.LBB257_5:
	s_or_b64 exec, exec, s[10:11]
	v_mbcnt_lo_u32_b32 v0, -1, 0
	v_mbcnt_hi_u32_b32 v1, -1, v0
	v_and_b32_e32 v0, 64, v1
	v_add_u32_e32 v4, 64, v0
	v_xor_b32_e32 v0, 32, v1
	v_cmp_lt_i32_e32 vcc, v0, v4
	v_xor_b32_e32 v6, 16, v1
	s_nop 0
	v_cndmask_b32_e32 v0, v1, v0, vcc
	v_lshlrev_b32_e32 v0, 2, v0
	ds_bpermute_b32 v0, v0, v5
	v_cmp_lt_i32_e32 vcc, v6, v4
	s_waitcnt lgkmcnt(0)
	v_add_f32_e32 v0, v5, v0
	v_cndmask_b32_e32 v5, v1, v6, vcc
	v_lshlrev_b32_e32 v5, 2, v5
	ds_bpermute_b32 v5, v5, v0
	v_xor_b32_e32 v6, 8, v1
	v_cmp_lt_i32_e32 vcc, v6, v4
	s_waitcnt lgkmcnt(0)
	v_add_f32_e32 v0, v0, v5
	v_cndmask_b32_e32 v5, v1, v6, vcc
	v_lshlrev_b32_e32 v5, 2, v5
	ds_bpermute_b32 v5, v5, v0
	v_xor_b32_e32 v6, 4, v1
	;; [unrolled: 7-line block ×4, first 2 shown]
	v_cmp_lt_i32_e32 vcc, v6, v4
	s_waitcnt lgkmcnt(0)
	v_add_f32_e32 v0, v0, v5
	v_cndmask_b32_e32 v1, v1, v6, vcc
	v_lshlrev_b32_e32 v1, 2, v1
	ds_bpermute_b32 v1, v1, v0
	v_cmp_eq_u32_e32 vcc, 0, v3
	s_and_b64 exec, exec, vcc
	s_cbranch_execz .LBB257_7
; %bb.6:
	s_waitcnt lgkmcnt(0)
	v_add_f32_e32 v0, v0, v1
	v_cvt_f16_f32_e32 v3, v0
	s_mul_i32 s0, s8, s6
	v_add_u32_e32 v0, s0, v2
	v_mov_b32_e32 v1, 0
	v_lshl_add_u64 v[0:1], v[0:1], 1, s[2:3]
	global_store_short v[0:1], v3, off
.LBB257_7:
	s_endpgm
	.section	.rodata,"a",@progbits
	.p2align	6, 0x0
	.amdhsa_kernel _ZL9moe_vec_qIN3c104HalfELi32ELi4E10block_q4_1Li2EXadL_ZL17vec_dot_q4_1_q8_1PKvPK10block_q8_1RKiEEEvS4_S4_PT_PS8_iiii
		.amdhsa_group_segment_fixed_size 0
		.amdhsa_private_segment_fixed_size 0
		.amdhsa_kernarg_size 304
		.amdhsa_user_sgpr_count 2
		.amdhsa_user_sgpr_dispatch_ptr 0
		.amdhsa_user_sgpr_queue_ptr 0
		.amdhsa_user_sgpr_kernarg_segment_ptr 1
		.amdhsa_user_sgpr_dispatch_id 0
		.amdhsa_user_sgpr_kernarg_preload_length 0
		.amdhsa_user_sgpr_kernarg_preload_offset 0
		.amdhsa_user_sgpr_private_segment_size 0
		.amdhsa_uses_dynamic_stack 0
		.amdhsa_enable_private_segment 0
		.amdhsa_system_sgpr_workgroup_id_x 1
		.amdhsa_system_sgpr_workgroup_id_y 0
		.amdhsa_system_sgpr_workgroup_id_z 1
		.amdhsa_system_sgpr_workgroup_info 0
		.amdhsa_system_vgpr_workitem_id 1
		.amdhsa_next_free_vgpr 21
		.amdhsa_next_free_sgpr 20
		.amdhsa_accum_offset 24
		.amdhsa_reserve_vcc 1
		.amdhsa_float_round_mode_32 0
		.amdhsa_float_round_mode_16_64 0
		.amdhsa_float_denorm_mode_32 3
		.amdhsa_float_denorm_mode_16_64 3
		.amdhsa_dx10_clamp 1
		.amdhsa_ieee_mode 1
		.amdhsa_fp16_overflow 0
		.amdhsa_tg_split 0
		.amdhsa_exception_fp_ieee_invalid_op 0
		.amdhsa_exception_fp_denorm_src 0
		.amdhsa_exception_fp_ieee_div_zero 0
		.amdhsa_exception_fp_ieee_overflow 0
		.amdhsa_exception_fp_ieee_underflow 0
		.amdhsa_exception_fp_ieee_inexact 0
		.amdhsa_exception_int_div_zero 0
	.end_amdhsa_kernel
	.section	.text._ZL9moe_vec_qIN3c104HalfELi32ELi4E10block_q4_1Li2EXadL_ZL17vec_dot_q4_1_q8_1PKvPK10block_q8_1RKiEEEvS4_S4_PT_PS8_iiii,"axG",@progbits,_ZL9moe_vec_qIN3c104HalfELi32ELi4E10block_q4_1Li2EXadL_ZL17vec_dot_q4_1_q8_1PKvPK10block_q8_1RKiEEEvS4_S4_PT_PS8_iiii,comdat
.Lfunc_end257:
	.size	_ZL9moe_vec_qIN3c104HalfELi32ELi4E10block_q4_1Li2EXadL_ZL17vec_dot_q4_1_q8_1PKvPK10block_q8_1RKiEEEvS4_S4_PT_PS8_iiii, .Lfunc_end257-_ZL9moe_vec_qIN3c104HalfELi32ELi4E10block_q4_1Li2EXadL_ZL17vec_dot_q4_1_q8_1PKvPK10block_q8_1RKiEEEvS4_S4_PT_PS8_iiii
                                        ; -- End function
	.section	.AMDGPU.csdata,"",@progbits
; Kernel info:
; codeLenInByte = 796
; NumSgprs: 26
; NumVgprs: 21
; NumAgprs: 0
; TotalNumVgprs: 21
; ScratchSize: 0
; MemoryBound: 0
; FloatMode: 240
; IeeeMode: 1
; LDSByteSize: 0 bytes/workgroup (compile time only)
; SGPRBlocks: 3
; VGPRBlocks: 2
; NumSGPRsForWavesPerEU: 26
; NumVGPRsForWavesPerEU: 21
; AccumOffset: 24
; Occupancy: 8
; WaveLimiterHint : 1
; COMPUTE_PGM_RSRC2:SCRATCH_EN: 0
; COMPUTE_PGM_RSRC2:USER_SGPR: 2
; COMPUTE_PGM_RSRC2:TRAP_HANDLER: 0
; COMPUTE_PGM_RSRC2:TGID_X_EN: 1
; COMPUTE_PGM_RSRC2:TGID_Y_EN: 0
; COMPUTE_PGM_RSRC2:TGID_Z_EN: 1
; COMPUTE_PGM_RSRC2:TIDIG_COMP_CNT: 1
; COMPUTE_PGM_RSRC3_GFX90A:ACCUM_OFFSET: 5
; COMPUTE_PGM_RSRC3_GFX90A:TG_SPLIT: 0
	.section	.text._ZL9moe_vec_qIN3c104HalfELi32ELi4E10block_q5_0Li2EXadL_ZL17vec_dot_q5_0_q8_1PKvPK10block_q8_1RKiEEEvS4_S4_PT_PS8_iiii,"axG",@progbits,_ZL9moe_vec_qIN3c104HalfELi32ELi4E10block_q5_0Li2EXadL_ZL17vec_dot_q5_0_q8_1PKvPK10block_q8_1RKiEEEvS4_S4_PT_PS8_iiii,comdat
	.globl	_ZL9moe_vec_qIN3c104HalfELi32ELi4E10block_q5_0Li2EXadL_ZL17vec_dot_q5_0_q8_1PKvPK10block_q8_1RKiEEEvS4_S4_PT_PS8_iiii ; -- Begin function _ZL9moe_vec_qIN3c104HalfELi32ELi4E10block_q5_0Li2EXadL_ZL17vec_dot_q5_0_q8_1PKvPK10block_q8_1RKiEEEvS4_S4_PT_PS8_iiii
	.p2align	8
	.type	_ZL9moe_vec_qIN3c104HalfELi32ELi4E10block_q5_0Li2EXadL_ZL17vec_dot_q5_0_q8_1PKvPK10block_q8_1RKiEEEvS4_S4_PT_PS8_iiii,@function
_ZL9moe_vec_qIN3c104HalfELi32ELi4E10block_q5_0Li2EXadL_ZL17vec_dot_q5_0_q8_1PKvPK10block_q8_1RKiEEEvS4_S4_PT_PS8_iiii: ; @_ZL9moe_vec_qIN3c104HalfELi32ELi4E10block_q5_0Li2EXadL_ZL17vec_dot_q5_0_q8_1PKvPK10block_q8_1RKiEEEvS4_S4_PT_PS8_iiii
; %bb.0:
	s_mov_b32 s8, s3
	s_load_dword s3, s[0:1], 0x3c
	s_load_dwordx4 s[4:7], s[0:1], 0x20
	v_bfe_u32 v1, v0, 10, 10
	s_waitcnt lgkmcnt(0)
	s_lshr_b32 s3, s3, 16
	s_mul_i32 s2, s2, s3
	v_add_u32_e32 v4, s2, v1
	v_cmp_gt_u32_e32 vcc, s6, v4
	s_and_saveexec_b64 s[2:3], vcc
	s_cbranch_execz .LBB258_7
; %bb.1:
	v_cvt_f32_u32_e32 v1, s4
	v_and_b32_e32 v5, 0x3ff, v0
	s_load_dwordx2 s[2:3], s[0:1], 0x10
	s_ashr_i32 s9, s5, 31
	v_rcp_iflag_f32_e32 v1, v1
	s_lshr_b32 s9, s9, 27
	s_add_i32 s5, s5, s9
	v_lshrrev_b32_e32 v6, 1, v5
	v_mul_f32_e32 v0, 0x4f7ffffe, v1
	v_cvt_u32_f32_e32 v0, v0
	s_ashr_i32 s14, s5, 5
	v_cmp_gt_u32_e32 vcc, s14, v6
	v_mov_b32_e32 v7, 0
	v_readfirstlane_b32 s5, v0
	s_and_saveexec_b64 s[10:11], vcc
	s_cbranch_execz .LBB258_5
; %bb.2:
	s_sub_i32 s12, 0, s4
	s_mul_i32 s15, s12, s5
	s_load_dwordx4 s[16:19], s[0:1], 0x0
	s_load_dwordx2 s[12:13], s[0:1], 0x18
	s_mov_b32 s9, 0
	s_mul_hi_u32 s0, s5, s15
	s_add_i32 s5, s5, s0
	s_lshl_b64 s[0:1], s[8:9], 2
	s_waitcnt lgkmcnt(0)
	s_add_u32 s0, s12, s0
	s_mul_hi_u32 s5, s8, s5
	s_addc_u32 s1, s13, s1
	s_load_dword s0, s[0:1], 0x0
	s_mul_i32 s1, s5, s4
	s_sub_i32 s1, s8, s1
	s_add_i32 s12, s5, 1
	s_sub_i32 s13, s1, s4
	s_cmp_ge_u32 s1, s4
	s_cselect_b32 s5, s12, s5
	s_cselect_b32 s1, s13, s1
	s_add_i32 s12, s5, 1
	s_cmp_ge_u32 s1, s4
	s_mul_i32 s1, s14, s6
	s_waitcnt lgkmcnt(0)
	s_mul_i32 s0, s1, s0
	s_cselect_b32 s4, s12, s5
	s_mul_hi_i32 s1, s0, 22
	s_mul_i32 s0, s0, 22
	s_add_u32 s0, s16, s0
	s_mul_i32 s4, s4, s7
	s_mov_b32 s5, s9
	s_addc_u32 s1, s17, s1
	s_lshl_b64 s[4:5], s[4:5], 2
	v_lshlrev_b32_e32 v0, 3, v5
	s_add_u32 s4, s18, s4
	v_and_b32_e32 v0, 8, v0
	v_mov_b32_e32 v1, 0
	s_addc_u32 s5, s19, s5
	v_mul_lo_u32 v8, v4, s14
	v_or_b32_e32 v9, 4, v0
	s_mov_b64 s[12:13], 0
	s_mov_b32 s7, 0x1000706
	v_mov_b32_e32 v3, 0x41000000
	v_mov_b32_e32 v7, v1
.LBB258_3:                              ; =>This Inner Loop Header: Depth=1
	v_add_u32_e32 v2, v8, v6
	v_mad_i64_i32 v[12:13], s[16:17], v2, 22, s[0:1]
	v_mad_i64_i32 v[10:11], s[16:17], v6, 36, s[4:5]
	global_load_dword v20, v[12:13], off
	global_load_ushort v2, v[12:13], off offset:4
	v_lshl_add_u64 v[14:15], v[10:11], 0, v[0:1]
	v_lshl_add_u64 v[12:13], v[12:13], 0, v[0:1]
	global_load_dwordx2 v[16:17], v[14:15], off offset:4
	global_load_dwordx2 v[18:19], v[14:15], off offset:20
	global_load_dword v21, v[12:13], off offset:6
	global_load_dword v22, v[12:13], off offset:10
	global_load_dword v23, v[10:11], off
	v_mov_b32_e32 v12, 0
	v_add_u32_e32 v6, 32, v6
	v_cmp_le_u32_e32 vcc, s14, v6
	s_or_b64 s[12:13], vcc, s[12:13]
	s_waitcnt vmcnt(5)
	v_perm_b32 v2, v20, v2, s7
	v_ashrrev_i32_e32 v13, v0, v2
	v_lshlrev_b32_e32 v24, 11, v13
	s_waitcnt vmcnt(0)
	v_cvt_f32_f16_e32 v10, v23
	v_cvt_f32_f16_sdwa v11, v23 dst_sel:DWORD dst_unused:UNUSED_PAD src0_sel:WORD_1
	v_lshlrev_b32_e32 v23, 4, v13
	v_ashrrev_i32_e32 v2, v9, v2
	v_and_b32_e32 v14, 0xf0f0f0f, v21
	v_lshlrev_b32_e32 v25, 18, v13
	v_lshlrev_b32_e32 v26, 25, v13
	v_lshrrev_b32_e32 v27, 12, v13
	v_lshrrev_b32_e32 v28, 5, v13
	v_lshlrev_b32_e32 v29, 2, v13
	v_and_b32_e32 v23, 16, v23
	v_and_b32_e32 v24, 0x1000, v24
	v_lshrrev_b32_e32 v15, 4, v21
	v_lshlrev_b32_e32 v13, 9, v13
	v_lshlrev_b32_e32 v30, 4, v2
	;; [unrolled: 1-line block ×4, first 2 shown]
	v_and_b32_e32 v25, 0x100000, v25
	v_and_b32_e32 v26, 0x10000000, v26
	;; [unrolled: 1-line block ×5, first 2 shown]
	v_or3_b32 v14, v23, v14, v24
	v_and_b32_e32 v15, 0xf0f0f0f, v15
	v_lshlrev_b32_e32 v33, 25, v2
	v_lshrrev_b32_e32 v34, 12, v2
	v_lshrrev_b32_e32 v35, 5, v2
	v_lshlrev_b32_e32 v36, 2, v2
	v_and_b32_e32 v13, 0x10000000, v13
	v_and_b32_e32 v30, 16, v30
	v_and_b32_e32 v31, 0x1000, v31
	v_and_b32_e32 v32, 0x100000, v32
	v_or3_b32 v23, v28, v27, v29
	v_or3_b32 v14, v14, v25, v26
	v_and_b32_e32 v21, 0xf0f0f0f, v22
	v_lshrrev_b32_e32 v22, 4, v22
	v_lshlrev_b32_e32 v2, 9, v2
	v_and_b32_e32 v33, 0x10000000, v33
	v_and_b32_e32 v34, 16, v34
	;; [unrolled: 1-line block ×4, first 2 shown]
	v_or3_b32 v24, v31, v30, v32
	v_or3_b32 v13, v23, v13, v15
	v_dot4c_i32_i8_e32 v12, v14, v16
	v_and_b32_e32 v22, 0xf0f0f0f, v22
	v_and_b32_e32 v2, 0x10000000, v2
	v_or3_b32 v27, v35, v34, v36
	v_or3_b32 v15, v24, v33, v21
	v_dot4c_i32_i8_e32 v12, v13, v18
	v_or3_b32 v2, v27, v2, v22
	v_dot4c_i32_i8_e32 v12, v15, v17
	v_dot4c_i32_i8_e32 v12, v2, v19
	s_nop 2
	v_cvt_f32_i32_e32 v2, v12
	v_pk_mul_f32 v[10:11], v[2:3], v[10:11]
	s_nop 0
	v_sub_f32_e32 v2, v10, v11
	v_fma_mix_f32 v7, v2, v20, v7 op_sel_hi:[0,1,0]
	s_andn2_b64 exec, exec, s[12:13]
	s_cbranch_execnz .LBB258_3
; %bb.4:
	s_or_b64 exec, exec, s[12:13]
.LBB258_5:
	s_or_b64 exec, exec, s[10:11]
	v_mbcnt_lo_u32_b32 v0, -1, 0
	v_mbcnt_hi_u32_b32 v1, -1, v0
	v_and_b32_e32 v0, 64, v1
	v_add_u32_e32 v2, 64, v0
	v_xor_b32_e32 v0, 32, v1
	v_cmp_lt_i32_e32 vcc, v0, v2
	v_xor_b32_e32 v3, 16, v1
	v_xor_b32_e32 v6, 8, v1
	v_cndmask_b32_e32 v0, v1, v0, vcc
	v_lshlrev_b32_e32 v0, 2, v0
	ds_bpermute_b32 v0, v0, v7
	v_cmp_lt_i32_e32 vcc, v3, v2
	s_waitcnt lgkmcnt(0)
	v_add_f32_e32 v0, v7, v0
	v_cndmask_b32_e32 v3, v1, v3, vcc
	v_lshlrev_b32_e32 v3, 2, v3
	ds_bpermute_b32 v3, v3, v0
	v_cmp_lt_i32_e32 vcc, v6, v2
	s_waitcnt lgkmcnt(0)
	v_add_f32_e32 v0, v0, v3
	v_cndmask_b32_e32 v3, v1, v6, vcc
	v_lshlrev_b32_e32 v3, 2, v3
	ds_bpermute_b32 v3, v3, v0
	v_xor_b32_e32 v6, 4, v1
	v_cmp_lt_i32_e32 vcc, v6, v2
	s_waitcnt lgkmcnt(0)
	v_add_f32_e32 v0, v0, v3
	v_cndmask_b32_e32 v3, v1, v6, vcc
	v_lshlrev_b32_e32 v3, 2, v3
	ds_bpermute_b32 v3, v3, v0
	v_xor_b32_e32 v6, 2, v1
	;; [unrolled: 7-line block ×3, first 2 shown]
	v_cmp_lt_i32_e32 vcc, v6, v2
	s_waitcnt lgkmcnt(0)
	v_add_f32_e32 v0, v0, v3
	v_cndmask_b32_e32 v1, v1, v6, vcc
	v_lshlrev_b32_e32 v1, 2, v1
	ds_bpermute_b32 v1, v1, v0
	v_cmp_eq_u32_e32 vcc, 0, v5
	s_and_b64 exec, exec, vcc
	s_cbranch_execz .LBB258_7
; %bb.6:
	s_waitcnt lgkmcnt(0)
	v_add_f32_e32 v0, v0, v1
	v_cvt_f16_f32_e32 v2, v0
	s_mul_i32 s0, s8, s6
	v_add_u32_e32 v0, s0, v4
	v_mov_b32_e32 v1, 0
	v_lshl_add_u64 v[0:1], v[0:1], 1, s[2:3]
	global_store_short v[0:1], v2, off
.LBB258_7:
	s_endpgm
	.section	.rodata,"a",@progbits
	.p2align	6, 0x0
	.amdhsa_kernel _ZL9moe_vec_qIN3c104HalfELi32ELi4E10block_q5_0Li2EXadL_ZL17vec_dot_q5_0_q8_1PKvPK10block_q8_1RKiEEEvS4_S4_PT_PS8_iiii
		.amdhsa_group_segment_fixed_size 0
		.amdhsa_private_segment_fixed_size 0
		.amdhsa_kernarg_size 304
		.amdhsa_user_sgpr_count 2
		.amdhsa_user_sgpr_dispatch_ptr 0
		.amdhsa_user_sgpr_queue_ptr 0
		.amdhsa_user_sgpr_kernarg_segment_ptr 1
		.amdhsa_user_sgpr_dispatch_id 0
		.amdhsa_user_sgpr_kernarg_preload_length 0
		.amdhsa_user_sgpr_kernarg_preload_offset 0
		.amdhsa_user_sgpr_private_segment_size 0
		.amdhsa_uses_dynamic_stack 0
		.amdhsa_enable_private_segment 0
		.amdhsa_system_sgpr_workgroup_id_x 1
		.amdhsa_system_sgpr_workgroup_id_y 0
		.amdhsa_system_sgpr_workgroup_id_z 1
		.amdhsa_system_sgpr_workgroup_info 0
		.amdhsa_system_vgpr_workitem_id 1
		.amdhsa_next_free_vgpr 37
		.amdhsa_next_free_sgpr 20
		.amdhsa_accum_offset 40
		.amdhsa_reserve_vcc 1
		.amdhsa_float_round_mode_32 0
		.amdhsa_float_round_mode_16_64 0
		.amdhsa_float_denorm_mode_32 3
		.amdhsa_float_denorm_mode_16_64 3
		.amdhsa_dx10_clamp 1
		.amdhsa_ieee_mode 1
		.amdhsa_fp16_overflow 0
		.amdhsa_tg_split 0
		.amdhsa_exception_fp_ieee_invalid_op 0
		.amdhsa_exception_fp_denorm_src 0
		.amdhsa_exception_fp_ieee_div_zero 0
		.amdhsa_exception_fp_ieee_overflow 0
		.amdhsa_exception_fp_ieee_underflow 0
		.amdhsa_exception_fp_ieee_inexact 0
		.amdhsa_exception_int_div_zero 0
	.end_amdhsa_kernel
	.section	.text._ZL9moe_vec_qIN3c104HalfELi32ELi4E10block_q5_0Li2EXadL_ZL17vec_dot_q5_0_q8_1PKvPK10block_q8_1RKiEEEvS4_S4_PT_PS8_iiii,"axG",@progbits,_ZL9moe_vec_qIN3c104HalfELi32ELi4E10block_q5_0Li2EXadL_ZL17vec_dot_q5_0_q8_1PKvPK10block_q8_1RKiEEEvS4_S4_PT_PS8_iiii,comdat
.Lfunc_end258:
	.size	_ZL9moe_vec_qIN3c104HalfELi32ELi4E10block_q5_0Li2EXadL_ZL17vec_dot_q5_0_q8_1PKvPK10block_q8_1RKiEEEvS4_S4_PT_PS8_iiii, .Lfunc_end258-_ZL9moe_vec_qIN3c104HalfELi32ELi4E10block_q5_0Li2EXadL_ZL17vec_dot_q5_0_q8_1PKvPK10block_q8_1RKiEEEvS4_S4_PT_PS8_iiii
                                        ; -- End function
	.section	.AMDGPU.csdata,"",@progbits
; Kernel info:
; codeLenInByte = 1084
; NumSgprs: 26
; NumVgprs: 37
; NumAgprs: 0
; TotalNumVgprs: 37
; ScratchSize: 0
; MemoryBound: 0
; FloatMode: 240
; IeeeMode: 1
; LDSByteSize: 0 bytes/workgroup (compile time only)
; SGPRBlocks: 3
; VGPRBlocks: 4
; NumSGPRsForWavesPerEU: 26
; NumVGPRsForWavesPerEU: 37
; AccumOffset: 40
; Occupancy: 8
; WaveLimiterHint : 1
; COMPUTE_PGM_RSRC2:SCRATCH_EN: 0
; COMPUTE_PGM_RSRC2:USER_SGPR: 2
; COMPUTE_PGM_RSRC2:TRAP_HANDLER: 0
; COMPUTE_PGM_RSRC2:TGID_X_EN: 1
; COMPUTE_PGM_RSRC2:TGID_Y_EN: 0
; COMPUTE_PGM_RSRC2:TGID_Z_EN: 1
; COMPUTE_PGM_RSRC2:TIDIG_COMP_CNT: 1
; COMPUTE_PGM_RSRC3_GFX90A:ACCUM_OFFSET: 9
; COMPUTE_PGM_RSRC3_GFX90A:TG_SPLIT: 0
	.section	.text._ZL9moe_vec_qIN3c104HalfELi32ELi4E10block_q5_1Li2EXadL_ZL17vec_dot_q5_1_q8_1PKvPK10block_q8_1RKiEEEvS4_S4_PT_PS8_iiii,"axG",@progbits,_ZL9moe_vec_qIN3c104HalfELi32ELi4E10block_q5_1Li2EXadL_ZL17vec_dot_q5_1_q8_1PKvPK10block_q8_1RKiEEEvS4_S4_PT_PS8_iiii,comdat
	.globl	_ZL9moe_vec_qIN3c104HalfELi32ELi4E10block_q5_1Li2EXadL_ZL17vec_dot_q5_1_q8_1PKvPK10block_q8_1RKiEEEvS4_S4_PT_PS8_iiii ; -- Begin function _ZL9moe_vec_qIN3c104HalfELi32ELi4E10block_q5_1Li2EXadL_ZL17vec_dot_q5_1_q8_1PKvPK10block_q8_1RKiEEEvS4_S4_PT_PS8_iiii
	.p2align	8
	.type	_ZL9moe_vec_qIN3c104HalfELi32ELi4E10block_q5_1Li2EXadL_ZL17vec_dot_q5_1_q8_1PKvPK10block_q8_1RKiEEEvS4_S4_PT_PS8_iiii,@function
_ZL9moe_vec_qIN3c104HalfELi32ELi4E10block_q5_1Li2EXadL_ZL17vec_dot_q5_1_q8_1PKvPK10block_q8_1RKiEEEvS4_S4_PT_PS8_iiii: ; @_ZL9moe_vec_qIN3c104HalfELi32ELi4E10block_q5_1Li2EXadL_ZL17vec_dot_q5_1_q8_1PKvPK10block_q8_1RKiEEEvS4_S4_PT_PS8_iiii
; %bb.0:
	s_mov_b32 s8, s3
	s_load_dword s3, s[0:1], 0x3c
	s_load_dwordx4 s[4:7], s[0:1], 0x20
	v_bfe_u32 v1, v0, 10, 10
	s_waitcnt lgkmcnt(0)
	s_lshr_b32 s3, s3, 16
	s_mul_i32 s2, s2, s3
	v_add_u32_e32 v2, s2, v1
	v_cmp_gt_u32_e32 vcc, s6, v2
	s_and_saveexec_b64 s[2:3], vcc
	s_cbranch_execz .LBB259_7
; %bb.1:
	v_cvt_f32_u32_e32 v1, s4
	v_and_b32_e32 v3, 0x3ff, v0
	s_load_dwordx2 s[2:3], s[0:1], 0x10
	s_ashr_i32 s9, s5, 31
	v_rcp_iflag_f32_e32 v1, v1
	s_lshr_b32 s9, s9, 27
	s_add_i32 s5, s5, s9
	v_lshrrev_b32_e32 v4, 1, v3
	v_mul_f32_e32 v0, 0x4f7ffffe, v1
	v_cvt_u32_f32_e32 v0, v0
	s_ashr_i32 s14, s5, 5
	v_cmp_gt_u32_e32 vcc, s14, v4
	v_mov_b32_e32 v5, 0
	v_readfirstlane_b32 s5, v0
	s_and_saveexec_b64 s[10:11], vcc
	s_cbranch_execz .LBB259_5
; %bb.2:
	s_sub_i32 s12, 0, s4
	s_mul_i32 s15, s12, s5
	s_load_dwordx4 s[16:19], s[0:1], 0x0
	s_load_dwordx2 s[12:13], s[0:1], 0x18
	s_mov_b32 s9, 0
	s_mul_hi_u32 s0, s5, s15
	s_add_i32 s5, s5, s0
	s_lshl_b64 s[0:1], s[8:9], 2
	s_waitcnt lgkmcnt(0)
	s_add_u32 s0, s12, s0
	s_mul_hi_u32 s5, s8, s5
	s_addc_u32 s1, s13, s1
	s_load_dword s0, s[0:1], 0x0
	s_mul_i32 s1, s5, s4
	s_sub_i32 s1, s8, s1
	s_add_i32 s12, s5, 1
	s_sub_i32 s13, s1, s4
	s_cmp_ge_u32 s1, s4
	s_cselect_b32 s5, s12, s5
	s_cselect_b32 s1, s13, s1
	s_add_i32 s12, s5, 1
	s_cmp_ge_u32 s1, s4
	s_mul_i32 s1, s14, s6
	s_waitcnt lgkmcnt(0)
	s_mul_i32 s0, s1, s0
	s_cselect_b32 s4, s12, s5
	s_mul_hi_i32 s1, s0, 24
	s_mul_i32 s0, s0, 24
	s_add_u32 s0, s16, s0
	s_mul_i32 s4, s4, s7
	s_mov_b32 s5, s9
	s_addc_u32 s1, s17, s1
	s_lshl_b64 s[4:5], s[4:5], 2
	v_lshlrev_b32_e32 v0, 3, v3
	s_add_u32 s4, s18, s4
	v_and_b32_e32 v0, 8, v0
	v_mov_b32_e32 v1, 0
	s_addc_u32 s5, s19, s5
	v_mul_lo_u32 v6, v2, s14
	v_or_b32_e32 v7, 4, v0
	s_mov_b64 s[12:13], 0
	s_mov_b32 s7, 0.5
	v_mov_b32_e32 v5, v1
.LBB259_3:                              ; =>This Inner Loop Header: Depth=1
	v_add_u32_e32 v10, v6, v4
	v_mad_i64_i32 v[8:9], s[16:17], v4, 36, s[4:5]
	v_mad_i64_i32 v[10:11], s[16:17], v10, 24, s[0:1]
	v_lshl_add_u64 v[12:13], v[8:9], 0, v[0:1]
	global_load_dwordx2 v[14:15], v[10:11], off
	v_lshl_add_u64 v[10:11], v[10:11], 0, v[0:1]
	global_load_dwordx2 v[16:17], v[12:13], off offset:4
	global_load_dwordx2 v[18:19], v[12:13], off offset:20
	;; [unrolled: 1-line block ×3, first 2 shown]
	global_load_dword v22, v[8:9], off
	v_mov_b32_e32 v8, 0
	v_add_u32_e32 v4, 32, v4
	v_cmp_le_u32_e32 vcc, s14, v4
	s_or_b64 s[12:13], vcc, s[12:13]
	s_waitcnt vmcnt(4)
	v_ashrrev_i32_e32 v9, v0, v15
	v_lshlrev_b32_e32 v13, 4, v9
	s_waitcnt vmcnt(0)
	v_pk_mul_f16 v11, v14, v22
	v_lshlrev_b32_e32 v14, 11, v9
	v_ashrrev_i32_e32 v10, v7, v15
	v_and_b32_e32 v12, 0xf0f0f0f, v20
	v_lshlrev_b32_e32 v15, 18, v9
	v_lshlrev_b32_e32 v22, 25, v9
	v_lshrrev_b32_e32 v23, 12, v9
	v_lshrrev_b32_e32 v24, 5, v9
	v_lshlrev_b32_e32 v25, 2, v9
	v_and_b32_e32 v13, 16, v13
	v_and_b32_e32 v14, 0x1000, v14
	v_lshrrev_b32_e32 v20, 4, v20
	v_lshlrev_b32_e32 v9, 9, v9
	v_lshlrev_b32_e32 v27, 4, v10
	;; [unrolled: 1-line block ×4, first 2 shown]
	v_and_b32_e32 v15, 0x100000, v15
	v_and_b32_e32 v22, 0x10000000, v22
	;; [unrolled: 1-line block ×5, first 2 shown]
	v_or3_b32 v12, v13, v12, v14
	v_lshlrev_b32_e32 v30, 25, v10
	v_lshrrev_b32_e32 v31, 12, v10
	v_lshrrev_b32_e32 v32, 5, v10
	v_lshlrev_b32_e32 v33, 2, v10
	v_and_b32_e32 v20, 0xf0f0f0f, v20
	v_and_b32_e32 v9, 0x10000000, v9
	;; [unrolled: 1-line block ×5, first 2 shown]
	v_or3_b32 v13, v24, v23, v25
	v_or3_b32 v12, v12, v15, v22
	v_and_b32_e32 v26, 0xf0f0f0f, v21
	v_lshrrev_b32_e32 v21, 4, v21
	v_lshlrev_b32_e32 v10, 9, v10
	v_and_b32_e32 v30, 0x10000000, v30
	v_and_b32_e32 v31, 16, v31
	v_and_b32_e32 v32, 0x1000, v32
	v_and_b32_e32 v33, 0x100000, v33
	v_or3_b32 v14, v28, v27, v29
	v_or3_b32 v9, v13, v9, v20
	v_dot4c_i32_i8_e32 v8, v12, v16
	v_and_b32_e32 v21, 0xf0f0f0f, v21
	v_and_b32_e32 v10, 0x10000000, v10
	v_or3_b32 v23, v32, v31, v33
	v_or3_b32 v13, v14, v30, v26
	v_dot4c_i32_i8_e32 v8, v9, v18
	v_or3_b32 v10, v23, v10, v21
	v_dot4c_i32_i8_e32 v8, v13, v17
	v_dot4c_i32_i8_e32 v8, v10, v19
	v_cvt_f32_f16_e32 v34, v11
	s_nop 1
	v_cvt_f32_i32_e32 v8, v8
	v_mul_f32_e32 v8, v34, v8
	v_fma_mix_f32 v8, v11, s7, v8 op_sel:[1,0,0] op_sel_hi:[1,0,0]
	s_nop 0
	v_add_f32_e32 v5, v5, v8
	s_andn2_b64 exec, exec, s[12:13]
	s_cbranch_execnz .LBB259_3
; %bb.4:
	s_or_b64 exec, exec, s[12:13]
.LBB259_5:
	s_or_b64 exec, exec, s[10:11]
	v_mbcnt_lo_u32_b32 v0, -1, 0
	v_mbcnt_hi_u32_b32 v1, -1, v0
	v_and_b32_e32 v0, 64, v1
	v_add_u32_e32 v4, 64, v0
	v_xor_b32_e32 v0, 32, v1
	v_cmp_lt_i32_e32 vcc, v0, v4
	v_xor_b32_e32 v6, 16, v1
	s_nop 0
	v_cndmask_b32_e32 v0, v1, v0, vcc
	v_lshlrev_b32_e32 v0, 2, v0
	ds_bpermute_b32 v0, v0, v5
	v_cmp_lt_i32_e32 vcc, v6, v4
	s_waitcnt lgkmcnt(0)
	v_add_f32_e32 v0, v5, v0
	v_cndmask_b32_e32 v5, v1, v6, vcc
	v_lshlrev_b32_e32 v5, 2, v5
	ds_bpermute_b32 v5, v5, v0
	v_xor_b32_e32 v6, 8, v1
	v_cmp_lt_i32_e32 vcc, v6, v4
	s_waitcnt lgkmcnt(0)
	v_add_f32_e32 v0, v0, v5
	v_cndmask_b32_e32 v5, v1, v6, vcc
	v_lshlrev_b32_e32 v5, 2, v5
	ds_bpermute_b32 v5, v5, v0
	v_xor_b32_e32 v6, 4, v1
	;; [unrolled: 7-line block ×4, first 2 shown]
	v_cmp_lt_i32_e32 vcc, v6, v4
	s_waitcnt lgkmcnt(0)
	v_add_f32_e32 v0, v0, v5
	v_cndmask_b32_e32 v1, v1, v6, vcc
	v_lshlrev_b32_e32 v1, 2, v1
	ds_bpermute_b32 v1, v1, v0
	v_cmp_eq_u32_e32 vcc, 0, v3
	s_and_b64 exec, exec, vcc
	s_cbranch_execz .LBB259_7
; %bb.6:
	s_waitcnt lgkmcnt(0)
	v_add_f32_e32 v0, v0, v1
	v_cvt_f16_f32_e32 v3, v0
	s_mul_i32 s0, s8, s6
	v_add_u32_e32 v0, s0, v2
	v_mov_b32_e32 v1, 0
	v_lshl_add_u64 v[0:1], v[0:1], 1, s[2:3]
	global_store_short v[0:1], v3, off
.LBB259_7:
	s_endpgm
	.section	.rodata,"a",@progbits
	.p2align	6, 0x0
	.amdhsa_kernel _ZL9moe_vec_qIN3c104HalfELi32ELi4E10block_q5_1Li2EXadL_ZL17vec_dot_q5_1_q8_1PKvPK10block_q8_1RKiEEEvS4_S4_PT_PS8_iiii
		.amdhsa_group_segment_fixed_size 0
		.amdhsa_private_segment_fixed_size 0
		.amdhsa_kernarg_size 304
		.amdhsa_user_sgpr_count 2
		.amdhsa_user_sgpr_dispatch_ptr 0
		.amdhsa_user_sgpr_queue_ptr 0
		.amdhsa_user_sgpr_kernarg_segment_ptr 1
		.amdhsa_user_sgpr_dispatch_id 0
		.amdhsa_user_sgpr_kernarg_preload_length 0
		.amdhsa_user_sgpr_kernarg_preload_offset 0
		.amdhsa_user_sgpr_private_segment_size 0
		.amdhsa_uses_dynamic_stack 0
		.amdhsa_enable_private_segment 0
		.amdhsa_system_sgpr_workgroup_id_x 1
		.amdhsa_system_sgpr_workgroup_id_y 0
		.amdhsa_system_sgpr_workgroup_id_z 1
		.amdhsa_system_sgpr_workgroup_info 0
		.amdhsa_system_vgpr_workitem_id 1
		.amdhsa_next_free_vgpr 35
		.amdhsa_next_free_sgpr 20
		.amdhsa_accum_offset 36
		.amdhsa_reserve_vcc 1
		.amdhsa_float_round_mode_32 0
		.amdhsa_float_round_mode_16_64 0
		.amdhsa_float_denorm_mode_32 3
		.amdhsa_float_denorm_mode_16_64 3
		.amdhsa_dx10_clamp 1
		.amdhsa_ieee_mode 1
		.amdhsa_fp16_overflow 0
		.amdhsa_tg_split 0
		.amdhsa_exception_fp_ieee_invalid_op 0
		.amdhsa_exception_fp_denorm_src 0
		.amdhsa_exception_fp_ieee_div_zero 0
		.amdhsa_exception_fp_ieee_overflow 0
		.amdhsa_exception_fp_ieee_underflow 0
		.amdhsa_exception_fp_ieee_inexact 0
		.amdhsa_exception_int_div_zero 0
	.end_amdhsa_kernel
	.section	.text._ZL9moe_vec_qIN3c104HalfELi32ELi4E10block_q5_1Li2EXadL_ZL17vec_dot_q5_1_q8_1PKvPK10block_q8_1RKiEEEvS4_S4_PT_PS8_iiii,"axG",@progbits,_ZL9moe_vec_qIN3c104HalfELi32ELi4E10block_q5_1Li2EXadL_ZL17vec_dot_q5_1_q8_1PKvPK10block_q8_1RKiEEEvS4_S4_PT_PS8_iiii,comdat
.Lfunc_end259:
	.size	_ZL9moe_vec_qIN3c104HalfELi32ELi4E10block_q5_1Li2EXadL_ZL17vec_dot_q5_1_q8_1PKvPK10block_q8_1RKiEEEvS4_S4_PT_PS8_iiii, .Lfunc_end259-_ZL9moe_vec_qIN3c104HalfELi32ELi4E10block_q5_1Li2EXadL_ZL17vec_dot_q5_1_q8_1PKvPK10block_q8_1RKiEEEvS4_S4_PT_PS8_iiii
                                        ; -- End function
	.section	.AMDGPU.csdata,"",@progbits
; Kernel info:
; codeLenInByte = 1048
; NumSgprs: 26
; NumVgprs: 35
; NumAgprs: 0
; TotalNumVgprs: 35
; ScratchSize: 0
; MemoryBound: 0
; FloatMode: 240
; IeeeMode: 1
; LDSByteSize: 0 bytes/workgroup (compile time only)
; SGPRBlocks: 3
; VGPRBlocks: 4
; NumSGPRsForWavesPerEU: 26
; NumVGPRsForWavesPerEU: 35
; AccumOffset: 36
; Occupancy: 8
; WaveLimiterHint : 1
; COMPUTE_PGM_RSRC2:SCRATCH_EN: 0
; COMPUTE_PGM_RSRC2:USER_SGPR: 2
; COMPUTE_PGM_RSRC2:TRAP_HANDLER: 0
; COMPUTE_PGM_RSRC2:TGID_X_EN: 1
; COMPUTE_PGM_RSRC2:TGID_Y_EN: 0
; COMPUTE_PGM_RSRC2:TGID_Z_EN: 1
; COMPUTE_PGM_RSRC2:TIDIG_COMP_CNT: 1
; COMPUTE_PGM_RSRC3_GFX90A:ACCUM_OFFSET: 8
; COMPUTE_PGM_RSRC3_GFX90A:TG_SPLIT: 0
	.section	.text._ZL9moe_vec_qIN3c104HalfELi32ELi8E10block_q8_0Li2EXadL_ZL17vec_dot_q8_0_q8_1PKvPK10block_q8_1RKiEEEvS4_S4_PT_PS8_iiii,"axG",@progbits,_ZL9moe_vec_qIN3c104HalfELi32ELi8E10block_q8_0Li2EXadL_ZL17vec_dot_q8_0_q8_1PKvPK10block_q8_1RKiEEEvS4_S4_PT_PS8_iiii,comdat
	.globl	_ZL9moe_vec_qIN3c104HalfELi32ELi8E10block_q8_0Li2EXadL_ZL17vec_dot_q8_0_q8_1PKvPK10block_q8_1RKiEEEvS4_S4_PT_PS8_iiii ; -- Begin function _ZL9moe_vec_qIN3c104HalfELi32ELi8E10block_q8_0Li2EXadL_ZL17vec_dot_q8_0_q8_1PKvPK10block_q8_1RKiEEEvS4_S4_PT_PS8_iiii
	.p2align	8
	.type	_ZL9moe_vec_qIN3c104HalfELi32ELi8E10block_q8_0Li2EXadL_ZL17vec_dot_q8_0_q8_1PKvPK10block_q8_1RKiEEEvS4_S4_PT_PS8_iiii,@function
_ZL9moe_vec_qIN3c104HalfELi32ELi8E10block_q8_0Li2EXadL_ZL17vec_dot_q8_0_q8_1PKvPK10block_q8_1RKiEEEvS4_S4_PT_PS8_iiii: ; @_ZL9moe_vec_qIN3c104HalfELi32ELi8E10block_q8_0Li2EXadL_ZL17vec_dot_q8_0_q8_1PKvPK10block_q8_1RKiEEEvS4_S4_PT_PS8_iiii
; %bb.0:
	s_mov_b32 s8, s3
	s_load_dword s3, s[0:1], 0x3c
	s_load_dwordx4 s[4:7], s[0:1], 0x20
	v_bfe_u32 v1, v0, 10, 10
	s_waitcnt lgkmcnt(0)
	s_lshr_b32 s3, s3, 16
	s_mul_i32 s2, s2, s3
	v_add_u32_e32 v2, s2, v1
	v_cmp_gt_u32_e32 vcc, s6, v2
	s_and_saveexec_b64 s[2:3], vcc
	s_cbranch_execz .LBB260_7
; %bb.1:
	v_cvt_f32_u32_e32 v1, s4
	v_and_b32_e32 v3, 0x3ff, v0
	s_load_dwordx2 s[2:3], s[0:1], 0x10
	s_ashr_i32 s9, s5, 31
	v_rcp_iflag_f32_e32 v1, v1
	s_lshr_b32 s9, s9, 27
	s_add_i32 s5, s5, s9
	v_lshrrev_b32_e32 v4, 2, v3
	v_mul_f32_e32 v0, 0x4f7ffffe, v1
	v_cvt_u32_f32_e32 v0, v0
	s_ashr_i32 s14, s5, 5
	v_cmp_gt_u32_e32 vcc, s14, v4
	v_mov_b32_e32 v5, 0
	v_readfirstlane_b32 s5, v0
	s_and_saveexec_b64 s[10:11], vcc
	s_cbranch_execz .LBB260_5
; %bb.2:
	s_sub_i32 s12, 0, s4
	s_mul_i32 s15, s12, s5
	s_load_dwordx4 s[16:19], s[0:1], 0x0
	s_load_dwordx2 s[12:13], s[0:1], 0x18
	s_mov_b32 s9, 0
	s_mul_hi_u32 s0, s5, s15
	s_add_i32 s5, s5, s0
	s_lshl_b64 s[0:1], s[8:9], 2
	s_waitcnt lgkmcnt(0)
	s_add_u32 s0, s12, s0
	s_mul_hi_u32 s5, s8, s5
	s_addc_u32 s1, s13, s1
	s_load_dword s0, s[0:1], 0x0
	s_mul_i32 s1, s5, s4
	s_sub_i32 s1, s8, s1
	s_add_i32 s12, s5, 1
	s_sub_i32 s13, s1, s4
	s_cmp_ge_u32 s1, s4
	s_cselect_b32 s5, s12, s5
	s_cselect_b32 s1, s13, s1
	s_add_i32 s12, s5, 1
	s_cmp_ge_u32 s1, s4
	s_mul_i32 s1, s14, s6
	s_waitcnt lgkmcnt(0)
	s_mul_i32 s0, s1, s0
	s_cselect_b32 s4, s12, s5
	s_mul_hi_i32 s1, s0, 34
	s_mul_i32 s0, s0, 34
	s_add_u32 s0, s16, s0
	s_mul_i32 s4, s4, s7
	s_mov_b32 s5, s9
	s_addc_u32 s1, s17, s1
	s_lshl_b64 s[4:5], s[4:5], 2
	s_add_u32 s4, s18, s4
	v_lshlrev_b32_e32 v0, 3, v3
	v_mov_b32_e32 v1, 0
	s_addc_u32 s5, s19, s5
	v_mul_lo_u32 v6, v2, s14
	v_and_b32_e32 v0, 24, v0
	s_mov_b64 s[12:13], 0
	v_mov_b32_e32 v5, v1
.LBB260_3:                              ; =>This Inner Loop Header: Depth=1
	v_add_u32_e32 v7, v6, v4
	v_mad_i64_i32 v[8:9], s[16:17], v4, 36, s[4:5]
	v_mad_i64_i32 v[10:11], s[16:17], v7, 34, s[0:1]
	v_lshl_add_u64 v[12:13], v[8:9], 0, v[0:1]
	global_load_dword v7, v[8:9], off
	v_lshl_add_u64 v[8:9], v[10:11], 0, v[0:1]
	global_load_dwordx2 v[14:15], v[12:13], off offset:4
	global_load_dwordx2 v[16:17], v[8:9], off offset:2
	global_load_ushort v18, v[10:11], off
	v_mov_b32_e32 v8, 0
	v_add_u32_e32 v4, 16, v4
	v_cmp_le_u32_e32 vcc, s14, v4
	s_or_b64 s[12:13], vcc, s[12:13]
	s_waitcnt vmcnt(3)
	v_cvt_f32_f16_e32 v7, v7
	s_waitcnt vmcnt(1)
	v_dot4c_i32_i8_e32 v8, v16, v14
	s_waitcnt vmcnt(0)
	v_cvt_f32_f16_e32 v9, v18
	v_dot4c_i32_i8_e32 v8, v17, v15
	v_mul_f32_e32 v7, v9, v7
	s_nop 1
	v_cvt_f32_i32_e32 v8, v8
	v_fmac_f32_e32 v5, v7, v8
	s_andn2_b64 exec, exec, s[12:13]
	s_cbranch_execnz .LBB260_3
; %bb.4:
	s_or_b64 exec, exec, s[12:13]
.LBB260_5:
	s_or_b64 exec, exec, s[10:11]
	v_mbcnt_lo_u32_b32 v0, -1, 0
	v_mbcnt_hi_u32_b32 v1, -1, v0
	v_and_b32_e32 v0, 64, v1
	v_add_u32_e32 v4, 64, v0
	v_xor_b32_e32 v0, 32, v1
	v_cmp_lt_i32_e32 vcc, v0, v4
	v_xor_b32_e32 v6, 16, v1
	s_nop 0
	v_cndmask_b32_e32 v0, v1, v0, vcc
	v_lshlrev_b32_e32 v0, 2, v0
	ds_bpermute_b32 v0, v0, v5
	v_cmp_lt_i32_e32 vcc, v6, v4
	s_waitcnt lgkmcnt(0)
	v_add_f32_e32 v0, v5, v0
	v_cndmask_b32_e32 v5, v1, v6, vcc
	v_lshlrev_b32_e32 v5, 2, v5
	ds_bpermute_b32 v5, v5, v0
	v_xor_b32_e32 v6, 8, v1
	v_cmp_lt_i32_e32 vcc, v6, v4
	s_waitcnt lgkmcnt(0)
	v_add_f32_e32 v0, v0, v5
	v_cndmask_b32_e32 v5, v1, v6, vcc
	v_lshlrev_b32_e32 v5, 2, v5
	ds_bpermute_b32 v5, v5, v0
	v_xor_b32_e32 v6, 4, v1
	;; [unrolled: 7-line block ×4, first 2 shown]
	v_cmp_lt_i32_e32 vcc, v6, v4
	s_waitcnt lgkmcnt(0)
	v_add_f32_e32 v0, v0, v5
	v_cndmask_b32_e32 v1, v1, v6, vcc
	v_lshlrev_b32_e32 v1, 2, v1
	ds_bpermute_b32 v1, v1, v0
	v_cmp_eq_u32_e32 vcc, 0, v3
	s_and_b64 exec, exec, vcc
	s_cbranch_execz .LBB260_7
; %bb.6:
	s_waitcnt lgkmcnt(0)
	v_add_f32_e32 v0, v0, v1
	v_cvt_f16_f32_e32 v3, v0
	s_mul_i32 s0, s8, s6
	v_add_u32_e32 v0, s0, v2
	v_mov_b32_e32 v1, 0
	v_lshl_add_u64 v[0:1], v[0:1], 1, s[2:3]
	global_store_short v[0:1], v3, off
.LBB260_7:
	s_endpgm
	.section	.rodata,"a",@progbits
	.p2align	6, 0x0
	.amdhsa_kernel _ZL9moe_vec_qIN3c104HalfELi32ELi8E10block_q8_0Li2EXadL_ZL17vec_dot_q8_0_q8_1PKvPK10block_q8_1RKiEEEvS4_S4_PT_PS8_iiii
		.amdhsa_group_segment_fixed_size 0
		.amdhsa_private_segment_fixed_size 0
		.amdhsa_kernarg_size 304
		.amdhsa_user_sgpr_count 2
		.amdhsa_user_sgpr_dispatch_ptr 0
		.amdhsa_user_sgpr_queue_ptr 0
		.amdhsa_user_sgpr_kernarg_segment_ptr 1
		.amdhsa_user_sgpr_dispatch_id 0
		.amdhsa_user_sgpr_kernarg_preload_length 0
		.amdhsa_user_sgpr_kernarg_preload_offset 0
		.amdhsa_user_sgpr_private_segment_size 0
		.amdhsa_uses_dynamic_stack 0
		.amdhsa_enable_private_segment 0
		.amdhsa_system_sgpr_workgroup_id_x 1
		.amdhsa_system_sgpr_workgroup_id_y 0
		.amdhsa_system_sgpr_workgroup_id_z 1
		.amdhsa_system_sgpr_workgroup_info 0
		.amdhsa_system_vgpr_workitem_id 1
		.amdhsa_next_free_vgpr 19
		.amdhsa_next_free_sgpr 20
		.amdhsa_accum_offset 20
		.amdhsa_reserve_vcc 1
		.amdhsa_float_round_mode_32 0
		.amdhsa_float_round_mode_16_64 0
		.amdhsa_float_denorm_mode_32 3
		.amdhsa_float_denorm_mode_16_64 3
		.amdhsa_dx10_clamp 1
		.amdhsa_ieee_mode 1
		.amdhsa_fp16_overflow 0
		.amdhsa_tg_split 0
		.amdhsa_exception_fp_ieee_invalid_op 0
		.amdhsa_exception_fp_denorm_src 0
		.amdhsa_exception_fp_ieee_div_zero 0
		.amdhsa_exception_fp_ieee_overflow 0
		.amdhsa_exception_fp_ieee_underflow 0
		.amdhsa_exception_fp_ieee_inexact 0
		.amdhsa_exception_int_div_zero 0
	.end_amdhsa_kernel
	.section	.text._ZL9moe_vec_qIN3c104HalfELi32ELi8E10block_q8_0Li2EXadL_ZL17vec_dot_q8_0_q8_1PKvPK10block_q8_1RKiEEEvS4_S4_PT_PS8_iiii,"axG",@progbits,_ZL9moe_vec_qIN3c104HalfELi32ELi8E10block_q8_0Li2EXadL_ZL17vec_dot_q8_0_q8_1PKvPK10block_q8_1RKiEEEvS4_S4_PT_PS8_iiii,comdat
.Lfunc_end260:
	.size	_ZL9moe_vec_qIN3c104HalfELi32ELi8E10block_q8_0Li2EXadL_ZL17vec_dot_q8_0_q8_1PKvPK10block_q8_1RKiEEEvS4_S4_PT_PS8_iiii, .Lfunc_end260-_ZL9moe_vec_qIN3c104HalfELi32ELi8E10block_q8_0Li2EXadL_ZL17vec_dot_q8_0_q8_1PKvPK10block_q8_1RKiEEEvS4_S4_PT_PS8_iiii
                                        ; -- End function
	.section	.AMDGPU.csdata,"",@progbits
; Kernel info:
; codeLenInByte = 724
; NumSgprs: 26
; NumVgprs: 19
; NumAgprs: 0
; TotalNumVgprs: 19
; ScratchSize: 0
; MemoryBound: 0
; FloatMode: 240
; IeeeMode: 1
; LDSByteSize: 0 bytes/workgroup (compile time only)
; SGPRBlocks: 3
; VGPRBlocks: 2
; NumSGPRsForWavesPerEU: 26
; NumVGPRsForWavesPerEU: 19
; AccumOffset: 20
; Occupancy: 8
; WaveLimiterHint : 1
; COMPUTE_PGM_RSRC2:SCRATCH_EN: 0
; COMPUTE_PGM_RSRC2:USER_SGPR: 2
; COMPUTE_PGM_RSRC2:TRAP_HANDLER: 0
; COMPUTE_PGM_RSRC2:TGID_X_EN: 1
; COMPUTE_PGM_RSRC2:TGID_Y_EN: 0
; COMPUTE_PGM_RSRC2:TGID_Z_EN: 1
; COMPUTE_PGM_RSRC2:TIDIG_COMP_CNT: 1
; COMPUTE_PGM_RSRC3_GFX90A:ACCUM_OFFSET: 4
; COMPUTE_PGM_RSRC3_GFX90A:TG_SPLIT: 0
	.section	.text._ZL9moe_vec_qIN3c104HalfELi256ELi16E10block_q2_KLi1EXadL_ZL17vec_dot_q2_K_q8_1PKvPK10block_q8_1RKiEEEvS4_S4_PT_PS8_iiii,"axG",@progbits,_ZL9moe_vec_qIN3c104HalfELi256ELi16E10block_q2_KLi1EXadL_ZL17vec_dot_q2_K_q8_1PKvPK10block_q8_1RKiEEEvS4_S4_PT_PS8_iiii,comdat
	.globl	_ZL9moe_vec_qIN3c104HalfELi256ELi16E10block_q2_KLi1EXadL_ZL17vec_dot_q2_K_q8_1PKvPK10block_q8_1RKiEEEvS4_S4_PT_PS8_iiii ; -- Begin function _ZL9moe_vec_qIN3c104HalfELi256ELi16E10block_q2_KLi1EXadL_ZL17vec_dot_q2_K_q8_1PKvPK10block_q8_1RKiEEEvS4_S4_PT_PS8_iiii
	.p2align	8
	.type	_ZL9moe_vec_qIN3c104HalfELi256ELi16E10block_q2_KLi1EXadL_ZL17vec_dot_q2_K_q8_1PKvPK10block_q8_1RKiEEEvS4_S4_PT_PS8_iiii,@function
_ZL9moe_vec_qIN3c104HalfELi256ELi16E10block_q2_KLi1EXadL_ZL17vec_dot_q2_K_q8_1PKvPK10block_q8_1RKiEEEvS4_S4_PT_PS8_iiii: ; @_ZL9moe_vec_qIN3c104HalfELi256ELi16E10block_q2_KLi1EXadL_ZL17vec_dot_q2_K_q8_1PKvPK10block_q8_1RKiEEEvS4_S4_PT_PS8_iiii
; %bb.0:
	s_mov_b32 s8, s3
	s_load_dword s3, s[0:1], 0x3c
	s_load_dwordx4 s[4:7], s[0:1], 0x20
	v_bfe_u32 v1, v0, 10, 10
	s_waitcnt lgkmcnt(0)
	s_lshr_b32 s3, s3, 16
	s_mul_i32 s2, s2, s3
	v_add_u32_e32 v10, s2, v1
	v_cmp_gt_u32_e32 vcc, s6, v10
	s_and_saveexec_b64 s[2:3], vcc
	s_cbranch_execz .LBB261_7
; %bb.1:
	v_cvt_f32_u32_e32 v1, s4
	v_and_b32_e32 v11, 0x3ff, v0
	s_load_dwordx2 s[2:3], s[0:1], 0x10
	s_ashr_i32 s9, s5, 31
	v_rcp_iflag_f32_e32 v1, v1
	s_lshr_b32 s9, s9, 24
	s_add_i32 s5, s5, s9
	v_lshrrev_b32_e32 v12, 4, v11
	v_mul_f32_e32 v0, 0x4f7ffffe, v1
	v_cvt_u32_f32_e32 v0, v0
	s_ashr_i32 s14, s5, 8
	v_cmp_gt_u32_e32 vcc, s14, v12
	v_mov_b32_e32 v14, 0
	v_readfirstlane_b32 s5, v0
	s_and_saveexec_b64 s[10:11], vcc
	s_cbranch_execz .LBB261_5
; %bb.2:
	s_sub_i32 s12, 0, s4
	s_mul_i32 s15, s12, s5
	s_load_dwordx4 s[16:19], s[0:1], 0x0
	s_load_dwordx2 s[12:13], s[0:1], 0x18
	s_mov_b32 s9, 0
	s_mul_hi_u32 s0, s5, s15
	s_add_i32 s5, s5, s0
	s_lshl_b64 s[0:1], s[8:9], 2
	s_waitcnt lgkmcnt(0)
	s_add_u32 s0, s12, s0
	s_mul_hi_u32 s5, s8, s5
	s_addc_u32 s1, s13, s1
	s_load_dword s0, s[0:1], 0x0
	s_mul_i32 s1, s5, s4
	s_sub_i32 s1, s8, s1
	s_add_i32 s12, s5, 1
	s_sub_i32 s13, s1, s4
	s_cmp_ge_u32 s1, s4
	s_cselect_b32 s5, s12, s5
	s_cselect_b32 s1, s13, s1
	s_add_i32 s12, s5, 1
	s_cmp_ge_u32 s1, s4
	s_mul_i32 s4, s14, s6
	s_waitcnt lgkmcnt(0)
	s_mul_i32 s0, s4, s0
	s_cselect_b32 s1, s12, s5
	s_mul_hi_i32 s5, s0, 0x54
	s_mulk_i32 s0, 0x54
	v_and_b32_e32 v6, 15, v11
	s_add_u32 s4, s16, s0
	s_mul_i32 s0, s1, s7
	s_mov_b32 s1, s9
	v_cmp_lt_u32_e32 vcc, 7, v6
	s_addc_u32 s5, s17, s5
	s_lshl_b64 s[0:1], s[0:1], 2
	v_cndmask_b32_e64 v0, 0, 1, vcc
	v_mov_b32_e32 v1, 0
	v_add_u32_e32 v2, -8, v6
	v_cmp_gt_u32_e32 vcc, 8, v6
	s_add_u32 s0, s18, s0
	v_mov_b32_e32 v5, v1
	v_cndmask_b32_e32 v4, v2, v6, vcc
	s_addc_u32 s1, s19, s1
	v_lshlrev_b32_e32 v7, 2, v0
	v_lshlrev_b64 v[2:3], 2, v[4:5]
	v_sub_u32_e32 v5, v6, v4
	v_cmp_lt_u32_e32 vcc, 3, v4
	v_lshlrev_b32_e32 v0, 2, v6
	v_mad_u64_u32 v[6:7], s[0:1], v7, 36, s[0:1]
	v_addc_co_u32_e32 v4, vcc, 0, v5, vcc
	s_movk_i32 s15, 0x54
	v_mul_lo_u32 v13, v10, s14
	v_ashrrev_i32_e32 v5, 31, v4
	v_lshlrev_b32_e32 v15, 3, v12
	s_mov_b64 s[0:1], 0
	v_mov_b64_e32 v[8:9], s[4:5]
	s_mov_b64 s[4:5], 0x48
	s_mov_b64 s[12:13], 0x6c
	s_mov_b32 s7, 0x1010101
	v_mov_b32_e32 v14, v1
.LBB261_3:                              ; =>This Inner Loop Header: Depth=1
	v_mad_i64_i32 v[16:17], s[16:17], v15, 36, v[6:7]
	v_add_u32_e32 v18, v13, v12
	global_load_dword v32, v[16:17], off
	global_load_dword v33, v[16:17], off offset:36
	global_load_dword v34, v[16:17], off offset:72
	v_mad_i64_i32 v[18:19], s[16:17], v18, s15, v[8:9]
	v_lshl_add_u64 v[20:21], v[16:17], 0, v[2:3]
	v_lshl_add_u64 v[22:23], v[16:17], 0, 36
	;; [unrolled: 1-line block ×9, first 2 shown]
	global_load_dword v35, v[20:21], off offset:4
	global_load_dword v36, v[22:23], off offset:4
	;; [unrolled: 1-line block ×6, first 2 shown]
	global_load_ubyte v41, v[30:31], off
	global_load_ubyte v42, v[30:31], off offset:2
	global_load_ubyte v43, v[30:31], off offset:4
	;; [unrolled: 1-line block ×3, first 2 shown]
	global_load_dword v45, v[18:19], off offset:80
	v_mov_b32_e32 v17, 0
	v_mov_b32_e32 v19, 0
	;; [unrolled: 1-line block ×8, first 2 shown]
	v_add_u32_e32 v12, 4, v12
	v_cmp_le_u32_e32 vcc, s14, v12
	v_add_u32_e32 v15, 32, v15
	s_or_b64 s[0:1], vcc, s[0:1]
	s_waitcnt vmcnt(13)
	v_cvt_f32_f16_e32 v16, v32
	s_waitcnt vmcnt(12)
	v_cvt_f32_f16_e32 v18, v33
	;; [unrolled: 2-line block ×4, first 2 shown]
	s_waitcnt vmcnt(5)
	v_and_b32_e32 v29, 0x3030303, v40
	s_waitcnt vmcnt(4)
	v_and_b32_e32 v31, 15, v41
	v_lshrrev_b32_e32 v32, 4, v41
	v_lshrrev_b32_e32 v33, 2, v40
	s_waitcnt vmcnt(3)
	v_lshrrev_b32_e32 v39, 4, v42
	v_lshrrev_b32_e32 v41, 4, v40
	;; [unrolled: 1-line block ×3, first 2 shown]
	v_and_b32_e32 v34, 15, v42
	s_waitcnt vmcnt(2)
	v_and_b32_e32 v42, 15, v43
	v_lshrrev_b32_e32 v43, 4, v43
	v_dot4c_i32_i8_e32 v17, v29, v35
	v_mul_lo_u32 v29, v32, s7
	v_and_b32_e32 v32, 0x3030303, v33
	v_mul_lo_u32 v33, v39, s7
	v_and_b32_e32 v39, 0x3030303, v41
	v_and_b32_e32 v40, 0x3030303, v40
	s_waitcnt vmcnt(1)
	v_and_b32_e32 v46, 15, v44
	v_lshrrev_b32_e32 v44, 4, v44
	v_mul_lo_u32 v41, v43, s7
	v_mul_lo_u32 v17, v31, v17
	v_dot4c_i32_i8_e32 v19, v29, v35
	v_dot4c_i32_i8_e32 v21, v32, v36
	;; [unrolled: 1-line block ×4, first 2 shown]
	v_mul_lo_u32 v43, v44, s7
	v_dot4c_i32_i8_e32 v23, v33, v36
	v_dot4c_i32_i8_e32 v28, v41, v37
	v_mul_lo_u32 v21, v34, v21
	v_mul_lo_u32 v32, v42, v26
	;; [unrolled: 1-line block ×3, first 2 shown]
	v_cvt_f32_i32_e32 v27, v19
	v_cvt_f32_i32_e32 v26, v17
	v_dot4c_i32_i8_e32 v30, v43, v38
	v_cvt_f32_i32_e32 v29, v23
	v_cvt_f32_i32_e32 v31, v28
	;; [unrolled: 1-line block ×6, first 2 shown]
	s_waitcnt vmcnt(0)
	v_cvt_f32_f16_e32 v24, v45
	v_cvt_f32_f16_sdwa v25, v45 dst_sel:DWORD dst_unused:UNUSED_PAD src0_sel:WORD_1
	v_pk_fma_f32 v[16:17], v[16:17], v[26:27], 0 op_sel_hi:[0,1,0]
	v_pk_fma_f32 v[16:17], v[18:19], v[28:29], v[16:17] op_sel_hi:[0,1,1]
	;; [unrolled: 1-line block ×4, first 2 shown]
	v_pk_mul_f32 v[16:17], v[16:17], v[24:25]
	s_nop 0
	v_sub_f32_e32 v16, v16, v17
	v_add_f32_e32 v14, v14, v16
	s_andn2_b64 exec, exec, s[0:1]
	s_cbranch_execnz .LBB261_3
; %bb.4:
	s_or_b64 exec, exec, s[0:1]
.LBB261_5:
	s_or_b64 exec, exec, s[10:11]
	v_mbcnt_lo_u32_b32 v0, -1, 0
	v_mbcnt_hi_u32_b32 v1, -1, v0
	v_and_b32_e32 v0, 64, v1
	v_add_u32_e32 v2, 64, v0
	v_xor_b32_e32 v0, 32, v1
	v_cmp_lt_i32_e32 vcc, v0, v2
	v_xor_b32_e32 v3, 16, v1
	v_xor_b32_e32 v4, 8, v1
	v_cndmask_b32_e32 v0, v1, v0, vcc
	v_lshlrev_b32_e32 v0, 2, v0
	ds_bpermute_b32 v0, v0, v14
	v_cmp_lt_i32_e32 vcc, v3, v2
	s_waitcnt lgkmcnt(0)
	v_add_f32_e32 v0, v14, v0
	v_cndmask_b32_e32 v3, v1, v3, vcc
	v_lshlrev_b32_e32 v3, 2, v3
	ds_bpermute_b32 v3, v3, v0
	v_cmp_lt_i32_e32 vcc, v4, v2
	s_waitcnt lgkmcnt(0)
	v_add_f32_e32 v0, v0, v3
	v_cndmask_b32_e32 v3, v1, v4, vcc
	v_lshlrev_b32_e32 v3, 2, v3
	ds_bpermute_b32 v3, v3, v0
	v_xor_b32_e32 v4, 4, v1
	v_cmp_lt_i32_e32 vcc, v4, v2
	s_waitcnt lgkmcnt(0)
	v_add_f32_e32 v0, v0, v3
	v_cndmask_b32_e32 v3, v1, v4, vcc
	v_lshlrev_b32_e32 v3, 2, v3
	ds_bpermute_b32 v3, v3, v0
	v_xor_b32_e32 v4, 2, v1
	v_cmp_lt_i32_e32 vcc, v4, v2
	s_waitcnt lgkmcnt(0)
	v_add_f32_e32 v0, v0, v3
	v_cndmask_b32_e32 v3, v1, v4, vcc
	v_lshlrev_b32_e32 v3, 2, v3
	ds_bpermute_b32 v3, v3, v0
	v_xor_b32_e32 v4, 1, v1
	v_cmp_lt_i32_e32 vcc, v4, v2
	s_waitcnt lgkmcnt(0)
	v_add_f32_e32 v0, v0, v3
	v_cndmask_b32_e32 v1, v1, v4, vcc
	v_lshlrev_b32_e32 v1, 2, v1
	ds_bpermute_b32 v1, v1, v0
	v_cmp_eq_u32_e32 vcc, 0, v11
	s_and_b64 exec, exec, vcc
	s_cbranch_execz .LBB261_7
; %bb.6:
	s_waitcnt lgkmcnt(0)
	v_add_f32_e32 v0, v0, v1
	v_cvt_f16_f32_e32 v2, v0
	s_mul_i32 s0, s8, s6
	v_add_u32_e32 v0, s0, v10
	v_mov_b32_e32 v1, 0
	v_lshl_add_u64 v[0:1], v[0:1], 1, s[2:3]
	global_store_short v[0:1], v2, off
.LBB261_7:
	s_endpgm
	.section	.rodata,"a",@progbits
	.p2align	6, 0x0
	.amdhsa_kernel _ZL9moe_vec_qIN3c104HalfELi256ELi16E10block_q2_KLi1EXadL_ZL17vec_dot_q2_K_q8_1PKvPK10block_q8_1RKiEEEvS4_S4_PT_PS8_iiii
		.amdhsa_group_segment_fixed_size 0
		.amdhsa_private_segment_fixed_size 0
		.amdhsa_kernarg_size 304
		.amdhsa_user_sgpr_count 2
		.amdhsa_user_sgpr_dispatch_ptr 0
		.amdhsa_user_sgpr_queue_ptr 0
		.amdhsa_user_sgpr_kernarg_segment_ptr 1
		.amdhsa_user_sgpr_dispatch_id 0
		.amdhsa_user_sgpr_kernarg_preload_length 0
		.amdhsa_user_sgpr_kernarg_preload_offset 0
		.amdhsa_user_sgpr_private_segment_size 0
		.amdhsa_uses_dynamic_stack 0
		.amdhsa_enable_private_segment 0
		.amdhsa_system_sgpr_workgroup_id_x 1
		.amdhsa_system_sgpr_workgroup_id_y 0
		.amdhsa_system_sgpr_workgroup_id_z 1
		.amdhsa_system_sgpr_workgroup_info 0
		.amdhsa_system_vgpr_workitem_id 1
		.amdhsa_next_free_vgpr 47
		.amdhsa_next_free_sgpr 20
		.amdhsa_accum_offset 48
		.amdhsa_reserve_vcc 1
		.amdhsa_float_round_mode_32 0
		.amdhsa_float_round_mode_16_64 0
		.amdhsa_float_denorm_mode_32 3
		.amdhsa_float_denorm_mode_16_64 3
		.amdhsa_dx10_clamp 1
		.amdhsa_ieee_mode 1
		.amdhsa_fp16_overflow 0
		.amdhsa_tg_split 0
		.amdhsa_exception_fp_ieee_invalid_op 0
		.amdhsa_exception_fp_denorm_src 0
		.amdhsa_exception_fp_ieee_div_zero 0
		.amdhsa_exception_fp_ieee_overflow 0
		.amdhsa_exception_fp_ieee_underflow 0
		.amdhsa_exception_fp_ieee_inexact 0
		.amdhsa_exception_int_div_zero 0
	.end_amdhsa_kernel
	.section	.text._ZL9moe_vec_qIN3c104HalfELi256ELi16E10block_q2_KLi1EXadL_ZL17vec_dot_q2_K_q8_1PKvPK10block_q8_1RKiEEEvS4_S4_PT_PS8_iiii,"axG",@progbits,_ZL9moe_vec_qIN3c104HalfELi256ELi16E10block_q2_KLi1EXadL_ZL17vec_dot_q2_K_q8_1PKvPK10block_q8_1RKiEEEvS4_S4_PT_PS8_iiii,comdat
.Lfunc_end261:
	.size	_ZL9moe_vec_qIN3c104HalfELi256ELi16E10block_q2_KLi1EXadL_ZL17vec_dot_q2_K_q8_1PKvPK10block_q8_1RKiEEEvS4_S4_PT_PS8_iiii, .Lfunc_end261-_ZL9moe_vec_qIN3c104HalfELi256ELi16E10block_q2_KLi1EXadL_ZL17vec_dot_q2_K_q8_1PKvPK10block_q8_1RKiEEEvS4_S4_PT_PS8_iiii
                                        ; -- End function
	.section	.AMDGPU.csdata,"",@progbits
; Kernel info:
; codeLenInByte = 1272
; NumSgprs: 26
; NumVgprs: 47
; NumAgprs: 0
; TotalNumVgprs: 47
; ScratchSize: 0
; MemoryBound: 0
; FloatMode: 240
; IeeeMode: 1
; LDSByteSize: 0 bytes/workgroup (compile time only)
; SGPRBlocks: 3
; VGPRBlocks: 5
; NumSGPRsForWavesPerEU: 26
; NumVGPRsForWavesPerEU: 47
; AccumOffset: 48
; Occupancy: 8
; WaveLimiterHint : 1
; COMPUTE_PGM_RSRC2:SCRATCH_EN: 0
; COMPUTE_PGM_RSRC2:USER_SGPR: 2
; COMPUTE_PGM_RSRC2:TRAP_HANDLER: 0
; COMPUTE_PGM_RSRC2:TGID_X_EN: 1
; COMPUTE_PGM_RSRC2:TGID_Y_EN: 0
; COMPUTE_PGM_RSRC2:TGID_Z_EN: 1
; COMPUTE_PGM_RSRC2:TIDIG_COMP_CNT: 1
; COMPUTE_PGM_RSRC3_GFX90A:ACCUM_OFFSET: 11
; COMPUTE_PGM_RSRC3_GFX90A:TG_SPLIT: 0
	.section	.text._ZL9moe_vec_qIN3c104HalfELi256ELi16E10block_q3_KLi1EXadL_ZL17vec_dot_q3_K_q8_1PKvPK10block_q8_1RKiEEEvS4_S4_PT_PS8_iiii,"axG",@progbits,_ZL9moe_vec_qIN3c104HalfELi256ELi16E10block_q3_KLi1EXadL_ZL17vec_dot_q3_K_q8_1PKvPK10block_q8_1RKiEEEvS4_S4_PT_PS8_iiii,comdat
	.globl	_ZL9moe_vec_qIN3c104HalfELi256ELi16E10block_q3_KLi1EXadL_ZL17vec_dot_q3_K_q8_1PKvPK10block_q8_1RKiEEEvS4_S4_PT_PS8_iiii ; -- Begin function _ZL9moe_vec_qIN3c104HalfELi256ELi16E10block_q3_KLi1EXadL_ZL17vec_dot_q3_K_q8_1PKvPK10block_q8_1RKiEEEvS4_S4_PT_PS8_iiii
	.p2align	8
	.type	_ZL9moe_vec_qIN3c104HalfELi256ELi16E10block_q3_KLi1EXadL_ZL17vec_dot_q3_K_q8_1PKvPK10block_q8_1RKiEEEvS4_S4_PT_PS8_iiii,@function
_ZL9moe_vec_qIN3c104HalfELi256ELi16E10block_q3_KLi1EXadL_ZL17vec_dot_q3_K_q8_1PKvPK10block_q8_1RKiEEEvS4_S4_PT_PS8_iiii: ; @_ZL9moe_vec_qIN3c104HalfELi256ELi16E10block_q3_KLi1EXadL_ZL17vec_dot_q3_K_q8_1PKvPK10block_q8_1RKiEEEvS4_S4_PT_PS8_iiii
; %bb.0:
	s_mov_b32 s8, s3
	s_load_dword s3, s[0:1], 0x3c
	s_load_dwordx4 s[4:7], s[0:1], 0x20
	v_bfe_u32 v1, v0, 10, 10
	s_waitcnt lgkmcnt(0)
	s_lshr_b32 s3, s3, 16
	s_mul_i32 s2, s2, s3
	v_add_u32_e32 v26, s2, v1
	v_cmp_gt_u32_e32 vcc, s6, v26
	s_and_saveexec_b64 s[2:3], vcc
	s_cbranch_execz .LBB262_7
; %bb.1:
	v_cvt_f32_u32_e32 v1, s4
	v_and_b32_e32 v27, 0x3ff, v0
	s_load_dwordx2 s[2:3], s[0:1], 0x10
	s_ashr_i32 s9, s5, 31
	v_rcp_iflag_f32_e32 v1, v1
	s_lshr_b32 s9, s9, 24
	s_add_i32 s5, s5, s9
	v_lshrrev_b32_e32 v28, 4, v27
	v_mul_f32_e32 v0, 0x4f7ffffe, v1
	v_cvt_u32_f32_e32 v0, v0
	s_ashr_i32 s16, s5, 8
	v_cmp_gt_u32_e32 vcc, s16, v28
	v_mov_b32_e32 v37, 0
	v_readfirstlane_b32 s5, v0
	s_and_saveexec_b64 s[10:11], vcc
	s_cbranch_execz .LBB262_5
; %bb.2:
	s_sub_i32 s12, 0, s4
	v_and_b32_e32 v6, 15, v27
	s_mul_i32 s17, s12, s5
	s_load_dwordx4 s[12:15], s[0:1], 0x0
	s_load_dwordx2 s[18:19], s[0:1], 0x18
	v_cmp_lt_u32_e32 vcc, 7, v6
	v_mov_b32_e32 v1, 0
	s_mov_b32 s9, 0
	v_cndmask_b32_e64 v0, 0, 1, vcc
	v_lshlrev_b32_e32 v30, 2, v0
	v_add_u32_e32 v0, -8, v6
	v_cmp_gt_u32_e32 vcc, 8, v6
	s_mul_hi_u32 s0, s5, s17
	v_mov_b32_e32 v5, v1
	v_cndmask_b32_e32 v4, v0, v6, vcc
	s_add_i32 s5, s5, s0
	s_lshl_b64 s[0:1], s[8:9], 2
	v_lshlrev_b64 v[2:3], 2, v[4:5]
	v_sub_u32_e32 v5, v6, v4
	v_cmp_lt_u32_e32 vcc, 3, v4
	s_waitcnt lgkmcnt(0)
	s_add_u32 s0, s18, s0
	s_mul_hi_u32 s5, s8, s5
	v_addc_co_u32_e32 v16, vcc, 0, v5, vcc
	s_addc_u32 s1, s19, s1
	v_mov_b32_e32 v17, 7
	v_add_u16_e32 v10, 2, v16
	s_load_dword s0, s[0:1], 0x0
	s_mul_i32 s1, s5, s4
	v_mov_b32_e32 v18, 5
	v_mov_b32_e32 v21, 6
	v_lshrrev_b16_sdwa v11, v17, sext(v10) dst_sel:DWORD dst_unused:UNUSED_PAD src0_sel:DWORD src1_sel:BYTE_0
	s_sub_i32 s1, s8, s1
	v_lshrrev_b16_sdwa v8, v18, v11 dst_sel:DWORD dst_unused:UNUSED_PAD src0_sel:DWORD src1_sel:BYTE_0
	v_lshrrev_b16_sdwa v11, v21, v11 dst_sel:DWORD dst_unused:UNUSED_PAD src0_sel:DWORD src1_sel:BYTE_0
	s_add_i32 s17, s5, 1
	s_sub_i32 s18, s1, s4
	v_mov_b32_e32 v20, 2
	v_add_u16_e32 v11, v10, v11
	v_add_u16_e32 v14, 4, v16
	s_cmp_ge_u32 s1, s4
	v_mov_b32_e32 v22, 1
	v_ashrrev_i16_sdwa v12, v20, sext(v11) dst_sel:DWORD dst_unused:UNUSED_PAD src0_sel:DWORD src1_sel:BYTE_0
	v_lshrrev_b16_sdwa v15, v17, sext(v14) dst_sel:DWORD dst_unused:UNUSED_PAD src0_sel:DWORD src1_sel:BYTE_0
	s_cselect_b32 s5, s17, s5
	v_lshlrev_b32_sdwa v34, v22, sext(v12) dst_sel:DWORD dst_unused:UNUSED_PAD src0_sel:DWORD src1_sel:WORD_0
	v_lshrrev_b16_sdwa v12, v18, v15 dst_sel:DWORD dst_unused:UNUSED_PAD src0_sel:DWORD src1_sel:BYTE_0
	v_lshrrev_b16_sdwa v15, v21, v15 dst_sel:DWORD dst_unused:UNUSED_PAD src0_sel:DWORD src1_sel:BYTE_0
	s_cselect_b32 s1, s18, s1
	s_add_i32 s17, s5, 1
	v_lshlrev_b32_e32 v0, 2, v6
	v_lshrrev_b16_sdwa v6, v17, sext(v16) dst_sel:DWORD dst_unused:UNUSED_PAD src0_sel:DWORD src1_sel:BYTE_0
	v_add_u16_e32 v15, v14, v15
	s_cmp_ge_u32 s1, s4
	s_mul_i32 s1, s16, s6
	v_lshrrev_b16_sdwa v4, v18, v6 dst_sel:DWORD dst_unused:UNUSED_PAD src0_sel:DWORD src1_sel:BYTE_0
	v_lshrrev_b16_sdwa v6, v21, v6 dst_sel:DWORD dst_unused:UNUSED_PAD src0_sel:DWORD src1_sel:BYTE_0
	v_lshrrev_b16_sdwa v23, v20, sext(v15) dst_sel:DWORD dst_unused:UNUSED_PAD src0_sel:DWORD src1_sel:BYTE_0
	s_waitcnt lgkmcnt(0)
	s_mul_i32 s0, s1, s0
	v_add_u16_e32 v4, v16, v4
	v_mov_b32_e32 v19, 3
	v_add_u16_e32 v6, v16, v6
	v_lshlrev_b32_sdwa v36, v22, v23 dst_sel:DWORD dst_unused:UNUSED_PAD src0_sel:DWORD src1_sel:BYTE_0
	v_add_u16_e32 v23, 6, v16
	s_cselect_b32 s4, s17, s5
	s_mul_hi_i32 s1, s0, 0x6e
	s_mulk_i32 s0, 0x6e
	v_lshrrev_b16_sdwa v5, v19, sext(v4) dst_sel:DWORD dst_unused:UNUSED_PAD src0_sel:DWORD src1_sel:BYTE_0
	v_and_b32_e32 v4, 0xf8, v4
	v_ashrrev_i16_sdwa v7, v20, sext(v6) dst_sel:DWORD dst_unused:UNUSED_PAD src0_sel:DWORD src1_sel:BYTE_0
	v_and_b32_e32 v6, 0xfc, v6
	v_lshrrev_b16_sdwa v24, v17, sext(v23) dst_sel:DWORD dst_unused:UNUSED_PAD src0_sel:DWORD src1_sel:BYTE_0
	s_add_u32 s0, s12, s0
	s_mul_i32 s4, s4, s7
	s_mov_b32 s5, s9
	v_sub_u16_e32 v4, v16, v4
	v_sub_u16_e32 v6, v16, v6
	v_lshrrev_b16_sdwa v16, v18, v24 dst_sel:DWORD dst_unused:UNUSED_PAD src0_sel:DWORD src1_sel:BYTE_0
	v_lshrrev_b16_sdwa v18, v21, v24 dst_sel:DWORD dst_unused:UNUSED_PAD src0_sel:DWORD src1_sel:BYTE_0
	s_addc_u32 s1, s13, s1
	s_lshl_b64 s[4:5], s[4:5], 2
	v_add_u16_e32 v8, v10, v8
	v_add_u16_e32 v12, v14, v12
	;; [unrolled: 1-line block ×4, first 2 shown]
	s_add_u32 s4, s14, s4
	v_lshrrev_b16_sdwa v9, v19, sext(v8) dst_sel:DWORD dst_unused:UNUSED_PAD src0_sel:DWORD src1_sel:BYTE_0
	v_and_b32_e32 v8, 0xf8, v8
	v_and_b32_e32 v11, 0xfc, v11
	v_lshrrev_b16_sdwa v13, v19, sext(v12) dst_sel:DWORD dst_unused:UNUSED_PAD src0_sel:DWORD src1_sel:BYTE_0
	v_and_b32_e32 v12, 0xf8, v12
	v_and_b32_e32 v15, 0xfc, v15
	v_lshrrev_b16_sdwa v17, v19, sext(v16) dst_sel:DWORD dst_unused:UNUSED_PAD src0_sel:DWORD src1_sel:BYTE_0
	v_and_b32_e32 v16, 0xf8, v16
	v_lshrrev_b16_sdwa v19, v20, sext(v18) dst_sel:DWORD dst_unused:UNUSED_PAD src0_sel:DWORD src1_sel:BYTE_0
	v_and_b32_e32 v18, 0xfc, v18
	s_addc_u32 s5, s15, s5
	v_sub_u16_e32 v8, v10, v8
	v_sub_u16_e32 v10, v10, v11
	;; [unrolled: 1-line block ×6, first 2 shown]
	v_lshlrev_b32_sdwa v31, v20, v5 dst_sel:DWORD dst_unused:UNUSED_PAD src0_sel:DWORD src1_sel:BYTE_0
	v_bfe_i32 v4, v4, 0, 8
	v_bfe_i32 v6, v6, 0, 8
	v_lshlrev_b32_sdwa v33, v20, v9 dst_sel:DWORD dst_unused:UNUSED_PAD src0_sel:DWORD src1_sel:BYTE_0
	v_bfe_i32 v8, v8, 0, 8
	v_bfe_i32 v10, v10, 0, 8
	;; [unrolled: 3-line block ×4, first 2 shown]
	v_mad_u64_u32 v[20:21], s[4:5], v30, 36, s[4:5]
	s_movk_i32 s17, 0x6e
	v_mul_lo_u32 v29, v26, s16
	v_ashrrev_i32_e32 v5, 31, v4
	v_lshlrev_b32_sdwa v32, v22, sext(v7) dst_sel:DWORD dst_unused:UNUSED_PAD src0_sel:DWORD src1_sel:WORD_0
	v_ashrrev_i32_e32 v7, 31, v6
	v_ashrrev_i32_e32 v9, 31, v8
	;; [unrolled: 1-line block ×6, first 2 shown]
	v_lshlrev_b32_sdwa v39, v22, v19 dst_sel:DWORD dst_unused:UNUSED_PAD src0_sel:DWORD src1_sel:BYTE_0
	v_ashrrev_i32_e32 v19, 31, v18
	v_lshlrev_b32_e32 v40, 3, v28
	s_mov_b64 s[4:5], 0
	s_mov_b64 s[12:13], 0x48
	;; [unrolled: 1-line block ×3, first 2 shown]
	v_mov_b32_e32 v37, v1
.LBB262_3:                              ; =>This Inner Loop Header: Depth=1
	v_add_u32_e32 v41, v29, v28
	v_mov_b64_e32 v[24:25], s[0:1]
	v_mad_i64_i32 v[24:25], s[18:19], v41, s17, v[24:25]
	v_lshl_add_u64 v[48:49], v[24:25], 0, v[2:3]
	v_mad_i64_i32 v[22:23], s[18:19], v40, 36, v[20:21]
	global_load_dword v54, v[48:49], off
	v_lshl_add_u64 v[42:43], v[22:23], 0, v[2:3]
	v_lshl_add_u64 v[44:45], v[22:23], 0, s[12:13]
	;; [unrolled: 1-line block ×3, first 2 shown]
	global_load_dword v41, v[42:43], off offset:4
	v_lshl_add_u64 v[42:43], v[44:45], 0, v[2:3]
	global_load_dword v55, v[46:47], off offset:32
	global_load_dword v56, v[42:43], off offset:4
	v_lshl_add_u64 v[44:45], v[24:25], 0, v[4:5]
	v_lshl_add_u64 v[50:51], v[24:25], 0, v[6:7]
	;; [unrolled: 1-line block ×5, first 2 shown]
	global_load_ubyte v57, v[44:45], off offset:96
	global_load_ubyte v58, v[50:51], off offset:104
	v_lshl_add_u64 v[44:45], v[24:25], 0, v[14:15]
	global_load_ubyte v50, v[52:53], off offset:96
	global_load_ubyte v51, v[48:49], off offset:104
	v_lshl_add_u64 v[46:47], v[24:25], 0, v[16:17]
	;; [unrolled: 3-line block ×3, first 2 shown]
	global_load_ubyte v44, v[46:47], off offset:96
	global_load_ubyte v45, v[42:43], off offset:104
	v_add_u32_e32 v28, 4, v28
	v_cmp_le_u32_e32 vcc, s16, v28
	v_add_u32_e32 v40, 32, v40
	s_or_b64 s[4:5], vcc, s[4:5]
	s_waitcnt vmcnt(11)
	v_ashrrev_i32_e32 v42, v30, v54
	v_not_b32_e32 v46, v42
	v_and_b32_e32 v47, 0x4040404, v46
	s_waitcnt vmcnt(9)
	v_lshrrev_b32_e32 v43, 4, v55
	v_and_b32_e32 v42, 0x3030303, v43
	v_bfe_u32 v43, v43, 24, 2
	v_sub_u16_sdwa v43, v43, v47 dst_sel:BYTE_1 dst_unused:UNUSED_PAD src0_sel:DWORD src1_sel:BYTE_3
	v_sub_u16_e32 v52, v42, v47
	v_sub_u16_sdwa v53, v42, v47 dst_sel:BYTE_1 dst_unused:UNUSED_PAD src0_sel:BYTE_1 src1_sel:BYTE_1
	v_sub_u16_sdwa v42, v42, v47 dst_sel:DWORD dst_unused:UNUSED_PAD src0_sel:WORD_1 src1_sel:WORD_1
	v_or_b32_sdwa v47, v52, v53 dst_sel:DWORD dst_unused:UNUSED_PAD src0_sel:BYTE_0 src1_sel:DWORD
	v_or_b32_sdwa v42, v42, v43 dst_sel:WORD_1 dst_unused:UNUSED_PAD src0_sel:BYTE_0 src1_sel:DWORD
	v_lshlrev_b32_e32 v43, 2, v46
	v_or_b32_sdwa v42, v47, v42 dst_sel:DWORD dst_unused:UNUSED_PAD src0_sel:WORD_0 src1_sel:DWORD
	v_mov_b32_e32 v47, 0
	s_waitcnt vmcnt(8)
	v_dot4c_i32_i8_e32 v47, v42, v56
	v_bfe_u32 v42, v55, 24, 2
	v_and_b32_e32 v43, 0x4040404, v43
	v_and_b32_e32 v52, 0x3030303, v55
	v_sub_u16_sdwa v42, v42, v43 dst_sel:BYTE_1 dst_unused:UNUSED_PAD src0_sel:DWORD src1_sel:BYTE_3
	v_sub_u16_e32 v53, v52, v43
	v_sub_u16_sdwa v54, v52, v43 dst_sel:BYTE_1 dst_unused:UNUSED_PAD src0_sel:BYTE_1 src1_sel:BYTE_1
	v_sub_u16_sdwa v43, v52, v43 dst_sel:DWORD dst_unused:UNUSED_PAD src0_sel:WORD_1 src1_sel:WORD_1
	v_or_b32_sdwa v52, v53, v54 dst_sel:DWORD dst_unused:UNUSED_PAD src0_sel:BYTE_0 src1_sel:DWORD
	v_or_b32_sdwa v42, v43, v42 dst_sel:WORD_1 dst_unused:UNUSED_PAD src0_sel:BYTE_0 src1_sel:DWORD
	s_nop 0
	v_or_b32_sdwa v42, v52, v42 dst_sel:DWORD dst_unused:UNUSED_PAD src0_sel:WORD_0 src1_sel:DWORD
	v_mov_b32_e32 v52, 0
	v_dot4c_i32_i8_e32 v52, v42, v41
	v_lshl_add_u64 v[42:43], v[22:23], 0, 36
	v_lshl_add_u64 v[42:43], v[42:43], 0, v[2:3]
	global_load_dword v41, v[42:43], off offset:4
	v_lshl_add_u64 v[42:43], v[22:23], 0, s[14:15]
	v_lshl_add_u64 v[42:43], v[42:43], 0, v[2:3]
	global_load_dword v53, v[42:43], off offset:4
	global_load_dword v54, v[22:23], off
	global_load_dword v56, v[22:23], off offset:36
	global_load_dword v59, v[22:23], off offset:72
	;; [unrolled: 1-line block ×3, first 2 shown]
	global_load_ushort v61, v[24:25], off offset:108
	s_waitcnt vmcnt(13)
	v_lshrrev_b32_e32 v23, v32, v58
	v_bfe_u32 v22, v57, v31, 4
	v_lshlrev_b32_e32 v23, 4, v23
	s_waitcnt vmcnt(11)
	v_lshrrev_b32_e32 v24, v34, v51
	s_waitcnt vmcnt(8)
	v_bfe_u32 v43, v44, v38, 4
	s_waitcnt vmcnt(7)
	v_lshrrev_b32_e32 v44, v39, v45
	v_and_or_b32 v22, v23, 48, v22
	v_bfe_u32 v23, v50, v33, 4
	v_lshlrev_b32_e32 v24, 4, v24
	v_lshrrev_b32_e32 v42, v36, v49
	v_lshlrev_b32_e32 v44, 4, v44
	v_and_or_b32 v23, v24, 48, v23
	v_lshrrev_b32_e32 v24, 2, v55
	v_bfe_u32 v25, v48, v35, 4
	v_lshlrev_b32_e32 v42, 4, v42
	v_and_or_b32 v43, v44, 48, v43
	v_lshlrev_b32_e32 v44, 1, v46
	v_and_or_b32 v25, v42, 48, v25
	v_and_b32_e32 v42, 0x3030303, v24
	v_bfe_u32 v24, v24, 24, 2
	v_and_b32_e32 v44, 0x4040404, v44
	v_sub_u16_sdwa v24, v24, v44 dst_sel:BYTE_1 dst_unused:UNUSED_PAD src0_sel:DWORD src1_sel:BYTE_3
	v_sub_u16_e32 v45, v42, v44
	v_sub_u16_sdwa v48, v42, v44 dst_sel:BYTE_1 dst_unused:UNUSED_PAD src0_sel:BYTE_1 src1_sel:BYTE_1
	v_sub_u16_sdwa v42, v42, v44 dst_sel:DWORD dst_unused:UNUSED_PAD src0_sel:WORD_1 src1_sel:WORD_1
	v_lshrrev_b32_e32 v44, 6, v55
	v_lshrrev_b32_e32 v46, 1, v46
	v_lshrrev_b32_e32 v49, 30, v55
	v_and_b32_e32 v44, 0x3030303, v44
	v_and_b32_e32 v46, 0x4040404, v46
	v_or_b32_sdwa v45, v45, v48 dst_sel:DWORD dst_unused:UNUSED_PAD src0_sel:BYTE_0 src1_sel:DWORD
	v_or_b32_sdwa v24, v42, v24 dst_sel:WORD_1 dst_unused:UNUSED_PAD src0_sel:BYTE_0 src1_sel:DWORD
	v_sub_u16_sdwa v49, v49, v46 dst_sel:BYTE_1 dst_unused:UNUSED_PAD src0_sel:DWORD src1_sel:BYTE_3
	v_sub_u16_e32 v50, v44, v46
	v_sub_u16_sdwa v51, v44, v46 dst_sel:BYTE_1 dst_unused:UNUSED_PAD src0_sel:BYTE_1 src1_sel:BYTE_1
	v_sub_u16_sdwa v44, v44, v46 dst_sel:DWORD dst_unused:UNUSED_PAD src0_sel:WORD_1 src1_sel:WORD_1
	v_mov_b32_e32 v46, 0
	v_or_b32_sdwa v24, v45, v24 dst_sel:DWORD dst_unused:UNUSED_PAD src0_sel:WORD_0 src1_sel:DWORD
	v_subrev_u32_e32 v22, 32, v22
	v_or_b32_sdwa v42, v50, v51 dst_sel:DWORD dst_unused:UNUSED_PAD src0_sel:BYTE_0 src1_sel:DWORD
	v_or_b32_sdwa v44, v44, v49 dst_sel:WORD_1 dst_unused:UNUSED_PAD src0_sel:BYTE_0 src1_sel:DWORD
	v_subrev_u32_e32 v23, 32, v23
	v_mul_lo_u32 v22, v22, v52
	v_mov_b32_e32 v45, 0
	v_subrev_u32_e32 v25, 32, v25
	v_or_b32_sdwa v42, v42, v44 dst_sel:DWORD dst_unused:UNUSED_PAD src0_sel:WORD_0 src1_sel:DWORD
	v_cvt_f32_i32_e32 v22, v22
	v_subrev_u32_e32 v43, 32, v43
	s_waitcnt vmcnt(5)
	v_dot4c_i32_i8_e32 v45, v42, v53
	s_waitcnt vmcnt(4)
	v_fma_mix_f32 v22, v54, v22, 0 op_sel_hi:[1,0,0]
	v_dot4c_i32_i8_e32 v46, v24, v41
	v_mul_lo_u32 v24, v25, v47
	v_cvt_f32_i32_e32 v24, v24
	v_mul_lo_u32 v25, v43, v45
	v_mul_lo_u32 v23, v23, v46
	v_cvt_f32_i32_e32 v23, v23
	v_cvt_f32_i32_e32 v25, v25
	s_waitcnt vmcnt(3)
	v_fma_mix_f32 v22, v56, v23, v22 op_sel_hi:[1,0,0]
	s_waitcnt vmcnt(2)
	v_fma_mix_f32 v22, v59, v24, v22 op_sel_hi:[1,0,0]
	;; [unrolled: 2-line block ×4, first 2 shown]
	s_andn2_b64 exec, exec, s[4:5]
	s_cbranch_execnz .LBB262_3
; %bb.4:
	s_or_b64 exec, exec, s[4:5]
.LBB262_5:
	s_or_b64 exec, exec, s[10:11]
	v_mbcnt_lo_u32_b32 v0, -1, 0
	v_mbcnt_hi_u32_b32 v1, -1, v0
	v_and_b32_e32 v0, 64, v1
	v_add_u32_e32 v2, 64, v0
	v_xor_b32_e32 v0, 32, v1
	v_cmp_lt_i32_e32 vcc, v0, v2
	v_xor_b32_e32 v3, 16, v1
	v_xor_b32_e32 v4, 8, v1
	v_cndmask_b32_e32 v0, v1, v0, vcc
	v_lshlrev_b32_e32 v0, 2, v0
	ds_bpermute_b32 v0, v0, v37
	v_cmp_lt_i32_e32 vcc, v3, v2
	s_waitcnt lgkmcnt(0)
	v_add_f32_e32 v0, v37, v0
	v_cndmask_b32_e32 v3, v1, v3, vcc
	v_lshlrev_b32_e32 v3, 2, v3
	ds_bpermute_b32 v3, v3, v0
	v_cmp_lt_i32_e32 vcc, v4, v2
	s_waitcnt lgkmcnt(0)
	v_add_f32_e32 v0, v0, v3
	v_cndmask_b32_e32 v3, v1, v4, vcc
	v_lshlrev_b32_e32 v3, 2, v3
	ds_bpermute_b32 v3, v3, v0
	v_xor_b32_e32 v4, 4, v1
	v_cmp_lt_i32_e32 vcc, v4, v2
	s_waitcnt lgkmcnt(0)
	v_add_f32_e32 v0, v0, v3
	v_cndmask_b32_e32 v3, v1, v4, vcc
	v_lshlrev_b32_e32 v3, 2, v3
	ds_bpermute_b32 v3, v3, v0
	v_xor_b32_e32 v4, 2, v1
	;; [unrolled: 7-line block ×3, first 2 shown]
	v_cmp_lt_i32_e32 vcc, v4, v2
	s_waitcnt lgkmcnt(0)
	v_add_f32_e32 v0, v0, v3
	v_cndmask_b32_e32 v1, v1, v4, vcc
	v_lshlrev_b32_e32 v1, 2, v1
	ds_bpermute_b32 v1, v1, v0
	v_cmp_eq_u32_e32 vcc, 0, v27
	s_and_b64 exec, exec, vcc
	s_cbranch_execz .LBB262_7
; %bb.6:
	s_waitcnt lgkmcnt(0)
	v_add_f32_e32 v0, v0, v1
	v_cvt_f16_f32_e32 v2, v0
	s_mul_i32 s0, s8, s6
	v_add_u32_e32 v0, s0, v26
	v_mov_b32_e32 v1, 0
	v_lshl_add_u64 v[0:1], v[0:1], 1, s[2:3]
	global_store_short v[0:1], v2, off
.LBB262_7:
	s_endpgm
	.section	.rodata,"a",@progbits
	.p2align	6, 0x0
	.amdhsa_kernel _ZL9moe_vec_qIN3c104HalfELi256ELi16E10block_q3_KLi1EXadL_ZL17vec_dot_q3_K_q8_1PKvPK10block_q8_1RKiEEEvS4_S4_PT_PS8_iiii
		.amdhsa_group_segment_fixed_size 0
		.amdhsa_private_segment_fixed_size 0
		.amdhsa_kernarg_size 304
		.amdhsa_user_sgpr_count 2
		.amdhsa_user_sgpr_dispatch_ptr 0
		.amdhsa_user_sgpr_queue_ptr 0
		.amdhsa_user_sgpr_kernarg_segment_ptr 1
		.amdhsa_user_sgpr_dispatch_id 0
		.amdhsa_user_sgpr_kernarg_preload_length 0
		.amdhsa_user_sgpr_kernarg_preload_offset 0
		.amdhsa_user_sgpr_private_segment_size 0
		.amdhsa_uses_dynamic_stack 0
		.amdhsa_enable_private_segment 0
		.amdhsa_system_sgpr_workgroup_id_x 1
		.amdhsa_system_sgpr_workgroup_id_y 0
		.amdhsa_system_sgpr_workgroup_id_z 1
		.amdhsa_system_sgpr_workgroup_info 0
		.amdhsa_system_vgpr_workitem_id 1
		.amdhsa_next_free_vgpr 62
		.amdhsa_next_free_sgpr 20
		.amdhsa_accum_offset 64
		.amdhsa_reserve_vcc 1
		.amdhsa_float_round_mode_32 0
		.amdhsa_float_round_mode_16_64 0
		.amdhsa_float_denorm_mode_32 3
		.amdhsa_float_denorm_mode_16_64 3
		.amdhsa_dx10_clamp 1
		.amdhsa_ieee_mode 1
		.amdhsa_fp16_overflow 0
		.amdhsa_tg_split 0
		.amdhsa_exception_fp_ieee_invalid_op 0
		.amdhsa_exception_fp_denorm_src 0
		.amdhsa_exception_fp_ieee_div_zero 0
		.amdhsa_exception_fp_ieee_overflow 0
		.amdhsa_exception_fp_ieee_underflow 0
		.amdhsa_exception_fp_ieee_inexact 0
		.amdhsa_exception_int_div_zero 0
	.end_amdhsa_kernel
	.section	.text._ZL9moe_vec_qIN3c104HalfELi256ELi16E10block_q3_KLi1EXadL_ZL17vec_dot_q3_K_q8_1PKvPK10block_q8_1RKiEEEvS4_S4_PT_PS8_iiii,"axG",@progbits,_ZL9moe_vec_qIN3c104HalfELi256ELi16E10block_q3_KLi1EXadL_ZL17vec_dot_q3_K_q8_1PKvPK10block_q8_1RKiEEEvS4_S4_PT_PS8_iiii,comdat
.Lfunc_end262:
	.size	_ZL9moe_vec_qIN3c104HalfELi256ELi16E10block_q3_KLi1EXadL_ZL17vec_dot_q3_K_q8_1PKvPK10block_q8_1RKiEEEvS4_S4_PT_PS8_iiii, .Lfunc_end262-_ZL9moe_vec_qIN3c104HalfELi256ELi16E10block_q3_KLi1EXadL_ZL17vec_dot_q3_K_q8_1PKvPK10block_q8_1RKiEEEvS4_S4_PT_PS8_iiii
                                        ; -- End function
	.section	.AMDGPU.csdata,"",@progbits
; Kernel info:
; codeLenInByte = 2112
; NumSgprs: 26
; NumVgprs: 62
; NumAgprs: 0
; TotalNumVgprs: 62
; ScratchSize: 0
; MemoryBound: 0
; FloatMode: 240
; IeeeMode: 1
; LDSByteSize: 0 bytes/workgroup (compile time only)
; SGPRBlocks: 3
; VGPRBlocks: 7
; NumSGPRsForWavesPerEU: 26
; NumVGPRsForWavesPerEU: 62
; AccumOffset: 64
; Occupancy: 8
; WaveLimiterHint : 1
; COMPUTE_PGM_RSRC2:SCRATCH_EN: 0
; COMPUTE_PGM_RSRC2:USER_SGPR: 2
; COMPUTE_PGM_RSRC2:TRAP_HANDLER: 0
; COMPUTE_PGM_RSRC2:TGID_X_EN: 1
; COMPUTE_PGM_RSRC2:TGID_Y_EN: 0
; COMPUTE_PGM_RSRC2:TGID_Z_EN: 1
; COMPUTE_PGM_RSRC2:TIDIG_COMP_CNT: 1
; COMPUTE_PGM_RSRC3_GFX90A:ACCUM_OFFSET: 15
; COMPUTE_PGM_RSRC3_GFX90A:TG_SPLIT: 0
	.section	.text._ZL9moe_vec_qIN3c104HalfELi256ELi32E10block_q4_KLi2EXadL_ZL17vec_dot_q4_K_q8_1PKvPK10block_q8_1RKiEEEvS4_S4_PT_PS8_iiii,"axG",@progbits,_ZL9moe_vec_qIN3c104HalfELi256ELi32E10block_q4_KLi2EXadL_ZL17vec_dot_q4_K_q8_1PKvPK10block_q8_1RKiEEEvS4_S4_PT_PS8_iiii,comdat
	.globl	_ZL9moe_vec_qIN3c104HalfELi256ELi32E10block_q4_KLi2EXadL_ZL17vec_dot_q4_K_q8_1PKvPK10block_q8_1RKiEEEvS4_S4_PT_PS8_iiii ; -- Begin function _ZL9moe_vec_qIN3c104HalfELi256ELi32E10block_q4_KLi2EXadL_ZL17vec_dot_q4_K_q8_1PKvPK10block_q8_1RKiEEEvS4_S4_PT_PS8_iiii
	.p2align	8
	.type	_ZL9moe_vec_qIN3c104HalfELi256ELi32E10block_q4_KLi2EXadL_ZL17vec_dot_q4_K_q8_1PKvPK10block_q8_1RKiEEEvS4_S4_PT_PS8_iiii,@function
_ZL9moe_vec_qIN3c104HalfELi256ELi32E10block_q4_KLi2EXadL_ZL17vec_dot_q4_K_q8_1PKvPK10block_q8_1RKiEEEvS4_S4_PT_PS8_iiii: ; @_ZL9moe_vec_qIN3c104HalfELi256ELi32E10block_q4_KLi2EXadL_ZL17vec_dot_q4_K_q8_1PKvPK10block_q8_1RKiEEEvS4_S4_PT_PS8_iiii
; %bb.0:
	s_mov_b32 s8, s3
	s_load_dword s3, s[0:1], 0x3c
	s_load_dwordx4 s[4:7], s[0:1], 0x20
	v_bfe_u32 v1, v0, 10, 10
	s_waitcnt lgkmcnt(0)
	s_lshr_b32 s3, s3, 16
	s_mul_i32 s2, s2, s3
	v_add_u32_e32 v16, s2, v1
	v_cmp_gt_u32_e32 vcc, s6, v16
	s_and_saveexec_b64 s[2:3], vcc
	s_cbranch_execz .LBB263_11
; %bb.1:
	s_load_dwordx2 s[2:3], s[0:1], 0x10
	s_ashr_i32 s9, s5, 31
	s_lshr_b32 s9, s9, 24
	s_add_i32 s5, s5, s9
	v_and_b32_e32 v17, 0x3ff, v0
	s_ashr_i32 s12, s5, 8
	v_lshrrev_b32_e32 v18, 4, v17
	v_cmp_gt_u32_e32 vcc, s12, v18
	v_mov_b32_e32 v20, 0
	s_and_saveexec_b64 s[10:11], vcc
	s_cbranch_execz .LBB263_9
; %bb.2:
	s_load_dwordx2 s[14:15], s[0:1], 0x18
	v_cvt_f32_u32_e32 v0, s4
	s_mov_b32 s9, 0
	s_lshl_b64 s[16:17], s[8:9], 2
	v_mov_b32_e32 v1, 0
	s_waitcnt lgkmcnt(0)
	s_add_u32 s14, s14, s16
	v_rcp_iflag_f32_e32 v0, v0
	s_addc_u32 s15, s15, s17
	s_load_dword s5, s[14:15], 0x0
	s_load_dwordx4 s[16:19], s[0:1], 0x0
	s_mul_i32 s0, s12, s6
	v_mul_f32_e32 v0, 0x4f7ffffe, v0
	v_cvt_u32_f32_e32 v0, v0
	s_waitcnt lgkmcnt(0)
	s_mul_i32 s0, s0, s5
	s_mul_hi_i32 s1, s0, 0x90
	s_mulk_i32 s0, 0x90
	s_add_u32 s0, s16, s0
	s_addc_u32 s1, s17, s1
	s_sub_i32 s5, 0, s4
	v_readfirstlane_b32 s14, v0
	s_mul_i32 s5, s5, s14
	s_mul_hi_u32 s5, s14, s5
	s_add_i32 s14, s14, s5
	s_mul_hi_u32 s5, s8, s14
	s_mul_i32 s14, s5, s4
	s_sub_i32 s14, s8, s14
	s_add_i32 s15, s5, 1
	s_sub_i32 s16, s14, s4
	s_cmp_ge_u32 s14, s4
	s_cselect_b32 s5, s15, s5
	s_cselect_b32 s14, s16, s14
	s_add_i32 s15, s5, 1
	s_cmp_ge_u32 s14, s4
	s_cselect_b32 s4, s15, s5
	s_mul_i32 s4, s4, s7
	s_mov_b32 s5, s9
	s_lshl_b64 s[4:5], s[4:5], 2
	v_lshlrev_b32_e32 v0, 1, v17
	s_add_u32 s4, s18, s4
	v_and_b32_e32 v4, 30, v0
	v_bfe_u32 v8, v0, 3, 2
	s_addc_u32 s5, s19, s5
	v_cmp_lt_u32_e32 vcc, 15, v4
	v_lshlrev_b32_e32 v4, 1, v8
	v_and_b32_e32 v10, 3, v17
	v_mad_u64_u32 v[4:5], s[4:5], v4, 36, s[4:5]
	s_movk_i32 s13, 0x90
	v_mul_lo_u32 v19, v16, s12
	v_lshlrev_b32_e32 v0, 5, v8
	v_lshlrev_b32_e32 v2, 2, v10
	v_mov_b32_e32 v3, v1
	v_lshlrev_b32_e32 v21, 3, v18
	s_mov_b64 s[4:5], 0
	v_mov_b64_e32 v[6:7], s[0:1]
	v_lshlrev_b32_e32 v8, 1, v8
	v_mov_b32_e32 v9, v1
	s_mov_b32 s7, 0x5040100
	s_mov_b32 s9, 0x30303030
	v_lshlrev_b32_e32 v10, 2, v10
	v_mov_b32_e32 v11, v1
	v_mov_b32_e32 v20, v1
	s_branch .LBB263_4
.LBB263_3:                              ;   in Loop: Header=BB263_4 Depth=1
	s_or_b64 exec, exec, s[0:1]
	v_mad_i64_i32 v[14:15], s[0:1], v21, 36, v[4:5]
	global_load_dword v25, v[14:15], off
	v_lshl_add_u64 v[26:27], v[14:15], 0, v[10:11]
	global_load_dword v28, v[12:13], off
	global_load_dword v29, v[26:27], off offset:20
	global_load_dword v30, v[26:27], off offset:40
	;; [unrolled: 1-line block ×5, first 2 shown]
	s_waitcnt vmcnt(8)
	v_and_b32_e32 v15, 0xf0f0f0f, v23
	v_mov_b32_e32 v27, 0
	v_mov_b32_e32 v34, 0
	v_lshrrev_b32_e32 v14, 4, v23
	v_pk_lshrrev_b16 v12, 8, v24 op_sel_hi:[0,1]
	s_waitcnt vmcnt(7)
	v_and_b32_e32 v26, 0xf0f0f0f, v22
	v_and_b32_e32 v13, 0xff00ff, v24
	v_lshrrev_b32_e32 v22, 4, v22
	v_mov_b32_e32 v23, 0
	v_mov_b32_e32 v24, 0
	v_and_b32_e32 v35, 0xf0f0f0f, v14
	v_and_b32_e32 v36, 0xf0f0f0f, v22
	v_lshrrev_b32_e32 v38, 16, v13
	v_and_b32_e32 v39, 0xff, v13
	v_lshrrev_b32_e32 v37, 16, v12
	v_and_b32_e32 v12, 0xff, v12
	v_add_u32_e32 v18, 4, v18
	v_cmp_le_u32_e64 s[0:1], s12, v18
	s_or_b64 s[4:5], s[0:1], s[4:5]
	v_add_u32_e32 v21, 32, v21
	s_waitcnt vmcnt(5)
	v_cvt_f32_f16_sdwa v13, v28 dst_sel:DWORD dst_unused:UNUSED_PAD src0_sel:WORD_1
	s_waitcnt vmcnt(3)
	v_dot4c_i32_i8_e32 v23, v35, v30
	v_dot4c_i32_i8_e32 v24, 0x1010101, v30
	v_cvt_f32_f16_e32 v14, v25
	s_waitcnt vmcnt(0)
	v_dot4c_i32_i8_e32 v27, v15, v33
	v_dot4c_i32_i8_e32 v34, 0x1010101, v33
	;; [unrolled: 1-line block ×6, first 2 shown]
	v_mul_lo_u32 v15, v27, v39
	v_mul_lo_u32 v25, v34, v38
	;; [unrolled: 1-line block ×4, first 2 shown]
	v_cvt_f32_i32_e32 v25, v25
	v_cvt_f32_i32_e32 v24, v15
	v_cvt_f32_f16_e32 v22, v32
	v_cvt_f32_i32_e32 v27, v23
	v_cvt_f32_i32_e32 v26, v12
	v_cvt_f32_f16_e32 v12, v28
	v_pk_fma_f32 v[14:15], v[14:15], v[24:25], 0 op_sel_hi:[0,1,0]
	v_pk_fma_f32 v[14:15], v[22:23], v[26:27], v[14:15] op_sel_hi:[0,1,1]
	v_pk_mul_f32 v[12:13], v[14:15], v[12:13]
	s_nop 0
	v_sub_f32_e32 v12, v12, v13
	v_add_f32_e32 v20, v20, v12
	s_andn2_b64 exec, exec, s[4:5]
	s_cbranch_execz .LBB263_8
.LBB263_4:                              ; =>This Inner Loop Header: Depth=1
	v_add_u32_e32 v12, v19, v18
	v_mad_i64_i32 v[12:13], s[0:1], v12, s13, v[6:7]
	v_lshl_add_u64 v[14:15], v[12:13], 0, v[0:1]
	v_lshl_add_u64 v[14:15], v[14:15], 0, v[2:3]
	global_load_dword v23, v[14:15], off offset:16
	global_load_dword v22, v[14:15], off offset:32
	v_lshl_add_u64 v[14:15], v[12:13], 0, v[8:9]
                                        ; implicit-def: $vgpr24
	s_and_saveexec_b64 s[0:1], vcc
	s_xor_b64 s[0:1], exec, s[0:1]
	s_cbranch_execz .LBB263_6
; %bb.5:                                ;   in Loop: Header=BB263_4 Depth=1
	global_load_ushort v24, v[14:15], off
	global_load_ushort v25, v[14:15], off offset:8
	global_load_ushort v26, v[14:15], off offset:4
	s_waitcnt vmcnt(1)
	v_lshrrev_b16_e32 v14, 4, v25
	s_waitcnt vmcnt(0)
	v_perm_b32 v15, v26, v24, s7
	v_perm_b32 v14, v14, v25, s7
	v_and_b32_e32 v14, 0xf0f0f0f, v14
	v_pk_lshrrev_b16 v15, 2, v15 op_sel_hi:[0,1]
	v_and_or_b32 v24, v15, s9, v14
                                        ; implicit-def: $vgpr14_vgpr15
.LBB263_6:                              ;   in Loop: Header=BB263_4 Depth=1
	s_andn2_saveexec_b64 s[0:1], s[0:1]
	s_cbranch_execz .LBB263_3
; %bb.7:                                ;   in Loop: Header=BB263_4 Depth=1
	global_load_ushort v24, v[14:15], off offset:4
	global_load_ushort v25, v[14:15], off offset:8
	s_waitcnt vmcnt(0)
	v_perm_b32 v14, v25, v24, s7
	v_and_b32_e32 v24, 0x3f3f3f3f, v14
	s_branch .LBB263_3
.LBB263_8:
	s_or_b64 exec, exec, s[4:5]
.LBB263_9:
	s_or_b64 exec, exec, s[10:11]
	v_mbcnt_lo_u32_b32 v0, -1, 0
	v_mbcnt_hi_u32_b32 v1, -1, v0
	v_and_b32_e32 v0, 64, v1
	v_add_u32_e32 v2, 64, v0
	v_xor_b32_e32 v0, 32, v1
	v_cmp_lt_i32_e32 vcc, v0, v2
	v_xor_b32_e32 v3, 16, v1
	v_xor_b32_e32 v4, 8, v1
	v_cndmask_b32_e32 v0, v1, v0, vcc
	v_lshlrev_b32_e32 v0, 2, v0
	ds_bpermute_b32 v0, v0, v20
	v_cmp_lt_i32_e32 vcc, v3, v2
	s_waitcnt lgkmcnt(0)
	v_add_f32_e32 v0, v20, v0
	v_cndmask_b32_e32 v3, v1, v3, vcc
	v_lshlrev_b32_e32 v3, 2, v3
	ds_bpermute_b32 v3, v3, v0
	v_cmp_lt_i32_e32 vcc, v4, v2
	s_waitcnt lgkmcnt(0)
	v_add_f32_e32 v0, v0, v3
	v_cndmask_b32_e32 v3, v1, v4, vcc
	v_lshlrev_b32_e32 v3, 2, v3
	ds_bpermute_b32 v3, v3, v0
	v_xor_b32_e32 v4, 4, v1
	v_cmp_lt_i32_e32 vcc, v4, v2
	s_waitcnt lgkmcnt(0)
	v_add_f32_e32 v0, v0, v3
	v_cndmask_b32_e32 v3, v1, v4, vcc
	v_lshlrev_b32_e32 v3, 2, v3
	ds_bpermute_b32 v3, v3, v0
	v_xor_b32_e32 v4, 2, v1
	;; [unrolled: 7-line block ×3, first 2 shown]
	v_cmp_lt_i32_e32 vcc, v4, v2
	s_waitcnt lgkmcnt(0)
	v_add_f32_e32 v0, v0, v3
	v_cndmask_b32_e32 v1, v1, v4, vcc
	v_lshlrev_b32_e32 v1, 2, v1
	ds_bpermute_b32 v1, v1, v0
	v_cmp_eq_u32_e32 vcc, 0, v17
	s_and_b64 exec, exec, vcc
	s_cbranch_execz .LBB263_11
; %bb.10:
	s_waitcnt lgkmcnt(0)
	v_add_f32_e32 v0, v0, v1
	v_cvt_f16_f32_e32 v2, v0
	s_mul_i32 s0, s8, s6
	v_add_u32_e32 v0, s0, v16
	v_mov_b32_e32 v1, 0
	v_lshl_add_u64 v[0:1], v[0:1], 1, s[2:3]
	global_store_short v[0:1], v2, off
.LBB263_11:
	s_endpgm
	.section	.rodata,"a",@progbits
	.p2align	6, 0x0
	.amdhsa_kernel _ZL9moe_vec_qIN3c104HalfELi256ELi32E10block_q4_KLi2EXadL_ZL17vec_dot_q4_K_q8_1PKvPK10block_q8_1RKiEEEvS4_S4_PT_PS8_iiii
		.amdhsa_group_segment_fixed_size 0
		.amdhsa_private_segment_fixed_size 0
		.amdhsa_kernarg_size 304
		.amdhsa_user_sgpr_count 2
		.amdhsa_user_sgpr_dispatch_ptr 0
		.amdhsa_user_sgpr_queue_ptr 0
		.amdhsa_user_sgpr_kernarg_segment_ptr 1
		.amdhsa_user_sgpr_dispatch_id 0
		.amdhsa_user_sgpr_kernarg_preload_length 0
		.amdhsa_user_sgpr_kernarg_preload_offset 0
		.amdhsa_user_sgpr_private_segment_size 0
		.amdhsa_uses_dynamic_stack 0
		.amdhsa_enable_private_segment 0
		.amdhsa_system_sgpr_workgroup_id_x 1
		.amdhsa_system_sgpr_workgroup_id_y 0
		.amdhsa_system_sgpr_workgroup_id_z 1
		.amdhsa_system_sgpr_workgroup_info 0
		.amdhsa_system_vgpr_workitem_id 1
		.amdhsa_next_free_vgpr 40
		.amdhsa_next_free_sgpr 20
		.amdhsa_accum_offset 40
		.amdhsa_reserve_vcc 1
		.amdhsa_float_round_mode_32 0
		.amdhsa_float_round_mode_16_64 0
		.amdhsa_float_denorm_mode_32 3
		.amdhsa_float_denorm_mode_16_64 3
		.amdhsa_dx10_clamp 1
		.amdhsa_ieee_mode 1
		.amdhsa_fp16_overflow 0
		.amdhsa_tg_split 0
		.amdhsa_exception_fp_ieee_invalid_op 0
		.amdhsa_exception_fp_denorm_src 0
		.amdhsa_exception_fp_ieee_div_zero 0
		.amdhsa_exception_fp_ieee_overflow 0
		.amdhsa_exception_fp_ieee_underflow 0
		.amdhsa_exception_fp_ieee_inexact 0
		.amdhsa_exception_int_div_zero 0
	.end_amdhsa_kernel
	.section	.text._ZL9moe_vec_qIN3c104HalfELi256ELi32E10block_q4_KLi2EXadL_ZL17vec_dot_q4_K_q8_1PKvPK10block_q8_1RKiEEEvS4_S4_PT_PS8_iiii,"axG",@progbits,_ZL9moe_vec_qIN3c104HalfELi256ELi32E10block_q4_KLi2EXadL_ZL17vec_dot_q4_K_q8_1PKvPK10block_q8_1RKiEEEvS4_S4_PT_PS8_iiii,comdat
.Lfunc_end263:
	.size	_ZL9moe_vec_qIN3c104HalfELi256ELi32E10block_q4_KLi2EXadL_ZL17vec_dot_q4_K_q8_1PKvPK10block_q8_1RKiEEEvS4_S4_PT_PS8_iiii, .Lfunc_end263-_ZL9moe_vec_qIN3c104HalfELi256ELi32E10block_q4_KLi2EXadL_ZL17vec_dot_q4_K_q8_1PKvPK10block_q8_1RKiEEEvS4_S4_PT_PS8_iiii
                                        ; -- End function
	.section	.AMDGPU.csdata,"",@progbits
; Kernel info:
; codeLenInByte = 1236
; NumSgprs: 26
; NumVgprs: 40
; NumAgprs: 0
; TotalNumVgprs: 40
; ScratchSize: 0
; MemoryBound: 0
; FloatMode: 240
; IeeeMode: 1
; LDSByteSize: 0 bytes/workgroup (compile time only)
; SGPRBlocks: 3
; VGPRBlocks: 4
; NumSGPRsForWavesPerEU: 26
; NumVGPRsForWavesPerEU: 40
; AccumOffset: 40
; Occupancy: 8
; WaveLimiterHint : 1
; COMPUTE_PGM_RSRC2:SCRATCH_EN: 0
; COMPUTE_PGM_RSRC2:USER_SGPR: 2
; COMPUTE_PGM_RSRC2:TRAP_HANDLER: 0
; COMPUTE_PGM_RSRC2:TGID_X_EN: 1
; COMPUTE_PGM_RSRC2:TGID_Y_EN: 0
; COMPUTE_PGM_RSRC2:TGID_Z_EN: 1
; COMPUTE_PGM_RSRC2:TIDIG_COMP_CNT: 1
; COMPUTE_PGM_RSRC3_GFX90A:ACCUM_OFFSET: 9
; COMPUTE_PGM_RSRC3_GFX90A:TG_SPLIT: 0
	.section	.text._ZL9moe_vec_qIN3c104HalfELi256ELi32E10block_q5_KLi2EXadL_ZL17vec_dot_q5_K_q8_1PKvPK10block_q8_1RKiEEEvS4_S4_PT_PS8_iiii,"axG",@progbits,_ZL9moe_vec_qIN3c104HalfELi256ELi32E10block_q5_KLi2EXadL_ZL17vec_dot_q5_K_q8_1PKvPK10block_q8_1RKiEEEvS4_S4_PT_PS8_iiii,comdat
	.globl	_ZL9moe_vec_qIN3c104HalfELi256ELi32E10block_q5_KLi2EXadL_ZL17vec_dot_q5_K_q8_1PKvPK10block_q8_1RKiEEEvS4_S4_PT_PS8_iiii ; -- Begin function _ZL9moe_vec_qIN3c104HalfELi256ELi32E10block_q5_KLi2EXadL_ZL17vec_dot_q5_K_q8_1PKvPK10block_q8_1RKiEEEvS4_S4_PT_PS8_iiii
	.p2align	8
	.type	_ZL9moe_vec_qIN3c104HalfELi256ELi32E10block_q5_KLi2EXadL_ZL17vec_dot_q5_K_q8_1PKvPK10block_q8_1RKiEEEvS4_S4_PT_PS8_iiii,@function
_ZL9moe_vec_qIN3c104HalfELi256ELi32E10block_q5_KLi2EXadL_ZL17vec_dot_q5_K_q8_1PKvPK10block_q8_1RKiEEEvS4_S4_PT_PS8_iiii: ; @_ZL9moe_vec_qIN3c104HalfELi256ELi32E10block_q5_KLi2EXadL_ZL17vec_dot_q5_K_q8_1PKvPK10block_q8_1RKiEEEvS4_S4_PT_PS8_iiii
; %bb.0:
	s_mov_b32 s8, s3
	s_load_dword s3, s[0:1], 0x3c
	s_load_dwordx4 s[4:7], s[0:1], 0x20
	v_bfe_u32 v1, v0, 10, 10
	s_waitcnt lgkmcnt(0)
	s_lshr_b32 s3, s3, 16
	s_mul_i32 s2, s2, s3
	v_add_u32_e32 v16, s2, v1
	v_cmp_gt_u32_e32 vcc, s6, v16
	s_and_saveexec_b64 s[2:3], vcc
	s_cbranch_execz .LBB264_11
; %bb.1:
	s_load_dwordx2 s[2:3], s[0:1], 0x10
	s_ashr_i32 s9, s5, 31
	s_lshr_b32 s9, s9, 24
	s_add_i32 s5, s5, s9
	v_and_b32_e32 v17, 0x3ff, v0
	s_ashr_i32 s12, s5, 8
	v_lshrrev_b32_e32 v18, 4, v17
	v_cmp_gt_u32_e32 vcc, s12, v18
	v_mov_b32_e32 v20, 0
	s_and_saveexec_b64 s[10:11], vcc
	s_cbranch_execz .LBB264_9
; %bb.2:
	s_load_dwordx2 s[14:15], s[0:1], 0x18
	v_cvt_f32_u32_e32 v0, s4
	s_mov_b32 s9, 0
	s_lshl_b64 s[16:17], s[8:9], 2
	v_mov_b32_e32 v1, 0
	s_waitcnt lgkmcnt(0)
	s_add_u32 s14, s14, s16
	v_rcp_iflag_f32_e32 v0, v0
	s_addc_u32 s15, s15, s17
	s_load_dword s5, s[14:15], 0x0
	s_load_dwordx4 s[16:19], s[0:1], 0x0
	s_mul_i32 s0, s12, s6
	v_mul_f32_e32 v0, 0x4f7ffffe, v0
	v_cvt_u32_f32_e32 v0, v0
	s_waitcnt lgkmcnt(0)
	s_mul_i32 s0, s0, s5
	s_mul_hi_i32 s1, s0, 0xb0
	s_mulk_i32 s0, 0xb0
	s_add_u32 s0, s16, s0
	s_addc_u32 s1, s17, s1
	s_sub_i32 s5, 0, s4
	v_readfirstlane_b32 s14, v0
	s_mul_i32 s5, s5, s14
	s_mul_hi_u32 s5, s14, s5
	s_add_i32 s14, s14, s5
	s_mul_hi_u32 s5, s8, s14
	s_mul_i32 s14, s5, s4
	s_sub_i32 s14, s8, s14
	s_add_i32 s15, s5, 1
	s_sub_i32 s16, s14, s4
	s_cmp_ge_u32 s14, s4
	s_cselect_b32 s5, s15, s5
	s_cselect_b32 s14, s16, s14
	s_add_i32 s15, s5, 1
	s_cmp_ge_u32 s14, s4
	s_cselect_b32 s4, s15, s5
	s_mul_i32 s4, s4, s7
	s_mov_b32 s5, s9
	s_lshl_b64 s[4:5], s[4:5], 2
	v_lshlrev_b32_e32 v0, 1, v17
	s_add_u32 s4, s18, s4
	v_bfe_u32 v8, v0, 3, 2
	s_addc_u32 s5, s19, s5
	v_and_b32_e32 v4, 30, v0
	v_lshlrev_b32_e32 v21, 1, v8
	v_and_b32_e32 v10, 3, v17
	v_cmp_lt_u32_e32 vcc, 15, v4
	v_mad_u64_u32 v[4:5], s[4:5], v21, 36, s[4:5]
	s_movk_i32 s13, 0xb0
	v_mul_lo_u32 v19, v16, s12
	v_lshlrev_b32_e32 v0, 5, v8
	v_lshlrev_b32_e32 v2, 2, v10
	v_mov_b32_e32 v3, v1
	v_lshlrev_b32_e32 v22, 3, v18
	s_mov_b64 s[4:5], 0
	v_mov_b64_e32 v[6:7], s[0:1]
	v_lshlrev_b32_e32 v8, 1, v8
	v_mov_b32_e32 v9, v1
	s_mov_b32 s7, 0x5040100
	s_mov_b32 s9, 0x30303030
	v_lshlrev_b32_e32 v10, 2, v10
	v_mov_b32_e32 v11, v1
	s_mov_b32 s14, 0x10101010
	v_mov_b32_e32 v20, v1
	s_branch .LBB264_4
.LBB264_3:                              ;   in Loop: Header=BB264_4 Depth=1
	s_or_b64 exec, exec, s[0:1]
	v_mad_i64_i32 v[14:15], s[0:1], v22, 36, v[4:5]
	global_load_dword v30, v[14:15], off
	v_lshl_add_u64 v[28:29], v[14:15], 0, v[10:11]
	global_load_dword v31, v[12:13], off
	global_load_dword v32, v[28:29], off offset:20
	global_load_dword v33, v[28:29], off offset:40
	;; [unrolled: 1-line block ×5, first 2 shown]
	s_waitcnt vmcnt(7)
	v_ashrrev_i32_e32 v13, v21, v26
	v_ashrrev_i32_e32 v14, v21, v25
	v_and_b32_e32 v25, 0xf0f0f0f, v23
	v_lshrrev_b32_e32 v23, 4, v23
	v_lshlrev_b32_e32 v39, 4, v13
	v_and_b32_e32 v15, 0xf0f0f0f, v24
	v_mov_b32_e32 v26, 0
	v_mov_b32_e32 v28, 0
	v_lshrrev_b32_e32 v24, 4, v24
	v_lshlrev_b32_e32 v38, 4, v14
	v_and_b32_e32 v23, 0xf0f0f0f, v23
	v_lshlrev_b32_e32 v13, 3, v13
	v_and_or_b32 v25, v39, s14, v25
	v_pk_lshrrev_b16 v12, 8, v27 op_sel_hi:[0,1]
	v_and_b32_e32 v27, 0xff00ff, v27
	v_mov_b32_e32 v29, 0
	v_mov_b32_e32 v37, 0
	v_and_b32_e32 v24, 0xf0f0f0f, v24
	v_lshlrev_b32_e32 v14, 3, v14
	v_and_or_b32 v15, v38, s14, v15
	v_and_or_b32 v23, v13, s14, v23
	v_lshrrev_b32_e32 v41, 16, v27
	v_and_b32_e32 v27, 0xff, v27
	v_and_or_b32 v38, v14, s14, v24
	v_lshrrev_b32_e32 v40, 16, v12
	v_and_b32_e32 v12, 0xff, v12
	v_add_u32_e32 v18, 4, v18
	v_cmp_le_u32_e64 s[0:1], s12, v18
	s_or_b64 s[4:5], s[0:1], s[4:5]
	v_add_u32_e32 v22, 32, v22
	s_waitcnt vmcnt(5)
	v_cvt_f32_f16_sdwa v13, v31 dst_sel:DWORD dst_unused:UNUSED_PAD src0_sel:WORD_1
	s_waitcnt vmcnt(4)
	v_dot4c_i32_i8_e32 v26, v25, v32
	v_dot4c_i32_i8_e32 v28, 0x1010101, v32
	s_waitcnt vmcnt(2)
	v_dot4c_i32_i8_e32 v29, v23, v34
	v_dot4c_i32_i8_e32 v37, 0x1010101, v34
	;; [unrolled: 3-line block ×3, first 2 shown]
	v_dot4c_i32_i8_e32 v29, v38, v33
	v_dot4c_i32_i8_e32 v37, 0x1010101, v33
	v_mul_lo_u32 v15, v26, v27
	v_mul_lo_u32 v23, v28, v41
	v_cvt_f32_f16_e32 v14, v30
	v_mul_lo_u32 v12, v29, v12
	v_mul_lo_u32 v25, v37, v40
	v_cvt_f32_i32_e32 v27, v23
	v_cvt_f32_i32_e32 v26, v15
	v_cvt_f32_f16_e32 v24, v35
	v_cvt_f32_i32_e32 v29, v25
	v_cvt_f32_i32_e32 v28, v12
	v_cvt_f32_f16_e32 v12, v31
	v_pk_fma_f32 v[14:15], v[14:15], v[26:27], 0 op_sel_hi:[0,1,0]
	v_pk_fma_f32 v[14:15], v[24:25], v[28:29], v[14:15] op_sel_hi:[0,1,1]
	v_pk_mul_f32 v[12:13], v[14:15], v[12:13]
	s_nop 0
	v_sub_f32_e32 v12, v12, v13
	v_add_f32_e32 v20, v20, v12
	s_andn2_b64 exec, exec, s[4:5]
	s_cbranch_execz .LBB264_8
.LBB264_4:                              ; =>This Inner Loop Header: Depth=1
	v_add_u32_e32 v12, v19, v18
	v_mad_i64_i32 v[12:13], s[0:1], v12, s13, v[6:7]
	v_lshl_add_u64 v[14:15], v[12:13], 0, v[2:3]
	v_lshl_add_u64 v[28:29], v[14:15], 0, v[0:1]
	global_load_dword v23, v[28:29], off offset:64
	global_load_dword v25, v[14:15], off offset:16
	;; [unrolled: 1-line block ×4, first 2 shown]
	v_lshl_add_u64 v[14:15], v[12:13], 0, v[8:9]
                                        ; implicit-def: $vgpr27
	s_and_saveexec_b64 s[0:1], vcc
	s_xor_b64 s[0:1], exec, s[0:1]
	s_cbranch_execz .LBB264_6
; %bb.5:                                ;   in Loop: Header=BB264_4 Depth=1
	global_load_ushort v27, v[14:15], off
	global_load_ushort v28, v[14:15], off offset:8
	global_load_ushort v29, v[14:15], off offset:4
	s_waitcnt vmcnt(1)
	v_lshrrev_b16_e32 v14, 4, v28
	s_waitcnt vmcnt(0)
	v_perm_b32 v15, v29, v27, s7
	v_perm_b32 v14, v14, v28, s7
	v_and_b32_e32 v14, 0xf0f0f0f, v14
	v_pk_lshrrev_b16 v15, 2, v15 op_sel_hi:[0,1]
	v_and_or_b32 v27, v15, s9, v14
                                        ; implicit-def: $vgpr14_vgpr15
.LBB264_6:                              ;   in Loop: Header=BB264_4 Depth=1
	s_andn2_saveexec_b64 s[0:1], s[0:1]
	s_cbranch_execz .LBB264_3
; %bb.7:                                ;   in Loop: Header=BB264_4 Depth=1
	global_load_ushort v27, v[14:15], off offset:4
	global_load_ushort v28, v[14:15], off offset:8
	s_waitcnt vmcnt(0)
	v_perm_b32 v14, v28, v27, s7
	v_and_b32_e32 v27, 0x3f3f3f3f, v14
	s_branch .LBB264_3
.LBB264_8:
	s_or_b64 exec, exec, s[4:5]
.LBB264_9:
	s_or_b64 exec, exec, s[10:11]
	v_mbcnt_lo_u32_b32 v0, -1, 0
	v_mbcnt_hi_u32_b32 v1, -1, v0
	v_and_b32_e32 v0, 64, v1
	v_add_u32_e32 v2, 64, v0
	v_xor_b32_e32 v0, 32, v1
	v_cmp_lt_i32_e32 vcc, v0, v2
	v_xor_b32_e32 v3, 16, v1
	v_xor_b32_e32 v4, 8, v1
	v_cndmask_b32_e32 v0, v1, v0, vcc
	v_lshlrev_b32_e32 v0, 2, v0
	ds_bpermute_b32 v0, v0, v20
	v_cmp_lt_i32_e32 vcc, v3, v2
	s_waitcnt lgkmcnt(0)
	v_add_f32_e32 v0, v20, v0
	v_cndmask_b32_e32 v3, v1, v3, vcc
	v_lshlrev_b32_e32 v3, 2, v3
	ds_bpermute_b32 v3, v3, v0
	v_cmp_lt_i32_e32 vcc, v4, v2
	s_waitcnt lgkmcnt(0)
	v_add_f32_e32 v0, v0, v3
	v_cndmask_b32_e32 v3, v1, v4, vcc
	v_lshlrev_b32_e32 v3, 2, v3
	ds_bpermute_b32 v3, v3, v0
	v_xor_b32_e32 v4, 4, v1
	v_cmp_lt_i32_e32 vcc, v4, v2
	s_waitcnt lgkmcnt(0)
	v_add_f32_e32 v0, v0, v3
	v_cndmask_b32_e32 v3, v1, v4, vcc
	v_lshlrev_b32_e32 v3, 2, v3
	ds_bpermute_b32 v3, v3, v0
	v_xor_b32_e32 v4, 2, v1
	;; [unrolled: 7-line block ×3, first 2 shown]
	v_cmp_lt_i32_e32 vcc, v4, v2
	s_waitcnt lgkmcnt(0)
	v_add_f32_e32 v0, v0, v3
	v_cndmask_b32_e32 v1, v1, v4, vcc
	v_lshlrev_b32_e32 v1, 2, v1
	ds_bpermute_b32 v1, v1, v0
	v_cmp_eq_u32_e32 vcc, 0, v17
	s_and_b64 exec, exec, vcc
	s_cbranch_execz .LBB264_11
; %bb.10:
	s_waitcnt lgkmcnt(0)
	v_add_f32_e32 v0, v0, v1
	v_cvt_f16_f32_e32 v2, v0
	s_mul_i32 s0, s8, s6
	v_add_u32_e32 v0, s0, v16
	v_mov_b32_e32 v1, 0
	v_lshl_add_u64 v[0:1], v[0:1], 1, s[2:3]
	global_store_short v[0:1], v2, off
.LBB264_11:
	s_endpgm
	.section	.rodata,"a",@progbits
	.p2align	6, 0x0
	.amdhsa_kernel _ZL9moe_vec_qIN3c104HalfELi256ELi32E10block_q5_KLi2EXadL_ZL17vec_dot_q5_K_q8_1PKvPK10block_q8_1RKiEEEvS4_S4_PT_PS8_iiii
		.amdhsa_group_segment_fixed_size 0
		.amdhsa_private_segment_fixed_size 0
		.amdhsa_kernarg_size 304
		.amdhsa_user_sgpr_count 2
		.amdhsa_user_sgpr_dispatch_ptr 0
		.amdhsa_user_sgpr_queue_ptr 0
		.amdhsa_user_sgpr_kernarg_segment_ptr 1
		.amdhsa_user_sgpr_dispatch_id 0
		.amdhsa_user_sgpr_kernarg_preload_length 0
		.amdhsa_user_sgpr_kernarg_preload_offset 0
		.amdhsa_user_sgpr_private_segment_size 0
		.amdhsa_uses_dynamic_stack 0
		.amdhsa_enable_private_segment 0
		.amdhsa_system_sgpr_workgroup_id_x 1
		.amdhsa_system_sgpr_workgroup_id_y 0
		.amdhsa_system_sgpr_workgroup_id_z 1
		.amdhsa_system_sgpr_workgroup_info 0
		.amdhsa_system_vgpr_workitem_id 1
		.amdhsa_next_free_vgpr 42
		.amdhsa_next_free_sgpr 20
		.amdhsa_accum_offset 44
		.amdhsa_reserve_vcc 1
		.amdhsa_float_round_mode_32 0
		.amdhsa_float_round_mode_16_64 0
		.amdhsa_float_denorm_mode_32 3
		.amdhsa_float_denorm_mode_16_64 3
		.amdhsa_dx10_clamp 1
		.amdhsa_ieee_mode 1
		.amdhsa_fp16_overflow 0
		.amdhsa_tg_split 0
		.amdhsa_exception_fp_ieee_invalid_op 0
		.amdhsa_exception_fp_denorm_src 0
		.amdhsa_exception_fp_ieee_div_zero 0
		.amdhsa_exception_fp_ieee_overflow 0
		.amdhsa_exception_fp_ieee_underflow 0
		.amdhsa_exception_fp_ieee_inexact 0
		.amdhsa_exception_int_div_zero 0
	.end_amdhsa_kernel
	.section	.text._ZL9moe_vec_qIN3c104HalfELi256ELi32E10block_q5_KLi2EXadL_ZL17vec_dot_q5_K_q8_1PKvPK10block_q8_1RKiEEEvS4_S4_PT_PS8_iiii,"axG",@progbits,_ZL9moe_vec_qIN3c104HalfELi256ELi32E10block_q5_KLi2EXadL_ZL17vec_dot_q5_K_q8_1PKvPK10block_q8_1RKiEEEvS4_S4_PT_PS8_iiii,comdat
.Lfunc_end264:
	.size	_ZL9moe_vec_qIN3c104HalfELi256ELi32E10block_q5_KLi2EXadL_ZL17vec_dot_q5_K_q8_1PKvPK10block_q8_1RKiEEEvS4_S4_PT_PS8_iiii, .Lfunc_end264-_ZL9moe_vec_qIN3c104HalfELi256ELi32E10block_q5_KLi2EXadL_ZL17vec_dot_q5_K_q8_1PKvPK10block_q8_1RKiEEEvS4_S4_PT_PS8_iiii
                                        ; -- End function
	.section	.AMDGPU.csdata,"",@progbits
; Kernel info:
; codeLenInByte = 1316
; NumSgprs: 26
; NumVgprs: 42
; NumAgprs: 0
; TotalNumVgprs: 42
; ScratchSize: 0
; MemoryBound: 0
; FloatMode: 240
; IeeeMode: 1
; LDSByteSize: 0 bytes/workgroup (compile time only)
; SGPRBlocks: 3
; VGPRBlocks: 5
; NumSGPRsForWavesPerEU: 26
; NumVGPRsForWavesPerEU: 42
; AccumOffset: 44
; Occupancy: 8
; WaveLimiterHint : 1
; COMPUTE_PGM_RSRC2:SCRATCH_EN: 0
; COMPUTE_PGM_RSRC2:USER_SGPR: 2
; COMPUTE_PGM_RSRC2:TRAP_HANDLER: 0
; COMPUTE_PGM_RSRC2:TGID_X_EN: 1
; COMPUTE_PGM_RSRC2:TGID_Y_EN: 0
; COMPUTE_PGM_RSRC2:TGID_Z_EN: 1
; COMPUTE_PGM_RSRC2:TIDIG_COMP_CNT: 1
; COMPUTE_PGM_RSRC3_GFX90A:ACCUM_OFFSET: 10
; COMPUTE_PGM_RSRC3_GFX90A:TG_SPLIT: 0
	.section	.text._ZL9moe_vec_qIN3c104HalfELi256ELi32E10block_q6_KLi1EXadL_ZL17vec_dot_q6_K_q8_1PKvPK10block_q8_1RKiEEEvS4_S4_PT_PS8_iiii,"axG",@progbits,_ZL9moe_vec_qIN3c104HalfELi256ELi32E10block_q6_KLi1EXadL_ZL17vec_dot_q6_K_q8_1PKvPK10block_q8_1RKiEEEvS4_S4_PT_PS8_iiii,comdat
	.globl	_ZL9moe_vec_qIN3c104HalfELi256ELi32E10block_q6_KLi1EXadL_ZL17vec_dot_q6_K_q8_1PKvPK10block_q8_1RKiEEEvS4_S4_PT_PS8_iiii ; -- Begin function _ZL9moe_vec_qIN3c104HalfELi256ELi32E10block_q6_KLi1EXadL_ZL17vec_dot_q6_K_q8_1PKvPK10block_q8_1RKiEEEvS4_S4_PT_PS8_iiii
	.p2align	8
	.type	_ZL9moe_vec_qIN3c104HalfELi256ELi32E10block_q6_KLi1EXadL_ZL17vec_dot_q6_K_q8_1PKvPK10block_q8_1RKiEEEvS4_S4_PT_PS8_iiii,@function
_ZL9moe_vec_qIN3c104HalfELi256ELi32E10block_q6_KLi1EXadL_ZL17vec_dot_q6_K_q8_1PKvPK10block_q8_1RKiEEEvS4_S4_PT_PS8_iiii: ; @_ZL9moe_vec_qIN3c104HalfELi256ELi32E10block_q6_KLi1EXadL_ZL17vec_dot_q6_K_q8_1PKvPK10block_q8_1RKiEEEvS4_S4_PT_PS8_iiii
; %bb.0:
	s_mov_b32 s8, s3
	s_load_dword s3, s[0:1], 0x3c
	s_load_dwordx4 s[4:7], s[0:1], 0x20
	v_bfe_u32 v1, v0, 10, 10
	s_waitcnt lgkmcnt(0)
	s_lshr_b32 s3, s3, 16
	s_mul_i32 s2, s2, s3
	v_add_u32_e32 v12, s2, v1
	v_cmp_gt_u32_e32 vcc, s6, v12
	s_and_saveexec_b64 s[2:3], vcc
	s_cbranch_execz .LBB265_7
; %bb.1:
	s_load_dwordx2 s[2:3], s[0:1], 0x10
	s_ashr_i32 s9, s5, 31
	s_lshr_b32 s9, s9, 24
	s_add_i32 s5, s5, s9
	v_and_b32_e32 v13, 0x3ff, v0
	s_ashr_i32 s5, s5, 8
	v_lshrrev_b32_e32 v14, 5, v13
	v_cmp_gt_u32_e32 vcc, s5, v14
	v_mov_b32_e32 v16, 0
	s_and_saveexec_b64 s[10:11], vcc
	s_cbranch_execz .LBB265_5
; %bb.2:
	s_load_dwordx2 s[12:13], s[0:1], 0x18
	v_cvt_f32_u32_e32 v0, s4
	s_mov_b32 s9, 0
	s_lshl_b64 s[14:15], s[8:9], 2
	v_and_b32_e32 v4, 7, v13
	s_waitcnt lgkmcnt(0)
	s_add_u32 s12, s12, s14
	v_rcp_iflag_f32_e32 v0, v0
	s_addc_u32 s13, s13, s15
	s_load_dword s14, s[12:13], 0x0
	s_load_dwordx4 s[16:19], s[0:1], 0x0
	s_mul_i32 s0, s5, s6
	v_mul_f32_e32 v0, 0x4f7ffffe, v0
	v_cvt_u32_f32_e32 v0, v0
	s_waitcnt lgkmcnt(0)
	s_mul_i32 s0, s0, s14
	s_mul_hi_i32 s1, s0, 0xd2
	s_mulk_i32 s0, 0xd2
	s_add_u32 s14, s16, s0
	s_addc_u32 s15, s17, s1
	s_sub_i32 s0, 0, s4
	v_readfirstlane_b32 s1, v0
	s_mul_i32 s0, s0, s1
	s_mul_hi_u32 s0, s1, s0
	s_add_i32 s1, s1, s0
	s_mul_hi_u32 s0, s8, s1
	s_mul_i32 s1, s0, s4
	s_sub_i32 s1, s8, s1
	s_add_i32 s13, s0, 1
	s_sub_i32 s16, s1, s4
	s_cmp_ge_u32 s1, s4
	s_cselect_b32 s0, s13, s0
	v_and_b32_e32 v0, 31, v13
	s_cselect_b32 s1, s16, s1
	s_add_i32 s13, s0, 1
	v_add_u32_e32 v1, 0xf0, v0
	v_cmp_gt_u32_e32 vcc, 16, v0
	s_cmp_ge_u32 s1, s4
	s_cselect_b32 s0, s13, s0
	v_cndmask_b32_e32 v8, v1, v0, vcc
	v_and_b32_e32 v1, 0xf8, v8
	s_mul_i32 s0, s0, s7
	s_mov_b32 s1, s9
	v_cmp_ne_u32_e32 vcc, 0, v1
	s_lshl_b64 s[0:1], s[0:1], 2
	s_add_u32 s0, s18, s0
	v_cndmask_b32_e64 v9, 0, 1, vcc
	v_cmp_lt_u32_e32 vcc, 15, v0
	s_addc_u32 s1, s19, s1
	v_mov_b32_e32 v1, 0
	v_cndmask_b32_e64 v2, 0, 1, vcc
	v_lshl_or_b32 v6, v2, 2, v9
	v_lshlrev_b32_e32 v10, 3, v2
	v_or_b32_e32 v2, v10, v4
	v_mad_u64_u32 v[6:7], s[0:1], v6, 36, s[0:1]
	v_bfe_u32 v8, v8, 2, 6
	s_movk_i32 s12, 0xd2
	v_mul_lo_u32 v15, v12, s5
	v_lshlrev_b32_e32 v0, 2, v0
	v_lshlrev_b32_e32 v2, 2, v2
	v_mov_b32_e32 v3, v1
	v_lshlrev_b32_e32 v4, 2, v4
	v_mov_b32_e32 v5, v1
	v_lshlrev_b32_e32 v17, 1, v9
	v_add_u32_e32 v8, v8, v10
	v_mov_b32_e32 v9, v1
	v_lshlrev_b32_e32 v18, 3, v14
	s_mov_b64 s[0:1], 0
	v_mov_b64_e32 v[10:11], s[14:15]
	s_mov_b32 s4, 0xf0f0f0f
	s_mov_b32 s7, 0x30303030
	s_movk_i32 s9, 0x3f00
	s_movk_i32 s13, 0xe000
	v_mov_b32_e32 v19, 8
	v_mov_b32_e32 v16, v1
.LBB265_3:                              ; =>This Inner Loop Header: Depth=1
	v_add_u32_e32 v20, v15, v14
	v_mad_i64_i32 v[20:21], s[14:15], v20, s12, v[10:11]
	v_lshl_add_u64 v[24:25], v[20:21], 0, v[2:3]
	v_lshl_add_u64 v[22:23], v[20:21], 0, v[0:1]
	global_load_dword v26, v[24:25], off offset:128
	global_load_dword v27, v[22:23], off
	v_mad_i64_i32 v[22:23], s[14:15], v18, 36, v[6:7]
	v_lshl_add_u64 v[24:25], v[22:23], 0, v[4:5]
	global_load_dword v28, v[24:25], off offset:4
	global_load_dword v29, v[24:25], off offset:76
	v_lshl_add_u64 v[24:25], v[20:21], 0, v[8:9]
	global_load_sbyte v30, v[24:25], off offset:192
	global_load_sbyte v31, v[24:25], off offset:196
	global_load_dword v32, v[22:23], off
	global_load_dword v33, v[22:23], off offset:72
	global_load_ushort v34, v[20:21], off offset:208
	v_mov_b32_e32 v20, 0
	v_mov_b32_e32 v21, 0
	v_add_u32_e32 v14, 2, v14
	v_cmp_le_u32_e32 vcc, s5, v14
	v_add_u32_e32 v18, 16, v18
	s_or_b64 s[0:1], vcc, s[0:1]
	s_waitcnt vmcnt(8)
	v_ashrrev_i32_e32 v22, v17, v26
	s_waitcnt vmcnt(7)
	v_and_b32_e32 v23, 0xf0f0f0f, v27
	v_lshlrev_b32_e32 v25, 4, v22
	v_lshrrev_b32_e32 v24, 4, v27
	v_and_b32_e32 v22, 0x30303030, v22
	v_and_or_b32 v23, v25, s7, v23
	v_and_or_b32 v22, v24, s4, v22
	v_and_b32_e32 v24, 0x3f00, v23
	v_lshlrev_b16_e32 v25, 8, v23
	v_and_b32_sdwa v26, v23, s9 dst_sel:DWORD dst_unused:UNUSED_PAD src0_sel:WORD_1 src1_sel:DWORD
	v_lshlrev_b16_sdwa v23, v19, v23 dst_sel:DWORD dst_unused:UNUSED_PAD src0_sel:DWORD src1_sel:WORD_1
	v_and_b32_e32 v27, 0x3f00, v22
	v_lshlrev_b16_e32 v35, 8, v22
	v_and_b32_sdwa v36, v22, s9 dst_sel:DWORD dst_unused:UNUSED_PAD src0_sel:WORD_1 src1_sel:DWORD
	v_lshlrev_b16_sdwa v22, v19, v22 dst_sel:DWORD dst_unused:UNUSED_PAD src0_sel:DWORD src1_sel:WORD_1
	v_add_u16_e32 v25, 0xe000, v25
	v_add_u16_e32 v23, 0xe000, v23
	;; [unrolled: 1-line block ×4, first 2 shown]
	v_or_b32_sdwa v24, v24, v25 dst_sel:DWORD dst_unused:UNUSED_PAD src0_sel:DWORD src1_sel:BYTE_1
	v_or_b32_sdwa v23, v26, v23 dst_sel:DWORD dst_unused:UNUSED_PAD src0_sel:DWORD src1_sel:BYTE_1
	;; [unrolled: 1-line block ×4, first 2 shown]
	v_add_u16_e32 v24, 0xe000, v24
	v_add_u16_sdwa v23, v23, s13 dst_sel:WORD_1 dst_unused:UNUSED_PAD src0_sel:DWORD src1_sel:DWORD
	v_add_u16_e32 v25, 0xe000, v25
	v_add_u16_sdwa v22, v22, s13 dst_sel:WORD_1 dst_unused:UNUSED_PAD src0_sel:DWORD src1_sel:DWORD
	v_or_b32_e32 v23, v24, v23
	v_or_b32_e32 v22, v25, v22
	s_waitcnt vmcnt(6)
	v_dot4c_i32_i8_e32 v20, v23, v28
	s_waitcnt vmcnt(5)
	v_dot4c_i32_i8_e32 v21, v22, v29
	s_waitcnt vmcnt(4)
	v_mul_lo_u32 v20, v20, v30
	s_waitcnt vmcnt(3)
	v_mul_lo_u32 v21, v21, v31
	v_cvt_f32_i32_e32 v20, v20
	v_cvt_f32_i32_e32 v21, v21
	s_waitcnt vmcnt(2)
	v_fma_mix_f32 v20, v32, v20, 0 op_sel_hi:[1,0,0]
	s_waitcnt vmcnt(1)
	v_fma_mix_f32 v20, v33, v21, v20 op_sel_hi:[1,0,0]
	;; [unrolled: 2-line block ×3, first 2 shown]
	s_andn2_b64 exec, exec, s[0:1]
	s_cbranch_execnz .LBB265_3
; %bb.4:
	s_or_b64 exec, exec, s[0:1]
.LBB265_5:
	s_or_b64 exec, exec, s[10:11]
	v_mbcnt_lo_u32_b32 v0, -1, 0
	v_mbcnt_hi_u32_b32 v1, -1, v0
	v_and_b32_e32 v0, 64, v1
	v_add_u32_e32 v2, 64, v0
	v_xor_b32_e32 v0, 32, v1
	v_cmp_lt_i32_e32 vcc, v0, v2
	v_xor_b32_e32 v3, 16, v1
	v_xor_b32_e32 v4, 8, v1
	v_cndmask_b32_e32 v0, v1, v0, vcc
	v_lshlrev_b32_e32 v0, 2, v0
	ds_bpermute_b32 v0, v0, v16
	v_cmp_lt_i32_e32 vcc, v3, v2
	s_waitcnt lgkmcnt(0)
	v_add_f32_e32 v0, v16, v0
	v_cndmask_b32_e32 v3, v1, v3, vcc
	v_lshlrev_b32_e32 v3, 2, v3
	ds_bpermute_b32 v3, v3, v0
	v_cmp_lt_i32_e32 vcc, v4, v2
	s_waitcnt lgkmcnt(0)
	v_add_f32_e32 v0, v0, v3
	v_cndmask_b32_e32 v3, v1, v4, vcc
	v_lshlrev_b32_e32 v3, 2, v3
	ds_bpermute_b32 v3, v3, v0
	v_xor_b32_e32 v4, 4, v1
	v_cmp_lt_i32_e32 vcc, v4, v2
	s_waitcnt lgkmcnt(0)
	v_add_f32_e32 v0, v0, v3
	v_cndmask_b32_e32 v3, v1, v4, vcc
	v_lshlrev_b32_e32 v3, 2, v3
	ds_bpermute_b32 v3, v3, v0
	v_xor_b32_e32 v4, 2, v1
	;; [unrolled: 7-line block ×3, first 2 shown]
	v_cmp_lt_i32_e32 vcc, v4, v2
	s_waitcnt lgkmcnt(0)
	v_add_f32_e32 v0, v0, v3
	v_cndmask_b32_e32 v1, v1, v4, vcc
	v_lshlrev_b32_e32 v1, 2, v1
	ds_bpermute_b32 v1, v1, v0
	v_cmp_eq_u32_e32 vcc, 0, v13
	s_and_b64 exec, exec, vcc
	s_cbranch_execz .LBB265_7
; %bb.6:
	s_waitcnt lgkmcnt(0)
	v_add_f32_e32 v0, v0, v1
	v_cvt_f16_f32_e32 v2, v0
	s_mul_i32 s0, s8, s6
	v_add_u32_e32 v0, s0, v12
	v_mov_b32_e32 v1, 0
	v_lshl_add_u64 v[0:1], v[0:1], 1, s[2:3]
	global_store_short v[0:1], v2, off
.LBB265_7:
	s_endpgm
	.section	.rodata,"a",@progbits
	.p2align	6, 0x0
	.amdhsa_kernel _ZL9moe_vec_qIN3c104HalfELi256ELi32E10block_q6_KLi1EXadL_ZL17vec_dot_q6_K_q8_1PKvPK10block_q8_1RKiEEEvS4_S4_PT_PS8_iiii
		.amdhsa_group_segment_fixed_size 0
		.amdhsa_private_segment_fixed_size 0
		.amdhsa_kernarg_size 304
		.amdhsa_user_sgpr_count 2
		.amdhsa_user_sgpr_dispatch_ptr 0
		.amdhsa_user_sgpr_queue_ptr 0
		.amdhsa_user_sgpr_kernarg_segment_ptr 1
		.amdhsa_user_sgpr_dispatch_id 0
		.amdhsa_user_sgpr_kernarg_preload_length 0
		.amdhsa_user_sgpr_kernarg_preload_offset 0
		.amdhsa_user_sgpr_private_segment_size 0
		.amdhsa_uses_dynamic_stack 0
		.amdhsa_enable_private_segment 0
		.amdhsa_system_sgpr_workgroup_id_x 1
		.amdhsa_system_sgpr_workgroup_id_y 0
		.amdhsa_system_sgpr_workgroup_id_z 1
		.amdhsa_system_sgpr_workgroup_info 0
		.amdhsa_system_vgpr_workitem_id 1
		.amdhsa_next_free_vgpr 37
		.amdhsa_next_free_sgpr 20
		.amdhsa_accum_offset 40
		.amdhsa_reserve_vcc 1
		.amdhsa_float_round_mode_32 0
		.amdhsa_float_round_mode_16_64 0
		.amdhsa_float_denorm_mode_32 3
		.amdhsa_float_denorm_mode_16_64 3
		.amdhsa_dx10_clamp 1
		.amdhsa_ieee_mode 1
		.amdhsa_fp16_overflow 0
		.amdhsa_tg_split 0
		.amdhsa_exception_fp_ieee_invalid_op 0
		.amdhsa_exception_fp_denorm_src 0
		.amdhsa_exception_fp_ieee_div_zero 0
		.amdhsa_exception_fp_ieee_overflow 0
		.amdhsa_exception_fp_ieee_underflow 0
		.amdhsa_exception_fp_ieee_inexact 0
		.amdhsa_exception_int_div_zero 0
	.end_amdhsa_kernel
	.section	.text._ZL9moe_vec_qIN3c104HalfELi256ELi32E10block_q6_KLi1EXadL_ZL17vec_dot_q6_K_q8_1PKvPK10block_q8_1RKiEEEvS4_S4_PT_PS8_iiii,"axG",@progbits,_ZL9moe_vec_qIN3c104HalfELi256ELi32E10block_q6_KLi1EXadL_ZL17vec_dot_q6_K_q8_1PKvPK10block_q8_1RKiEEEvS4_S4_PT_PS8_iiii,comdat
.Lfunc_end265:
	.size	_ZL9moe_vec_qIN3c104HalfELi256ELi32E10block_q6_KLi1EXadL_ZL17vec_dot_q6_K_q8_1PKvPK10block_q8_1RKiEEEvS4_S4_PT_PS8_iiii, .Lfunc_end265-_ZL9moe_vec_qIN3c104HalfELi256ELi32E10block_q6_KLi1EXadL_ZL17vec_dot_q6_K_q8_1PKvPK10block_q8_1RKiEEEvS4_S4_PT_PS8_iiii
                                        ; -- End function
	.section	.AMDGPU.csdata,"",@progbits
; Kernel info:
; codeLenInByte = 1192
; NumSgprs: 26
; NumVgprs: 37
; NumAgprs: 0
; TotalNumVgprs: 37
; ScratchSize: 0
; MemoryBound: 0
; FloatMode: 240
; IeeeMode: 1
; LDSByteSize: 0 bytes/workgroup (compile time only)
; SGPRBlocks: 3
; VGPRBlocks: 4
; NumSGPRsForWavesPerEU: 26
; NumVGPRsForWavesPerEU: 37
; AccumOffset: 40
; Occupancy: 8
; WaveLimiterHint : 1
; COMPUTE_PGM_RSRC2:SCRATCH_EN: 0
; COMPUTE_PGM_RSRC2:USER_SGPR: 2
; COMPUTE_PGM_RSRC2:TRAP_HANDLER: 0
; COMPUTE_PGM_RSRC2:TGID_X_EN: 1
; COMPUTE_PGM_RSRC2:TGID_Y_EN: 0
; COMPUTE_PGM_RSRC2:TGID_Z_EN: 1
; COMPUTE_PGM_RSRC2:TIDIG_COMP_CNT: 1
; COMPUTE_PGM_RSRC3_GFX90A:ACCUM_OFFSET: 9
; COMPUTE_PGM_RSRC3_GFX90A:TG_SPLIT: 0
	.section	.text._ZL9moe_vec_qIN3c104HalfELi256ELi8E13block_iq2_xxsLi1EXadL_ZL20vec_dot_iq2_xxs_q8_1PKvPK10block_q8_1RKiEEEvS4_S4_PT_PS8_iiii,"axG",@progbits,_ZL9moe_vec_qIN3c104HalfELi256ELi8E13block_iq2_xxsLi1EXadL_ZL20vec_dot_iq2_xxs_q8_1PKvPK10block_q8_1RKiEEEvS4_S4_PT_PS8_iiii,comdat
	.globl	_ZL9moe_vec_qIN3c104HalfELi256ELi8E13block_iq2_xxsLi1EXadL_ZL20vec_dot_iq2_xxs_q8_1PKvPK10block_q8_1RKiEEEvS4_S4_PT_PS8_iiii ; -- Begin function _ZL9moe_vec_qIN3c104HalfELi256ELi8E13block_iq2_xxsLi1EXadL_ZL20vec_dot_iq2_xxs_q8_1PKvPK10block_q8_1RKiEEEvS4_S4_PT_PS8_iiii
	.p2align	8
	.type	_ZL9moe_vec_qIN3c104HalfELi256ELi8E13block_iq2_xxsLi1EXadL_ZL20vec_dot_iq2_xxs_q8_1PKvPK10block_q8_1RKiEEEvS4_S4_PT_PS8_iiii,@function
_ZL9moe_vec_qIN3c104HalfELi256ELi8E13block_iq2_xxsLi1EXadL_ZL20vec_dot_iq2_xxs_q8_1PKvPK10block_q8_1RKiEEEvS4_S4_PT_PS8_iiii: ; @_ZL9moe_vec_qIN3c104HalfELi256ELi8E13block_iq2_xxsLi1EXadL_ZL20vec_dot_iq2_xxs_q8_1PKvPK10block_q8_1RKiEEEvS4_S4_PT_PS8_iiii
; %bb.0:
	s_mov_b32 s52, s3
	s_load_dword s3, s[0:1], 0x3c
	s_load_dwordx4 s[48:51], s[0:1], 0x20
	v_bfe_u32 v1, v0, 10, 10
	s_waitcnt lgkmcnt(0)
	s_lshr_b32 s3, s3, 16
	s_mul_i32 s2, s2, s3
	v_add_u32_e32 v8, s2, v1
	v_cmp_gt_u32_e32 vcc, s50, v8
	s_and_saveexec_b64 s[2:3], vcc
	s_cbranch_execz .LBB266_7
; %bb.1:
	s_load_dwordx2 s[54:55], s[0:1], 0x10
	s_ashr_i32 s2, s49, 31
	s_lshr_b32 s2, s2, 24
	s_add_i32 s2, s49, s2
	v_and_b32_e32 v9, 0x3ff, v0
	s_ashr_i32 s33, s2, 8
	v_lshrrev_b32_e32 v10, 3, v9
	v_cmp_gt_u32_e32 vcc, s33, v10
	v_mov_b32_e32 v11, 0
	s_and_saveexec_b64 s[56:57], vcc
	s_cbranch_execz .LBB266_5
; %bb.2:
	s_load_dwordx2 s[2:3], s[0:1], 0x18
	v_cvt_f32_u32_e32 v0, s48
	s_mov_b32 s53, 0
	s_lshl_b64 s[4:5], s[52:53], 2
	v_and_b32_e32 v2, 7, v9
	s_waitcnt lgkmcnt(0)
	s_add_u32 s2, s2, s4
	v_rcp_iflag_f32_e32 v0, v0
	s_addc_u32 s3, s3, s5
	s_load_dword s8, s[2:3], 0x0
	s_load_dwordx4 s[4:7], s[0:1], 0x0
	s_mul_i32 s0, s33, s50
	v_mul_f32_e32 v0, 0x4f7ffffe, v0
	v_cvt_u32_f32_e32 v0, v0
	s_waitcnt lgkmcnt(0)
	s_mul_i32 s0, s0, s8
	s_mul_hi_i32 s1, s0, 0x42
	s_mulk_i32 s0, 0x42
	s_add_u32 s0, s4, s0
	s_addc_u32 s1, s5, s1
	s_sub_i32 s2, 0, s48
	v_readfirstlane_b32 s3, v0
	s_mul_i32 s2, s2, s3
	s_mul_hi_u32 s2, s3, s2
	s_add_i32 s3, s3, s2
	s_mul_hi_u32 s2, s52, s3
	s_mul_i32 s3, s2, s48
	s_sub_i32 s3, s52, s3
	s_add_i32 s4, s2, 1
	s_sub_i32 s5, s3, s48
	s_cmp_ge_u32 s3, s48
	s_cselect_b32 s2, s4, s2
	s_cselect_b32 s3, s5, s3
	s_add_i32 s4, s2, 1
	s_cmp_ge_u32 s3, s48
	s_cselect_b32 s2, s4, s2
	s_mul_i32 s2, s2, s51
	s_mov_b32 s3, s53
	s_lshl_b64 s[2:3], s[2:3], 2
	s_add_u32 s2, s6, s2
	s_addc_u32 s3, s7, s3
	v_lshlrev_b32_e32 v0, 2, v2
	v_mov_b32_e32 v1, 0
	s_movk_i32 s60, 0x42
	v_mul_lo_u32 v12, v8, s33
	v_mad_u64_u32 v[2:3], s[2:3], v2, 36, s[2:3]
	v_lshlrev_b32_e32 v13, 3, v10
	s_mov_b64 s[48:49], 0
	v_mov_b64_e32 v[4:5], s[0:1]
	v_lshlrev_b32_e32 v0, 1, v0
	s_mov_b32 s51, 0xffff
	v_mov_b32_e32 v14, 3
	v_mov_b32_e32 v11, v1
	s_getpc_b64 s[58:59]
	s_add_u32 s58, s58, _ZL12ksigns_iq2xs@rel32@lo+4
	s_addc_u32 s59, s59, _ZL12ksigns_iq2xs@rel32@hi+12
.LBB266_3:                              ; =>This Inner Loop Header: Depth=1
	v_add_u32_e32 v15, v12, v10
	v_mad_i64_i32 v[6:7], s[0:1], v13, 36, v[2:3]
	v_mad_i64_i32 v[24:25], s[2:3], v15, s60, v[4:5]
	global_load_dwordx4 v[16:19], v[6:7], off offset:20
	global_load_dwordx4 v[20:23], v[6:7], off offset:4
	global_load_ushort v15, v[6:7], off
	v_lshl_add_u64 v[6:7], v[24:25], 0, v[0:1]
	global_load_ushort v30, v[24:25], off
	global_load_dword v26, v[6:7], off offset:2
	global_load_dword v31, v[6:7], off offset:6
	s_getpc_b64 s[0:1]
	s_add_u32 s0, s0, _ZL11iq2xxs_grid@rel32@lo+4
	s_addc_u32 s1, s1, _ZL11iq2xxs_grid@rel32@hi+12
	v_add_u32_e32 v10, 8, v10
	v_add_u32_e32 v13, 64, v13
	s_waitcnt vmcnt(2)
	v_cvt_f32_f16_e32 v30, v30
	s_waitcnt vmcnt(1)
	v_lshlrev_b32_sdwa v32, v14, v26 dst_sel:DWORD dst_unused:UNUSED_PAD src0_sel:DWORD src1_sel:BYTE_0
	s_waitcnt vmcnt(0)
	v_and_b32_e32 v33, 0x7f, v31
	v_lshlrev_b32_sdwa v34, v14, v26 dst_sel:DWORD dst_unused:UNUSED_PAD src0_sel:DWORD src1_sel:BYTE_1
	v_bfe_u32 v35, v31, 7, 7
	v_lshlrev_b32_sdwa v36, v14, v26 dst_sel:DWORD dst_unused:UNUSED_PAD src0_sel:DWORD src1_sel:BYTE_2
	v_lshlrev_b32_sdwa v37, v14, v26 dst_sel:DWORD dst_unused:UNUSED_PAD src0_sel:DWORD src1_sel:BYTE_3
	v_bfe_u32 v38, v31, 21, 7
	global_load_dwordx2 v[6:7], v32, s[0:1]
	global_load_sbyte v39, v33, s[58:59]
	global_load_dwordx2 v[24:25], v34, s[0:1]
	global_load_dwordx2 v[26:27], v36, s[0:1]
	;; [unrolled: 1-line block ×3, first 2 shown]
	global_load_sbyte v40, v35, s[58:59]
	global_load_sbyte v41, v38, s[58:59]
	v_cmp_gt_u32_e64 s[2:3], 64, v33
	v_cmp_gt_u32_e32 vcc, 64, v35
	v_cmp_gt_u32_e64 s[0:1], 64, v38
	v_cvt_f32_f16_e32 v15, v15
	s_waitcnt vmcnt(6)
	v_mul_i32_i24_sdwa v37, v6, sext(v20) dst_sel:DWORD dst_unused:UNUSED_PAD src0_sel:BYTE_2 src1_sel:BYTE_2
	s_waitcnt vmcnt(5)
	v_and_b32_e32 v36, 2, v39
	v_and_b32_e32 v42, 4, v39
	v_cmp_eq_u16_e64 s[6:7], 0, v36
	v_sub_u32_e32 v36, 0, v37
	v_cmp_eq_u16_e64 s[8:9], 0, v42
	v_mul_i32_i24_sdwa v34, v6, sext(v20) dst_sel:DWORD dst_unused:UNUSED_PAD src0_sel:BYTE_1 src1_sel:BYTE_1
	v_mul_i32_i24_sdwa v43, v7, sext(v21) dst_sel:DWORD dst_unused:UNUSED_PAD src0_sel:BYTE_0 src1_sel:BYTE_0
	v_cndmask_b32_e64 v36, v36, v37, s[8:9]
	v_and_b32_e32 v37, 0xffff0000, v31
	v_and_or_b32 v37, v31, s51, v37
	v_mul_i32_i24_sdwa v45, v7, sext(v21) dst_sel:DWORD dst_unused:UNUSED_PAD src0_sel:BYTE_1 src1_sel:BYTE_1
	v_mul_i32_i24_sdwa v47, v7, sext(v21) dst_sel:DWORD dst_unused:UNUSED_PAD src0_sel:BYTE_2 src1_sel:BYTE_2
	v_mul_i32_i24_sdwa v7, v7, sext(v21) dst_sel:DWORD dst_unused:UNUSED_PAD src0_sel:BYTE_3 src1_sel:BYTE_3
	s_waitcnt vmcnt(4)
	v_mul_i32_i24_sdwa v21, v24, sext(v22) dst_sel:DWORD dst_unused:UNUSED_PAD src0_sel:BYTE_0 src1_sel:BYTE_0
	v_mul_i32_i24_sdwa v48, v24, sext(v22) dst_sel:DWORD dst_unused:UNUSED_PAD src0_sel:BYTE_1 src1_sel:BYTE_1
	v_mul_i32_i24_sdwa v49, v24, sext(v22) dst_sel:DWORD dst_unused:UNUSED_PAD src0_sel:BYTE_2 src1_sel:BYTE_2
	v_mul_i32_i24_sdwa v22, v24, sext(v22) dst_sel:DWORD dst_unused:UNUSED_PAD src0_sel:BYTE_3 src1_sel:BYTE_3
	v_mul_i32_i24_sdwa v24, v25, sext(v23) dst_sel:DWORD dst_unused:UNUSED_PAD src0_sel:BYTE_0 src1_sel:BYTE_0
	v_mul_i32_i24_sdwa v50, v25, sext(v23) dst_sel:DWORD dst_unused:UNUSED_PAD src0_sel:BYTE_1 src1_sel:BYTE_1
	v_mul_i32_i24_sdwa v51, v25, sext(v23) dst_sel:DWORD dst_unused:UNUSED_PAD src0_sel:BYTE_2 src1_sel:BYTE_2
	v_mul_i32_i24_sdwa v23, v25, sext(v23) dst_sel:DWORD dst_unused:UNUSED_PAD src0_sel:BYTE_3 src1_sel:BYTE_3
	s_waitcnt vmcnt(3)
	v_mul_i32_i24_sdwa v25, v26, sext(v16) dst_sel:DWORD dst_unused:UNUSED_PAD src0_sel:BYTE_0 src1_sel:BYTE_0
	v_mul_i32_i24_sdwa v52, v26, sext(v16) dst_sel:DWORD dst_unused:UNUSED_PAD src0_sel:BYTE_1 src1_sel:BYTE_1
	v_mul_i32_i24_sdwa v53, v26, sext(v16) dst_sel:DWORD dst_unused:UNUSED_PAD src0_sel:BYTE_2 src1_sel:BYTE_2
	v_mul_i32_i24_sdwa v16, v26, sext(v16) dst_sel:DWORD dst_unused:UNUSED_PAD src0_sel:BYTE_3 src1_sel:BYTE_3
	v_mul_i32_i24_sdwa v26, v27, sext(v17) dst_sel:DWORD dst_unused:UNUSED_PAD src0_sel:BYTE_0 src1_sel:BYTE_0
	;; [unrolled: 9-line block ×3, first 2 shown]
	v_mul_i32_i24_sdwa v58, v29, sext(v19) dst_sel:DWORD dst_unused:UNUSED_PAD src0_sel:BYTE_1 src1_sel:BYTE_1
	v_mul_i32_i24_sdwa v59, v29, sext(v19) dst_sel:DWORD dst_unused:UNUSED_PAD src0_sel:BYTE_2 src1_sel:BYTE_2
	v_mul_i32_i24_sdwa v19, v29, sext(v19) dst_sel:DWORD dst_unused:UNUSED_PAD src0_sel:BYTE_3 src1_sel:BYTE_3
	s_waitcnt vmcnt(1)
	v_and_b32_e32 v29, 1, v40
	v_and_b32_e32 v60, 2, v40
	;; [unrolled: 1-line block ×6, first 2 shown]
	v_cmp_gt_i16_e64 s[4:5], 0, v40
	v_sub_u32_e32 v40, 0, v34
	v_bfe_u32 v37, v37, 14, 7
	v_cndmask_b32_e64 v34, v40, v34, s[6:7]
	v_cmp_gt_u32_e64 s[6:7], 64, v37
	global_load_sbyte v37, v37, s[58:59]
	v_mul_i32_i24_sdwa v32, v6, sext(v20) dst_sel:DWORD dst_unused:UNUSED_PAD src0_sel:BYTE_0 src1_sel:BYTE_0
	v_mul_i32_i24_sdwa v6, v6, sext(v20) dst_sel:DWORD dst_unused:UNUSED_PAD src0_sel:BYTE_3 src1_sel:BYTE_3
	v_and_b32_e32 v20, 8, v39
	v_and_b32_e32 v44, 16, v39
	;; [unrolled: 1-line block ×3, first 2 shown]
	v_cmp_gt_i16_e64 s[44:45], 0, v39
	v_and_b32_e32 v39, 1, v39
	v_sub_u32_e32 v72, 0, v32
	v_cmp_eq_u16_e64 s[46:47], 0, v39
	s_waitcnt vmcnt(1)
	v_and_b32_e32 v68, 8, v41
	v_sub_u32_e32 v42, 0, v6
	v_cmp_eq_u16_e64 s[10:11], 0, v20
	v_cndmask_b32_e64 v32, v72, v32, s[46:47]
	v_and_b32_e32 v65, 1, v41
	v_and_b32_e32 v66, 2, v41
	;; [unrolled: 1-line block ×3, first 2 shown]
	v_sub_u32_e32 v20, 0, v43
	v_cmp_eq_u16_e64 s[12:13], 0, v44
	v_sub_u32_e32 v44, 0, v45
	v_cmp_eq_u16_e64 s[14:15], 0, v46
	v_cmp_eq_u16_e64 s[36:37], 0, v68
	v_and_b32_e32 v68, 16, v41
	v_cmp_gt_i16_e64 s[40:41], 0, v41
	v_and_b32_e32 v41, 32, v41
	v_cndmask_b32_e64 v6, v42, v6, s[10:11]
	v_add_u32_e32 v32, v34, v32
	v_sub_u32_e32 v69, 0, v47
	v_sub_u32_e32 v33, 0, v51
	;; [unrolled: 1-line block ×3, first 2 shown]
	v_cmp_eq_u16_e64 s[16:17], 0, v29
	v_cmp_eq_u16_e64 s[42:43], 0, v41
	v_sub_u32_e32 v41, 0, v7
	v_cndmask_b32_e64 v20, v20, v43, s[12:13]
	v_cndmask_b32_e64 v42, v44, v45, s[14:15]
	v_add3_u32 v6, v32, v36, v6
	v_sub_u32_e32 v38, 0, v23
	v_sub_u32_e32 v29, 0, v48
	v_cmp_eq_u16_e64 s[18:19], 0, v60
	v_cmp_eq_u16_e64 s[28:29], 0, v65
	v_sub_u32_e32 v65, 0, v56
	v_cmp_eq_u16_e64 s[30:31], 0, v66
	v_sub_u32_e32 v39, 0, v55
	v_cndmask_b32_e64 v44, v69, v47, s[2:3]
	v_cndmask_b32_e64 v7, v7, v41, s[44:45]
	;; [unrolled: 1-line block ×3, first 2 shown]
	v_sub_u32_e32 v46, 0, v17
	v_cndmask_b32_e32 v33, v33, v51, vcc
	v_add3_u32 v6, v6, v20, v42
	v_sub_u32_e32 v60, 0, v49
	v_cmp_eq_u16_e64 s[20:21], 0, v61
	v_sub_u32_e32 v61, 0, v22
	v_cmp_eq_u16_e64 s[22:23], 0, v62
	;; [unrolled: 2-line block ×3, first 2 shown]
	v_sub_u32_e32 v40, 0, v25
	v_cndmask_b32_e64 v29, v29, v48, s[18:19]
	v_cndmask_b32_e64 v23, v23, v38, s[4:5]
	;; [unrolled: 1-line block ×4, first 2 shown]
	v_add3_u32 v6, v6, v44, v7
	v_sub_u32_e32 v62, 0, v24
	v_cmp_eq_u16_e64 s[24:25], 0, v63
	v_sub_u32_e32 v63, 0, v50
	v_cmp_eq_u16_e64 s[26:27], 0, v64
	v_sub_u32_e32 v43, 0, v52
	v_cndmask_b32_e64 v48, v60, v49, s[20:21]
	v_cndmask_b32_e64 v22, v61, v22, s[22:23]
	v_cndmask_b32_e64 v55, v66, v57, s[34:35]
	v_add3_u32 v6, v6, v21, v29
	v_sub_u32_e32 v45, 0, v53
	v_cndmask_b32_e64 v24, v62, v24, s[24:25]
	v_cndmask_b32_e64 v50, v63, v50, s[26:27]
	v_add3_u32 v6, v6, v48, v22
	v_sub_u32_e32 v41, 0, v16
	v_add3_u32 v6, v6, v24, v50
	v_sub_u32_e32 v47, 0, v26
	;; [unrolled: 2-line block ×3, first 2 shown]
	v_sub_u32_e32 v64, 0, v27
	s_waitcnt vmcnt(0)
	v_and_b32_e32 v51, 1, v37
	v_cmp_gt_i16_e32 vcc, 0, v37
	v_and_b32_e32 v56, 2, v37
	v_and_b32_e32 v57, 4, v37
	v_cndmask_b32_e32 v17, v17, v46, vcc
	v_cmp_eq_u16_e32 vcc, 0, v51
	v_and_b32_e32 v60, 8, v37
	v_and_b32_e32 v61, 16, v37
	v_cndmask_b32_e32 v25, v40, v25, vcc
	v_cmp_eq_u16_e32 vcc, 0, v56
	v_and_b32_e32 v62, 32, v37
	v_sub_u32_e32 v67, 0, v18
	v_cndmask_b32_e32 v34, v43, v52, vcc
	v_cmp_eq_u16_e32 vcc, 0, v57
	v_add3_u32 v6, v6, v25, v34
	v_cndmask_b32_e64 v27, v64, v27, s[28:29]
	v_cndmask_b32_e32 v37, v45, v53, vcc
	v_cmp_eq_u16_e32 vcc, 0, v60
	v_sub_u32_e32 v70, 0, v28
	v_cmp_eq_u16_e64 s[38:39], 0, v68
	v_cndmask_b32_e32 v16, v41, v16, vcc
	v_cmp_eq_u16_e32 vcc, 0, v61
	v_add3_u32 v6, v6, v37, v16
	v_sub_u32_e32 v71, 0, v58
	v_cndmask_b32_e32 v26, v47, v26, vcc
	v_cmp_eq_u16_e32 vcc, 0, v62
	v_cndmask_b32_e64 v18, v67, v18, s[36:37]
	v_sub_u32_e32 v35, 0, v59
	v_cndmask_b32_e32 v40, v49, v54, vcc
	v_add3_u32 v6, v6, v26, v40
	v_add3_u32 v6, v6, v38, v17
	v_add3_u32 v6, v6, v27, v39
	v_sub_u32_e32 v68, 0, v19
	v_cndmask_b32_e64 v28, v70, v28, s[38:39]
	v_cndmask_b32_e64 v58, v71, v58, s[42:43]
	v_add3_u32 v6, v6, v55, v18
	v_lshrrev_b32_e32 v31, 28, v31
	v_cndmask_b32_e64 v35, v35, v59, s[0:1]
	v_cndmask_b32_e64 v19, v19, v68, s[40:41]
	v_add3_u32 v6, v6, v28, v58
	v_cvt_f32_ubyte0_e32 v31, v31
	v_add3_u32 v6, v6, v35, v19
	v_add_f32_e32 v31, 0.5, v31
	v_cvt_f32_i32_e32 v6, v6
	v_mul_f32_e32 v7, v31, v30
	v_mul_f32_e32 v7, v7, v15
	v_cmp_le_u32_e64 s[8:9], s33, v10
	v_mul_f32_e32 v7, 0x3e800000, v7
	s_or_b64 s[48:49], s[8:9], s[48:49]
	v_fmac_f32_e32 v11, v7, v6
	s_andn2_b64 exec, exec, s[48:49]
	s_cbranch_execnz .LBB266_3
; %bb.4:
	s_or_b64 exec, exec, s[48:49]
.LBB266_5:
	s_or_b64 exec, exec, s[56:57]
	v_mbcnt_lo_u32_b32 v0, -1, 0
	v_mbcnt_hi_u32_b32 v1, -1, v0
	v_and_b32_e32 v0, 64, v1
	v_add_u32_e32 v2, 64, v0
	v_xor_b32_e32 v0, 32, v1
	v_cmp_lt_i32_e32 vcc, v0, v2
	v_xor_b32_e32 v3, 16, v1
	v_xor_b32_e32 v4, 8, v1
	v_cndmask_b32_e32 v0, v1, v0, vcc
	v_lshlrev_b32_e32 v0, 2, v0
	ds_bpermute_b32 v0, v0, v11
	v_cmp_lt_i32_e32 vcc, v3, v2
	s_waitcnt lgkmcnt(0)
	v_add_f32_e32 v0, v11, v0
	v_cndmask_b32_e32 v3, v1, v3, vcc
	v_lshlrev_b32_e32 v3, 2, v3
	ds_bpermute_b32 v3, v3, v0
	v_cmp_lt_i32_e32 vcc, v4, v2
	s_waitcnt lgkmcnt(0)
	v_add_f32_e32 v0, v0, v3
	v_cndmask_b32_e32 v3, v1, v4, vcc
	v_lshlrev_b32_e32 v3, 2, v3
	ds_bpermute_b32 v3, v3, v0
	v_xor_b32_e32 v4, 4, v1
	v_cmp_lt_i32_e32 vcc, v4, v2
	s_waitcnt lgkmcnt(0)
	v_add_f32_e32 v0, v0, v3
	v_cndmask_b32_e32 v3, v1, v4, vcc
	v_lshlrev_b32_e32 v3, 2, v3
	ds_bpermute_b32 v3, v3, v0
	v_xor_b32_e32 v4, 2, v1
	;; [unrolled: 7-line block ×3, first 2 shown]
	v_cmp_lt_i32_e32 vcc, v4, v2
	s_waitcnt lgkmcnt(0)
	v_add_f32_e32 v0, v0, v3
	v_cndmask_b32_e32 v1, v1, v4, vcc
	v_lshlrev_b32_e32 v1, 2, v1
	ds_bpermute_b32 v1, v1, v0
	v_cmp_eq_u32_e32 vcc, 0, v9
	s_and_b64 exec, exec, vcc
	s_cbranch_execz .LBB266_7
; %bb.6:
	s_waitcnt lgkmcnt(0)
	v_add_f32_e32 v0, v0, v1
	v_cvt_f16_f32_e32 v2, v0
	s_mul_i32 s0, s52, s50
	v_add_u32_e32 v0, s0, v8
	v_mov_b32_e32 v1, 0
	v_lshl_add_u64 v[0:1], v[0:1], 1, s[54:55]
	global_store_short v[0:1], v2, off
.LBB266_7:
	s_endpgm
	.section	.rodata,"a",@progbits
	.p2align	6, 0x0
	.amdhsa_kernel _ZL9moe_vec_qIN3c104HalfELi256ELi8E13block_iq2_xxsLi1EXadL_ZL20vec_dot_iq2_xxs_q8_1PKvPK10block_q8_1RKiEEEvS4_S4_PT_PS8_iiii
		.amdhsa_group_segment_fixed_size 0
		.amdhsa_private_segment_fixed_size 0
		.amdhsa_kernarg_size 304
		.amdhsa_user_sgpr_count 2
		.amdhsa_user_sgpr_dispatch_ptr 0
		.amdhsa_user_sgpr_queue_ptr 0
		.amdhsa_user_sgpr_kernarg_segment_ptr 1
		.amdhsa_user_sgpr_dispatch_id 0
		.amdhsa_user_sgpr_kernarg_preload_length 0
		.amdhsa_user_sgpr_kernarg_preload_offset 0
		.amdhsa_user_sgpr_private_segment_size 0
		.amdhsa_uses_dynamic_stack 0
		.amdhsa_enable_private_segment 0
		.amdhsa_system_sgpr_workgroup_id_x 1
		.amdhsa_system_sgpr_workgroup_id_y 0
		.amdhsa_system_sgpr_workgroup_id_z 1
		.amdhsa_system_sgpr_workgroup_info 0
		.amdhsa_system_vgpr_workitem_id 1
		.amdhsa_next_free_vgpr 73
		.amdhsa_next_free_sgpr 61
		.amdhsa_accum_offset 76
		.amdhsa_reserve_vcc 1
		.amdhsa_float_round_mode_32 0
		.amdhsa_float_round_mode_16_64 0
		.amdhsa_float_denorm_mode_32 3
		.amdhsa_float_denorm_mode_16_64 3
		.amdhsa_dx10_clamp 1
		.amdhsa_ieee_mode 1
		.amdhsa_fp16_overflow 0
		.amdhsa_tg_split 0
		.amdhsa_exception_fp_ieee_invalid_op 0
		.amdhsa_exception_fp_denorm_src 0
		.amdhsa_exception_fp_ieee_div_zero 0
		.amdhsa_exception_fp_ieee_overflow 0
		.amdhsa_exception_fp_ieee_underflow 0
		.amdhsa_exception_fp_ieee_inexact 0
		.amdhsa_exception_int_div_zero 0
	.end_amdhsa_kernel
	.section	.text._ZL9moe_vec_qIN3c104HalfELi256ELi8E13block_iq2_xxsLi1EXadL_ZL20vec_dot_iq2_xxs_q8_1PKvPK10block_q8_1RKiEEEvS4_S4_PT_PS8_iiii,"axG",@progbits,_ZL9moe_vec_qIN3c104HalfELi256ELi8E13block_iq2_xxsLi1EXadL_ZL20vec_dot_iq2_xxs_q8_1PKvPK10block_q8_1RKiEEEvS4_S4_PT_PS8_iiii,comdat
.Lfunc_end266:
	.size	_ZL9moe_vec_qIN3c104HalfELi256ELi8E13block_iq2_xxsLi1EXadL_ZL20vec_dot_iq2_xxs_q8_1PKvPK10block_q8_1RKiEEEvS4_S4_PT_PS8_iiii, .Lfunc_end266-_ZL9moe_vec_qIN3c104HalfELi256ELi8E13block_iq2_xxsLi1EXadL_ZL20vec_dot_iq2_xxs_q8_1PKvPK10block_q8_1RKiEEEvS4_S4_PT_PS8_iiii
                                        ; -- End function
	.section	.AMDGPU.csdata,"",@progbits
; Kernel info:
; codeLenInByte = 2052
; NumSgprs: 67
; NumVgprs: 73
; NumAgprs: 0
; TotalNumVgprs: 73
; ScratchSize: 0
; MemoryBound: 0
; FloatMode: 240
; IeeeMode: 1
; LDSByteSize: 0 bytes/workgroup (compile time only)
; SGPRBlocks: 8
; VGPRBlocks: 9
; NumSGPRsForWavesPerEU: 67
; NumVGPRsForWavesPerEU: 73
; AccumOffset: 76
; Occupancy: 6
; WaveLimiterHint : 1
; COMPUTE_PGM_RSRC2:SCRATCH_EN: 0
; COMPUTE_PGM_RSRC2:USER_SGPR: 2
; COMPUTE_PGM_RSRC2:TRAP_HANDLER: 0
; COMPUTE_PGM_RSRC2:TGID_X_EN: 1
; COMPUTE_PGM_RSRC2:TGID_Y_EN: 0
; COMPUTE_PGM_RSRC2:TGID_Z_EN: 1
; COMPUTE_PGM_RSRC2:TIDIG_COMP_CNT: 1
; COMPUTE_PGM_RSRC3_GFX90A:ACCUM_OFFSET: 18
; COMPUTE_PGM_RSRC3_GFX90A:TG_SPLIT: 0
	.section	.text._ZL9moe_vec_qIN3c104HalfELi256ELi8E12block_iq2_xsLi1EXadL_ZL19vec_dot_iq2_xs_q8_1PKvPK10block_q8_1RKiEEEvS4_S4_PT_PS8_iiii,"axG",@progbits,_ZL9moe_vec_qIN3c104HalfELi256ELi8E12block_iq2_xsLi1EXadL_ZL19vec_dot_iq2_xs_q8_1PKvPK10block_q8_1RKiEEEvS4_S4_PT_PS8_iiii,comdat
	.globl	_ZL9moe_vec_qIN3c104HalfELi256ELi8E12block_iq2_xsLi1EXadL_ZL19vec_dot_iq2_xs_q8_1PKvPK10block_q8_1RKiEEEvS4_S4_PT_PS8_iiii ; -- Begin function _ZL9moe_vec_qIN3c104HalfELi256ELi8E12block_iq2_xsLi1EXadL_ZL19vec_dot_iq2_xs_q8_1PKvPK10block_q8_1RKiEEEvS4_S4_PT_PS8_iiii
	.p2align	8
	.type	_ZL9moe_vec_qIN3c104HalfELi256ELi8E12block_iq2_xsLi1EXadL_ZL19vec_dot_iq2_xs_q8_1PKvPK10block_q8_1RKiEEEvS4_S4_PT_PS8_iiii,@function
_ZL9moe_vec_qIN3c104HalfELi256ELi8E12block_iq2_xsLi1EXadL_ZL19vec_dot_iq2_xs_q8_1PKvPK10block_q8_1RKiEEEvS4_S4_PT_PS8_iiii: ; @_ZL9moe_vec_qIN3c104HalfELi256ELi8E12block_iq2_xsLi1EXadL_ZL19vec_dot_iq2_xs_q8_1PKvPK10block_q8_1RKiEEEvS4_S4_PT_PS8_iiii
; %bb.0:
	s_mov_b32 s68, s3
	s_load_dword s3, s[0:1], 0x3c
	s_load_dwordx4 s[64:67], s[0:1], 0x20
	v_bfe_u32 v1, v0, 10, 10
	s_waitcnt lgkmcnt(0)
	s_lshr_b32 s3, s3, 16
	s_mul_i32 s2, s2, s3
	v_add_u32_e32 v18, s2, v1
	v_cmp_gt_u32_e32 vcc, s66, v18
	s_and_saveexec_b64 s[2:3], vcc
	s_cbranch_execz .LBB267_7
; %bb.1:
	s_load_dwordx2 s[70:71], s[0:1], 0x10
	s_ashr_i32 s2, s65, 31
	s_lshr_b32 s2, s2, 24
	s_add_i32 s2, s65, s2
	v_and_b32_e32 v19, 0x3ff, v0
	s_ashr_i32 s33, s2, 8
	v_lshrrev_b32_e32 v20, 3, v19
	v_cmp_gt_u32_e32 vcc, s33, v20
	v_mov_b32_e32 v21, 0
	s_and_saveexec_b64 s[72:73], vcc
	s_cbranch_execz .LBB267_5
; %bb.2:
	s_load_dwordx2 s[2:3], s[0:1], 0x18
	v_cvt_f32_u32_e32 v0, s64
	s_mov_b32 s69, 0
	s_lshl_b64 s[4:5], s[68:69], 2
	v_and_b32_e32 v8, 7, v19
	s_waitcnt lgkmcnt(0)
	s_add_u32 s2, s2, s4
	v_rcp_iflag_f32_e32 v0, v0
	s_addc_u32 s3, s3, s5
	s_load_dword s8, s[2:3], 0x0
	s_load_dwordx4 s[4:7], s[0:1], 0x0
	s_mul_i32 s0, s33, s66
	v_mul_f32_e32 v0, 0x4f7ffffe, v0
	v_cvt_u32_f32_e32 v0, v0
	s_waitcnt lgkmcnt(0)
	s_mul_i32 s0, s0, s8
	s_mul_hi_i32 s1, s0, 0x4a
	s_mulk_i32 s0, 0x4a
	s_add_u32 s0, s4, s0
	s_addc_u32 s1, s5, s1
	s_sub_i32 s2, 0, s64
	v_readfirstlane_b32 s3, v0
	s_mul_i32 s2, s2, s3
	s_mul_hi_u32 s2, s3, s2
	s_add_i32 s3, s3, s2
	s_mul_hi_u32 s2, s68, s3
	s_mul_i32 s3, s2, s64
	s_sub_i32 s3, s68, s3
	s_add_i32 s4, s2, 1
	s_sub_i32 s5, s3, s64
	s_cmp_ge_u32 s3, s64
	s_cselect_b32 s2, s4, s2
	s_cselect_b32 s3, s5, s3
	s_add_i32 s4, s2, 1
	s_cmp_ge_u32 s3, s64
	s_cselect_b32 s2, s4, s2
	s_mul_i32 s2, s2, s67
	s_mov_b32 s3, s69
	s_lshl_b64 s[2:3], s[2:3], 2
	s_add_u32 s2, s6, s2
	s_addc_u32 s3, s7, s3
	v_lshlrev_b32_e32 v0, 2, v8
	v_mov_b32_e32 v9, 0
	s_movk_i32 s74, 0x4a
	v_mul_lo_u32 v22, v18, s33
	v_mad_u64_u32 v[10:11], s[2:3], v8, 36, s[2:3]
	v_lshlrev_b32_e32 v23, 3, v20
	s_mov_b64 s[64:65], 0
	v_mov_b64_e32 v[12:13], s[0:1]
	v_lshlrev_b32_e32 v14, 1, v0
	v_mov_b32_e32 v15, v9
	v_mov_b32_e32 v21, v9
.LBB267_3:                              ; =>This Inner Loop Header: Depth=1
	v_add_u32_e32 v0, v22, v20
	v_mad_i64_i32 v[16:17], s[0:1], v23, 36, v[10:11]
	v_mad_i64_i32 v[28:29], s[4:5], v0, s74, v[12:13]
	global_load_dwordx4 v[0:3], v[16:17], off offset:20
	global_load_dwordx4 v[4:7], v[16:17], off offset:4
	global_load_ushort v24, v[16:17], off
	v_lshl_add_u64 v[30:31], v[28:29], 0, v[14:15]
	v_lshl_add_u64 v[32:33], v[28:29], 0, v[8:9]
	global_load_ushort v26, v[28:29], off
	global_load_dwordx2 v[16:17], v[30:31], off offset:2
	global_load_ubyte v25, v[32:33], off offset:66
	s_getpc_b64 s[2:3]
	s_add_u32 s2, s2, _ZL10iq2xs_grid@rel32@lo+4
	s_addc_u32 s3, s3, _ZL10iq2xs_grid@rel32@hi+12
	s_getpc_b64 s[0:1]
	s_add_u32 s0, s0, _ZL12ksigns_iq2xs@rel32@lo+4
	s_addc_u32 s1, s1, _ZL12ksigns_iq2xs@rel32@hi+12
	v_add_u32_e32 v20, 8, v20
	v_add_u32_e32 v23, 64, v23
	s_waitcnt vmcnt(3)
	v_cvt_f32_f16_e32 v24, v24
	s_waitcnt vmcnt(2)
	v_cvt_f32_f16_e32 v26, v26
	s_waitcnt vmcnt(1)
	v_bfe_u32 v28, v16, 9, 7
	v_and_b32_e32 v27, 0x1ff, v16
	v_lshrrev_b32_e32 v29, 13, v16
	v_lshrrev_b32_e32 v30, 25, v16
	v_and_b32_e32 v31, 0x1ff, v17
	v_bfe_u32 v32, v17, 9, 7
	v_lshrrev_b32_e32 v33, 13, v17
	v_lshrrev_b32_e32 v36, 25, v17
	global_load_sbyte v37, v28, s[0:1]
	global_load_sbyte v38, v30, s[0:1]
	;; [unrolled: 1-line block ×3, first 2 shown]
	v_lshlrev_b32_e32 v27, 3, v27
	v_and_b32_e32 v40, 0xff8, v29
	v_lshlrev_b32_e32 v41, 3, v31
	v_and_b32_e32 v42, 0xff8, v33
	global_load_sbyte v43, v36, s[0:1]
	global_load_dwordx2 v[28:29], v27, s[2:3]
	global_load_dwordx2 v[30:31], v40, s[2:3]
	;; [unrolled: 1-line block ×4, first 2 shown]
	v_cmp_gt_i16_e64 s[0:1], 0, v17
	v_cmp_lt_i16_sdwa vcc, v17, v9 src0_sel:WORD_1 src1_sel:DWORD
	v_cmp_gt_i16_e64 s[4:5], 0, v16
	v_cmp_lt_i16_sdwa s[2:3], v16, v9 src0_sel:WORD_1 src1_sel:DWORD
	s_waitcnt vmcnt(7)
	v_and_b32_e32 v27, 2, v37
	s_waitcnt vmcnt(6)
	v_and_b32_e32 v46, 4, v38
	v_and_b32_e32 v47, 8, v38
	;; [unrolled: 1-line block ×3, first 2 shown]
	s_waitcnt vmcnt(5)
	v_and_b32_e32 v50, 1, v39
	v_and_b32_e32 v51, 2, v39
	s_waitcnt vmcnt(3)
	v_mul_i32_i24_sdwa v57, v28, sext(v4) dst_sel:DWORD dst_unused:UNUSED_PAD src0_sel:BYTE_0 src1_sel:BYTE_0
	v_mul_i32_i24_sdwa v58, v28, sext(v4) dst_sel:DWORD dst_unused:UNUSED_PAD src0_sel:BYTE_1 src1_sel:BYTE_1
	v_mul_i32_i24_sdwa v59, v28, sext(v4) dst_sel:DWORD dst_unused:UNUSED_PAD src0_sel:BYTE_2 src1_sel:BYTE_2
	v_mul_i32_i24_sdwa v4, v28, sext(v4) dst_sel:DWORD dst_unused:UNUSED_PAD src0_sel:BYTE_3 src1_sel:BYTE_3
	v_mul_i32_i24_sdwa v28, v29, sext(v5) dst_sel:DWORD dst_unused:UNUSED_PAD src0_sel:BYTE_0 src1_sel:BYTE_0
	v_mul_i32_i24_sdwa v60, v29, sext(v5) dst_sel:DWORD dst_unused:UNUSED_PAD src0_sel:BYTE_1 src1_sel:BYTE_1
	v_mul_i32_i24_sdwa v61, v29, sext(v5) dst_sel:DWORD dst_unused:UNUSED_PAD src0_sel:BYTE_2 src1_sel:BYTE_2
	v_mul_i32_i24_sdwa v5, v29, sext(v5) dst_sel:DWORD dst_unused:UNUSED_PAD src0_sel:BYTE_3 src1_sel:BYTE_3
	s_waitcnt vmcnt(2)
	v_mul_i32_i24_sdwa v29, v30, sext(v6) dst_sel:DWORD dst_unused:UNUSED_PAD src0_sel:BYTE_0 src1_sel:BYTE_0
	v_mul_i32_i24_sdwa v62, v30, sext(v6) dst_sel:DWORD dst_unused:UNUSED_PAD src0_sel:BYTE_1 src1_sel:BYTE_1
	v_mul_i32_i24_sdwa v63, v30, sext(v6) dst_sel:DWORD dst_unused:UNUSED_PAD src0_sel:BYTE_2 src1_sel:BYTE_2
	v_mul_i32_i24_sdwa v6, v30, sext(v6) dst_sel:DWORD dst_unused:UNUSED_PAD src0_sel:BYTE_3 src1_sel:BYTE_3
	v_mul_i32_i24_sdwa v30, v31, sext(v7) dst_sel:DWORD dst_unused:UNUSED_PAD src0_sel:BYTE_0 src1_sel:BYTE_0
	v_mul_i32_i24_sdwa v64, v31, sext(v7) dst_sel:DWORD dst_unused:UNUSED_PAD src0_sel:BYTE_1 src1_sel:BYTE_1
	v_mul_i32_i24_sdwa v65, v31, sext(v7) dst_sel:DWORD dst_unused:UNUSED_PAD src0_sel:BYTE_2 src1_sel:BYTE_2
	v_mul_i32_i24_sdwa v7, v31, sext(v7) dst_sel:DWORD dst_unused:UNUSED_PAD src0_sel:BYTE_3 src1_sel:BYTE_3
	s_waitcnt vmcnt(1)
	v_mul_i32_i24_sdwa v31, v32, sext(v0) dst_sel:DWORD dst_unused:UNUSED_PAD src0_sel:BYTE_0 src1_sel:BYTE_0
	v_mul_i32_i24_sdwa v66, v32, sext(v0) dst_sel:DWORD dst_unused:UNUSED_PAD src0_sel:BYTE_1 src1_sel:BYTE_1
	v_and_b32_e32 v17, 4, v43
	v_and_b32_e32 v36, 4, v37
	;; [unrolled: 1-line block ×8, first 2 shown]
	v_mul_i32_i24_sdwa v67, v32, sext(v0) dst_sel:DWORD dst_unused:UNUSED_PAD src0_sel:BYTE_2 src1_sel:BYTE_2
	v_mul_i32_i24_sdwa v0, v32, sext(v0) dst_sel:DWORD dst_unused:UNUSED_PAD src0_sel:BYTE_3 src1_sel:BYTE_3
	v_cmp_eq_u16_e64 s[24:25], 0, v46
	v_sub_u32_e32 v46, 0, v6
	v_cmp_eq_u16_e64 s[26:27], 0, v47
	v_cmp_eq_u16_e64 s[30:31], 0, v49
	v_sub_u32_e32 v49, 0, v31
	v_cmp_eq_u16_e64 s[34:35], 0, v50
	v_sub_u32_e32 v50, 0, v66
	v_cmp_eq_u16_e64 s[36:37], 0, v51
	v_cmp_eq_u16_e64 s[50:51], 0, v17
	v_and_b32_e32 v17, 8, v43
	v_cmp_gt_i16_e64 s[60:61], 0, v37
	v_and_b32_e32 v37, 1, v37
	v_and_b32_e32 v44, 1, v38
	;; [unrolled: 1-line block ×5, first 2 shown]
	v_mul_i32_i24_sdwa v32, v33, sext(v1) dst_sel:DWORD dst_unused:UNUSED_PAD src0_sel:BYTE_0 src1_sel:BYTE_0
	v_mul_i32_i24_sdwa v68, v33, sext(v1) dst_sel:DWORD dst_unused:UNUSED_PAD src0_sel:BYTE_1 src1_sel:BYTE_1
	v_mul_i32_i24_sdwa v69, v33, sext(v1) dst_sel:DWORD dst_unused:UNUSED_PAD src0_sel:BYTE_2 src1_sel:BYTE_2
	v_mul_i32_i24_sdwa v1, v33, sext(v1) dst_sel:DWORD dst_unused:UNUSED_PAD src0_sel:BYTE_3 src1_sel:BYTE_3
	s_waitcnt vmcnt(0)
	v_mul_i32_i24_sdwa v33, v34, sext(v2) dst_sel:DWORD dst_unused:UNUSED_PAD src0_sel:BYTE_0 src1_sel:BYTE_0
	v_mul_i32_i24_sdwa v70, v34, sext(v2) dst_sel:DWORD dst_unused:UNUSED_PAD src0_sel:BYTE_1 src1_sel:BYTE_1
	v_mul_i32_i24_sdwa v71, v34, sext(v2) dst_sel:DWORD dst_unused:UNUSED_PAD src0_sel:BYTE_2 src1_sel:BYTE_2
	v_mul_i32_i24_sdwa v2, v34, sext(v2) dst_sel:DWORD dst_unused:UNUSED_PAD src0_sel:BYTE_3 src1_sel:BYTE_3
	v_mul_i32_i24_sdwa v34, v35, sext(v3) dst_sel:DWORD dst_unused:UNUSED_PAD src0_sel:BYTE_0 src1_sel:BYTE_0
	v_mul_i32_i24_sdwa v72, v35, sext(v3) dst_sel:DWORD dst_unused:UNUSED_PAD src0_sel:BYTE_1 src1_sel:BYTE_1
	v_mul_i32_i24_sdwa v73, v35, sext(v3) dst_sel:DWORD dst_unused:UNUSED_PAD src0_sel:BYTE_2 src1_sel:BYTE_2
	v_mul_i32_i24_sdwa v3, v35, sext(v3) dst_sel:DWORD dst_unused:UNUSED_PAD src0_sel:BYTE_3 src1_sel:BYTE_3
	v_cmp_gt_i16_e64 s[8:9], 0, v39
	v_sub_u32_e32 v39, 0, v58
	v_cmp_eq_u16_e64 s[10:11], 0, v27
	v_sub_u32_e32 v47, 0, v30
	v_cmp_eq_u16_e64 s[28:29], 0, v48
	v_sub_u32_e32 v51, 0, v67
	v_cmp_eq_u16_e64 s[38:39], 0, v52
	v_sub_u32_e32 v52, 0, v0
	v_cmp_eq_u16_e64 s[40:41], 0, v53
	v_cmp_eq_u16_e64 s[52:53], 0, v17
	v_and_b32_e32 v17, 16, v43
	v_sub_u32_e32 v81, 0, v57
	v_cmp_eq_u16_e64 s[62:63], 0, v37
	v_cndmask_b32_e64 v6, v46, v6, s[26:27]
	v_cndmask_b32_e64 v31, v49, v31, s[34:35]
	;; [unrolled: 1-line block ×3, first 2 shown]
	v_sub_u32_e32 v27, 0, v59
	v_cmp_eq_u16_e64 s[12:13], 0, v36
	v_sub_u32_e32 v36, 0, v4
	v_cmp_eq_u16_e64 s[14:15], 0, v40
	v_cmp_eq_u16_e64 s[18:19], 0, v42
	v_sub_u32_e32 v42, 0, v29
	v_cmp_eq_u16_e64 s[20:21], 0, v44
	v_sub_u32_e32 v44, 0, v62
	;; [unrolled: 2-line block ×3, first 2 shown]
	v_sub_u32_e32 v53, 0, v32
	v_cmp_eq_u16_e64 s[42:43], 0, v54
	v_sub_u32_e32 v54, 0, v68
	v_cmp_eq_u16_e64 s[44:45], 0, v55
	v_cmp_eq_u16_e64 s[54:55], 0, v17
	v_sub_u32_e32 v17, 0, v3
	v_cmp_gt_i16_e64 s[56:57], 0, v43
	v_cndmask_b32_e64 v37, v81, v57, s[62:63]
	v_cndmask_b32_e64 v39, v39, v58, s[10:11]
	;; [unrolled: 1-line block ×5, first 2 shown]
	v_add_u32_e32 v31, v46, v31
	v_and_b32_e32 v56, 1, v43
	v_and_b32_e32 v35, 2, v43
	v_sub_u32_e32 v16, 0, v69
	v_cmp_gt_i16_e64 s[6:7], 0, v38
	v_sub_u32_e32 v38, 0, v1
	v_sub_u32_e32 v40, 0, v28
	v_cmp_eq_u16_e64 s[16:17], 0, v41
	v_sub_u32_e32 v41, 0, v60
	v_and_b32_e32 v43, 32, v43
	v_cndmask_b32_e64 v27, v27, v59, s[12:13]
	v_cndmask_b32_e64 v4, v36, v4, s[14:15]
	;; [unrolled: 1-line block ×8, first 2 shown]
	v_add_u32_e32 v17, v39, v37
	v_add3_u32 v0, v31, v47, v0
	v_sub_u32_e32 v74, 0, v61
	v_sub_u32_e32 v55, 0, v33
	v_cmp_eq_u16_e64 s[46:47], 0, v56
	v_sub_u32_e32 v56, 0, v70
	v_cmp_eq_u16_e64 s[48:49], 0, v35
	v_cmp_eq_u16_e64 s[58:59], 0, v43
	v_sub_u32_e32 v43, 0, v5
	v_cndmask_b32_e64 v28, v40, v28, s[16:17]
	v_cndmask_b32_e64 v40, v41, v60, s[18:19]
	;; [unrolled: 1-line block ×4, first 2 shown]
	v_add3_u32 v4, v17, v27, v4
	v_add3_u32 v0, v0, v32, v48
	v_sub_u32_e32 v35, 0, v71
	v_sub_u32_e32 v78, 0, v2
	v_cndmask_b32_e64 v41, v61, v74, s[4:5]
	v_cndmask_b32_e64 v5, v5, v43, s[60:61]
	;; [unrolled: 1-line block ×4, first 2 shown]
	v_add3_u32 v4, v4, v28, v40
	v_add3_u32 v0, v0, v16, v1
	v_sub_u32_e32 v45, 0, v63
	v_sub_u32_e32 v79, 0, v34
	;; [unrolled: 1-line block ×3, first 2 shown]
	v_cndmask_b32_e64 v35, v35, v71, s[50:51]
	v_cndmask_b32_e64 v2, v78, v2, s[52:53]
	v_add3_u32 v4, v4, v41, v5
	v_add3_u32 v0, v0, v33, v38
	v_sub_u32_e32 v76, 0, v73
	v_cndmask_b32_e64 v43, v45, v63, s[24:25]
	v_cndmask_b32_e64 v34, v79, v34, s[54:55]
	;; [unrolled: 1-line block ×3, first 2 shown]
	v_add3_u32 v1, v4, v29, v42
	v_add3_u32 v0, v0, v35, v2
	v_sub_u32_e32 v75, 0, v65
	v_sub_u32_e32 v77, 0, v7
	v_cndmask_b32_e32 v50, v73, v76, vcc
	v_add3_u32 v1, v1, v43, v6
	v_add3_u32 v0, v0, v34, v49
	v_cndmask_b32_e64 v45, v65, v75, s[2:3]
	v_cndmask_b32_e64 v7, v7, v77, s[6:7]
	v_add3_u32 v1, v1, v30, v44
	v_add3_u32 v0, v0, v50, v3
	;; [unrolled: 1-line block ×3, first 2 shown]
	v_cvt_f32_i32_e32 v0, v0
	v_lshrrev_b16_e32 v36, 4, v25
	v_cvt_f32_i32_e32 v1, v1
	v_and_b32_e32 v25, 15, v25
	v_cvt_f32_ubyte0_e32 v36, v36
	v_cvt_f32_ubyte0_e32 v25, v25
	v_add_f32_e32 v36, 0.5, v36
	v_add_f32_e32 v25, 0.5, v25
	v_mul_f32_e32 v2, v26, v24
	v_mul_f32_e32 v0, v36, v0
	v_cmp_le_u32_e64 s[10:11], s33, v20
	v_mul_f32_e32 v2, 0x3e800000, v2
	v_fmac_f32_e32 v0, v25, v1
	s_or_b64 s[64:65], s[10:11], s[64:65]
	v_fmac_f32_e32 v21, v2, v0
	s_andn2_b64 exec, exec, s[64:65]
	s_cbranch_execnz .LBB267_3
; %bb.4:
	s_or_b64 exec, exec, s[64:65]
.LBB267_5:
	s_or_b64 exec, exec, s[72:73]
	v_mbcnt_lo_u32_b32 v0, -1, 0
	v_mbcnt_hi_u32_b32 v1, -1, v0
	v_and_b32_e32 v0, 64, v1
	v_add_u32_e32 v2, 64, v0
	v_xor_b32_e32 v0, 32, v1
	v_cmp_lt_i32_e32 vcc, v0, v2
	v_xor_b32_e32 v3, 16, v1
	v_xor_b32_e32 v4, 8, v1
	v_cndmask_b32_e32 v0, v1, v0, vcc
	v_lshlrev_b32_e32 v0, 2, v0
	ds_bpermute_b32 v0, v0, v21
	v_cmp_lt_i32_e32 vcc, v3, v2
	s_waitcnt lgkmcnt(0)
	v_add_f32_e32 v0, v21, v0
	v_cndmask_b32_e32 v3, v1, v3, vcc
	v_lshlrev_b32_e32 v3, 2, v3
	ds_bpermute_b32 v3, v3, v0
	v_cmp_lt_i32_e32 vcc, v4, v2
	s_waitcnt lgkmcnt(0)
	v_add_f32_e32 v0, v0, v3
	v_cndmask_b32_e32 v3, v1, v4, vcc
	v_lshlrev_b32_e32 v3, 2, v3
	ds_bpermute_b32 v3, v3, v0
	v_xor_b32_e32 v4, 4, v1
	v_cmp_lt_i32_e32 vcc, v4, v2
	s_waitcnt lgkmcnt(0)
	v_add_f32_e32 v0, v0, v3
	v_cndmask_b32_e32 v3, v1, v4, vcc
	v_lshlrev_b32_e32 v3, 2, v3
	ds_bpermute_b32 v3, v3, v0
	v_xor_b32_e32 v4, 2, v1
	;; [unrolled: 7-line block ×3, first 2 shown]
	v_cmp_lt_i32_e32 vcc, v4, v2
	s_waitcnt lgkmcnt(0)
	v_add_f32_e32 v0, v0, v3
	v_cndmask_b32_e32 v1, v1, v4, vcc
	v_lshlrev_b32_e32 v1, 2, v1
	ds_bpermute_b32 v1, v1, v0
	v_cmp_eq_u32_e32 vcc, 0, v19
	s_and_b64 exec, exec, vcc
	s_cbranch_execz .LBB267_7
; %bb.6:
	s_waitcnt lgkmcnt(0)
	v_add_f32_e32 v0, v0, v1
	v_cvt_f16_f32_e32 v2, v0
	s_mul_i32 s0, s68, s66
	v_add_u32_e32 v0, s0, v18
	v_mov_b32_e32 v1, 0
	v_lshl_add_u64 v[0:1], v[0:1], 1, s[70:71]
	global_store_short v[0:1], v2, off
.LBB267_7:
	s_endpgm
	.section	.rodata,"a",@progbits
	.p2align	6, 0x0
	.amdhsa_kernel _ZL9moe_vec_qIN3c104HalfELi256ELi8E12block_iq2_xsLi1EXadL_ZL19vec_dot_iq2_xs_q8_1PKvPK10block_q8_1RKiEEEvS4_S4_PT_PS8_iiii
		.amdhsa_group_segment_fixed_size 0
		.amdhsa_private_segment_fixed_size 0
		.amdhsa_kernarg_size 304
		.amdhsa_user_sgpr_count 2
		.amdhsa_user_sgpr_dispatch_ptr 0
		.amdhsa_user_sgpr_queue_ptr 0
		.amdhsa_user_sgpr_kernarg_segment_ptr 1
		.amdhsa_user_sgpr_dispatch_id 0
		.amdhsa_user_sgpr_kernarg_preload_length 0
		.amdhsa_user_sgpr_kernarg_preload_offset 0
		.amdhsa_user_sgpr_private_segment_size 0
		.amdhsa_uses_dynamic_stack 0
		.amdhsa_enable_private_segment 0
		.amdhsa_system_sgpr_workgroup_id_x 1
		.amdhsa_system_sgpr_workgroup_id_y 0
		.amdhsa_system_sgpr_workgroup_id_z 1
		.amdhsa_system_sgpr_workgroup_info 0
		.amdhsa_system_vgpr_workitem_id 1
		.amdhsa_next_free_vgpr 82
		.amdhsa_next_free_sgpr 75
		.amdhsa_accum_offset 84
		.amdhsa_reserve_vcc 1
		.amdhsa_float_round_mode_32 0
		.amdhsa_float_round_mode_16_64 0
		.amdhsa_float_denorm_mode_32 3
		.amdhsa_float_denorm_mode_16_64 3
		.amdhsa_dx10_clamp 1
		.amdhsa_ieee_mode 1
		.amdhsa_fp16_overflow 0
		.amdhsa_tg_split 0
		.amdhsa_exception_fp_ieee_invalid_op 0
		.amdhsa_exception_fp_denorm_src 0
		.amdhsa_exception_fp_ieee_div_zero 0
		.amdhsa_exception_fp_ieee_overflow 0
		.amdhsa_exception_fp_ieee_underflow 0
		.amdhsa_exception_fp_ieee_inexact 0
		.amdhsa_exception_int_div_zero 0
	.end_amdhsa_kernel
	.section	.text._ZL9moe_vec_qIN3c104HalfELi256ELi8E12block_iq2_xsLi1EXadL_ZL19vec_dot_iq2_xs_q8_1PKvPK10block_q8_1RKiEEEvS4_S4_PT_PS8_iiii,"axG",@progbits,_ZL9moe_vec_qIN3c104HalfELi256ELi8E12block_iq2_xsLi1EXadL_ZL19vec_dot_iq2_xs_q8_1PKvPK10block_q8_1RKiEEEvS4_S4_PT_PS8_iiii,comdat
.Lfunc_end267:
	.size	_ZL9moe_vec_qIN3c104HalfELi256ELi8E12block_iq2_xsLi1EXadL_ZL19vec_dot_iq2_xs_q8_1PKvPK10block_q8_1RKiEEEvS4_S4_PT_PS8_iiii, .Lfunc_end267-_ZL9moe_vec_qIN3c104HalfELi256ELi8E12block_iq2_xsLi1EXadL_ZL19vec_dot_iq2_xs_q8_1PKvPK10block_q8_1RKiEEEvS4_S4_PT_PS8_iiii
                                        ; -- End function
	.section	.AMDGPU.csdata,"",@progbits
; Kernel info:
; codeLenInByte = 2116
; NumSgprs: 81
; NumVgprs: 82
; NumAgprs: 0
; TotalNumVgprs: 82
; ScratchSize: 0
; MemoryBound: 0
; FloatMode: 240
; IeeeMode: 1
; LDSByteSize: 0 bytes/workgroup (compile time only)
; SGPRBlocks: 10
; VGPRBlocks: 10
; NumSGPRsForWavesPerEU: 81
; NumVGPRsForWavesPerEU: 82
; AccumOffset: 84
; Occupancy: 5
; WaveLimiterHint : 1
; COMPUTE_PGM_RSRC2:SCRATCH_EN: 0
; COMPUTE_PGM_RSRC2:USER_SGPR: 2
; COMPUTE_PGM_RSRC2:TRAP_HANDLER: 0
; COMPUTE_PGM_RSRC2:TGID_X_EN: 1
; COMPUTE_PGM_RSRC2:TGID_Y_EN: 0
; COMPUTE_PGM_RSRC2:TGID_Z_EN: 1
; COMPUTE_PGM_RSRC2:TIDIG_COMP_CNT: 1
; COMPUTE_PGM_RSRC3_GFX90A:ACCUM_OFFSET: 20
; COMPUTE_PGM_RSRC3_GFX90A:TG_SPLIT: 0
	.section	.text._ZL9moe_vec_qIN3c104HalfELi256ELi8E13block_iq3_xxsLi1EXadL_ZL20vec_dot_iq3_xxs_q8_1PKvPK10block_q8_1RKiEEEvS4_S4_PT_PS8_iiii,"axG",@progbits,_ZL9moe_vec_qIN3c104HalfELi256ELi8E13block_iq3_xxsLi1EXadL_ZL20vec_dot_iq3_xxs_q8_1PKvPK10block_q8_1RKiEEEvS4_S4_PT_PS8_iiii,comdat
	.globl	_ZL9moe_vec_qIN3c104HalfELi256ELi8E13block_iq3_xxsLi1EXadL_ZL20vec_dot_iq3_xxs_q8_1PKvPK10block_q8_1RKiEEEvS4_S4_PT_PS8_iiii ; -- Begin function _ZL9moe_vec_qIN3c104HalfELi256ELi8E13block_iq3_xxsLi1EXadL_ZL20vec_dot_iq3_xxs_q8_1PKvPK10block_q8_1RKiEEEvS4_S4_PT_PS8_iiii
	.p2align	8
	.type	_ZL9moe_vec_qIN3c104HalfELi256ELi8E13block_iq3_xxsLi1EXadL_ZL20vec_dot_iq3_xxs_q8_1PKvPK10block_q8_1RKiEEEvS4_S4_PT_PS8_iiii,@function
_ZL9moe_vec_qIN3c104HalfELi256ELi8E13block_iq3_xxsLi1EXadL_ZL20vec_dot_iq3_xxs_q8_1PKvPK10block_q8_1RKiEEEvS4_S4_PT_PS8_iiii: ; @_ZL9moe_vec_qIN3c104HalfELi256ELi8E13block_iq3_xxsLi1EXadL_ZL20vec_dot_iq3_xxs_q8_1PKvPK10block_q8_1RKiEEEvS4_S4_PT_PS8_iiii
; %bb.0:
	s_mov_b32 s8, s3
	s_load_dword s3, s[0:1], 0x3c
	s_load_dwordx4 s[4:7], s[0:1], 0x20
	v_bfe_u32 v1, v0, 10, 10
	s_waitcnt lgkmcnt(0)
	s_lshr_b32 s3, s3, 16
	s_mul_i32 s2, s2, s3
	v_add_u32_e32 v18, s2, v1
	v_cmp_gt_u32_e32 vcc, s6, v18
	s_and_saveexec_b64 s[2:3], vcc
	s_cbranch_execz .LBB268_7
; %bb.1:
	s_load_dwordx2 s[2:3], s[0:1], 0x10
	s_ashr_i32 s9, s5, 31
	s_lshr_b32 s9, s9, 24
	s_add_i32 s5, s5, s9
	v_and_b32_e32 v19, 0x3ff, v0
	s_ashr_i32 s14, s5, 8
	v_lshrrev_b32_e32 v20, 3, v19
	v_cmp_gt_u32_e32 vcc, s14, v20
	v_mov_b32_e32 v21, 0
	s_and_saveexec_b64 s[10:11], vcc
	s_cbranch_execz .LBB268_5
; %bb.2:
	s_load_dwordx2 s[12:13], s[0:1], 0x18
	v_cvt_f32_u32_e32 v0, s4
	s_mov_b32 s9, 0
	s_lshl_b64 s[16:17], s[8:9], 2
	v_and_b32_e32 v1, 7, v19
	s_waitcnt lgkmcnt(0)
	s_add_u32 s12, s12, s16
	v_rcp_iflag_f32_e32 v0, v0
	s_addc_u32 s13, s13, s17
	s_load_dword s5, s[12:13], 0x0
	s_load_dwordx4 s[16:19], s[0:1], 0x0
	s_mul_i32 s0, s14, s6
	v_mul_f32_e32 v0, 0x4f7ffffe, v0
	v_cvt_u32_f32_e32 v0, v0
	s_waitcnt lgkmcnt(0)
	s_mul_i32 s0, s0, s5
	s_mul_hi_i32 s1, s0, 0x62
	s_mulk_i32 s0, 0x62
	s_add_u32 s12, s16, s0
	s_addc_u32 s13, s17, s1
	s_sub_i32 s0, 0, s4
	v_readfirstlane_b32 s1, v0
	s_mul_i32 s0, s0, s1
	s_mul_hi_u32 s0, s1, s0
	s_add_i32 s1, s1, s0
	s_mul_hi_u32 s0, s8, s1
	s_mul_i32 s1, s0, s4
	s_sub_i32 s1, s8, s1
	s_add_i32 s5, s0, 1
	s_sub_i32 s16, s1, s4
	s_cmp_ge_u32 s1, s4
	s_cselect_b32 s0, s5, s0
	s_cselect_b32 s1, s16, s1
	s_add_i32 s5, s0, 1
	s_cmp_ge_u32 s1, s4
	s_cselect_b32 s0, s5, s0
	s_mul_i32 s0, s0, s7
	s_mov_b32 s1, s9
	s_lshl_b64 s[0:1], s[0:1], 2
	s_add_u32 s0, s18, s0
	s_addc_u32 s1, s19, s1
	v_mov_b32_e32 v9, 0
	v_lshlrev_b32_e32 v0, 1, v1
	v_mad_u64_u32 v[10:11], s[0:1], v1, 36, s[0:1]
	s_movk_i32 s15, 0x62
	v_mul_lo_u32 v22, v18, s14
	v_lshlrev_b32_e32 v8, 3, v1
	v_lshlrev_b32_e32 v23, 3, v20
	s_mov_b64 s[0:1], 0
	v_mov_b64_e32 v[12:13], s[12:13]
	v_lshlrev_b32_e32 v14, 1, v0
	v_mov_b32_e32 v15, v9
	s_mov_b32 s7, 0xffff
	s_mov_b32 s9, 0xc060c00
	v_mov_b32_e32 v24, 2
	v_mov_b32_e32 v21, v9
	s_getpc_b64 s[12:13]
	s_add_u32 s12, s12, _ZL11iq3xxs_grid@rel32@lo+4
	s_addc_u32 s13, s13, _ZL11iq3xxs_grid@rel32@hi+12
.LBB268_3:                              ; =>This Inner Loop Header: Depth=1
	v_add_u32_e32 v0, v22, v20
	v_mad_i64_i32 v[26:27], s[16:17], v0, s15, v[12:13]
	v_mad_i64_i32 v[16:17], s[4:5], v23, 36, v[10:11]
	v_lshl_add_u64 v[28:29], v[26:27], 0, v[14:15]
	global_load_dword v32, v[16:17], off offset:32
	global_load_dwordx4 v[4:7], v[16:17], off
	global_load_dwordx4 v[0:3], v[16:17], off offset:16
	v_lshl_add_u64 v[16:17], v[26:27], 0, v[8:9]
	global_load_dword v33, v[28:29], off offset:66
	global_load_dwordx2 v[30:31], v[16:17], off offset:2
	global_load_ushort v34, v[26:27], off
	s_getpc_b64 s[4:5]
	s_add_u32 s4, s4, _ZL8ksigns64@rel32@lo+4
	s_addc_u32 s5, s5, _ZL8ksigns64@rel32@hi+12
	v_mov_b32_e32 v25, 0
	v_add_u32_e32 v20, 8, v20
	v_cmp_le_u32_e32 vcc, s14, v20
	v_add_u32_e32 v23, 64, v23
	s_or_b64 s[0:1], vcc, s[0:1]
	s_waitcnt vmcnt(4)
	v_cvt_f32_f16_e32 v4, v4
	s_waitcnt vmcnt(2)
	v_and_b32_e32 v27, 0x7f, v33
	v_and_b32_e32 v16, 0xffff0000, v33
	s_waitcnt vmcnt(1)
	v_lshlrev_b32_sdwa v17, v24, v30 dst_sel:DWORD dst_unused:UNUSED_PAD src0_sel:DWORD src1_sel:BYTE_0
	v_lshlrev_b32_sdwa v26, v24, v30 dst_sel:DWORD dst_unused:UNUSED_PAD src0_sel:DWORD src1_sel:BYTE_1
	v_lshlrev_b32_sdwa v28, v24, v30 dst_sel:DWORD dst_unused:UNUSED_PAD src0_sel:DWORD src1_sel:BYTE_2
	v_lshlrev_b32_sdwa v29, v24, v30 dst_sel:DWORD dst_unused:UNUSED_PAD src0_sel:DWORD src1_sel:BYTE_3
	v_lshrrev_b32_e32 v30, 4, v33
	v_lshlrev_b32_sdwa v35, v24, v31 dst_sel:DWORD dst_unused:UNUSED_PAD src0_sel:DWORD src1_sel:BYTE_0
	v_lshlrev_b32_sdwa v36, v24, v31 dst_sel:DWORD dst_unused:UNUSED_PAD src0_sel:DWORD src1_sel:BYTE_1
	v_lshlrev_b32_sdwa v37, v24, v31 dst_sel:DWORD dst_unused:UNUSED_PAD src0_sel:DWORD src1_sel:BYTE_2
	v_lshrrev_b32_e32 v38, 18, v33
	v_lshlrev_b32_e32 v40, 3, v27
	v_lshlrev_b32_sdwa v31, v24, v31 dst_sel:DWORD dst_unused:UNUSED_PAD src0_sel:DWORD src1_sel:BYTE_3
	v_lshrrev_b32_e32 v39, 28, v33
	v_and_or_b32 v33, v33, s7, v16
	global_load_dword v41, v17, s[12:13]
	global_load_dword v42, v26, s[12:13]
	v_and_b32_e32 v30, 0x3f8, v30
	global_load_dword v43, v28, s[12:13]
	global_load_dword v44, v29, s[12:13]
	;; [unrolled: 1-line block ×4, first 2 shown]
	v_and_b32_e32 v35, 0x3f8, v38
	global_load_dword v36, v37, s[12:13]
	global_load_dword v38, v31, s[12:13]
	global_load_dwordx2 v[16:17], v40, s[4:5]
	global_load_dwordx2 v[26:27], v30, s[4:5]
	;; [unrolled: 1-line block ×3, first 2 shown]
	v_lshrrev_b32_e32 v30, 11, v33
	v_cvt_f32_ubyte0_e32 v31, v39
	v_and_b32_e32 v30, 0x3f8, v30
	v_add_f32_e32 v33, 0.5, v31
	global_load_dwordx2 v[30:31], v30, s[4:5]
	s_waitcnt vmcnt(12)
	v_cvt_f32_f16_e32 v34, v34
	s_waitcnt vmcnt(3)
	v_and_b32_e32 v37, 0xff000000, v16
	v_xor_b32_e32 v35, v16, v41
	v_and_b32_e32 v39, 0xff0000, v16
	v_and_b32_e32 v40, 0xff00, v16
	v_xor_b32_e32 v41, v17, v42
	v_and_b32_e32 v42, 0xff000000, v17
	v_and_b32_e32 v47, 0xff0000, v17
	;; [unrolled: 1-line block ×3, first 2 shown]
	s_waitcnt vmcnt(2)
	v_xor_b32_e32 v43, v26, v43
	v_and_b32_e32 v49, 0xff000000, v26
	v_and_b32_e32 v50, 0xff0000, v26
	;; [unrolled: 1-line block ×3, first 2 shown]
	v_xor_b32_e32 v44, v27, v44
	v_and_b32_e32 v52, 0xff000000, v27
	v_and_b32_e32 v53, 0xff0000, v27
	;; [unrolled: 1-line block ×3, first 2 shown]
	s_waitcnt vmcnt(1)
	v_xor_b32_e32 v36, v28, v36
	v_and_b32_e32 v55, 0xff000000, v28
	v_and_b32_e32 v56, 0xff0000, v28
	v_and_b32_e32 v57, 0xff00, v28
	v_xor_b32_e32 v38, v29, v38
	v_and_b32_e32 v58, 0xff000000, v29
	v_and_b32_e32 v59, 0xff0000, v29
	;; [unrolled: 1-line block ×3, first 2 shown]
	v_sub_u32_e32 v37, v35, v37
	v_sub_u32_e32 v39, v35, v39
	v_sub_u32_e32 v40, v35, v40
	v_sub_u32_e32 v16, v35, v16
	v_sub_u32_e32 v35, v41, v42
	v_sub_u32_e32 v42, v41, v47
	v_sub_u32_e32 v47, v41, v48
	v_sub_u32_e32 v17, v41, v17
	v_sub_u32_e32 v41, v43, v49
	v_sub_u32_e32 v48, v43, v50
	v_sub_u32_e32 v49, v43, v51
	v_sub_u32_e32 v26, v43, v26
	v_sub_u32_e32 v43, v44, v52
	v_sub_u32_e32 v50, v44, v53
	v_sub_u32_e32 v51, v44, v54
	v_sub_u32_e32 v27, v44, v27
	v_sub_u32_e32 v44, v36, v55
	v_sub_u32_e32 v52, v36, v56
	v_sub_u32_e32 v53, v36, v57
	v_sub_u32_e32 v28, v36, v28
	v_sub_u32_e32 v36, v38, v58
	v_sub_u32_e32 v54, v38, v59
	v_sub_u32_e32 v55, v38, v60
	v_sub_u32_e32 v29, v38, v29
	v_and_b32_e32 v37, 0xff000000, v37
	v_and_b32_e32 v38, 0xff00, v40
	v_perm_b32 v16, v39, v16, s9
	v_and_b32_e32 v35, 0xff000000, v35
	v_and_b32_e32 v39, 0xff00, v47
	v_perm_b32 v17, v42, v17, s9
	v_or3_b32 v16, v16, v37, v38
	v_and_b32_e32 v40, 0xff000000, v41
	v_and_b32_e32 v41, 0xff00, v49
	v_perm_b32 v26, v48, v26, s9
	s_waitcnt vmcnt(0)
	v_xor_b32_e32 v45, v30, v45
	v_and_b32_e32 v47, 0xff000000, v30
	v_and_b32_e32 v48, 0xff0000, v30
	;; [unrolled: 1-line block ×3, first 2 shown]
	v_or3_b32 v17, v17, v35, v39
	v_dot4c_i32_i8_e32 v25, v16, v5
	v_and_b32_e32 v42, 0xff000000, v43
	v_and_b32_e32 v43, 0xff00, v51
	v_perm_b32 v27, v50, v27, s9
	v_xor_b32_e32 v46, v31, v46
	v_and_b32_e32 v50, 0xff000000, v31
	v_and_b32_e32 v51, 0xff0000, v31
	;; [unrolled: 1-line block ×3, first 2 shown]
	v_or3_b32 v26, v26, v40, v41
	v_sub_u32_e32 v35, v45, v47
	v_sub_u32_e32 v37, v45, v48
	;; [unrolled: 1-line block ×4, first 2 shown]
	v_dot4c_i32_i8_e32 v25, v17, v6
	v_perm_b32 v28, v52, v28, s9
	v_and_b32_e32 v36, 0xff000000, v36
	v_and_b32_e32 v52, 0xff00, v55
	v_perm_b32 v29, v54, v29, s9
	v_or3_b32 v27, v27, v42, v43
	v_sub_u32_e32 v39, v46, v50
	v_sub_u32_e32 v40, v46, v51
	;; [unrolled: 1-line block ×4, first 2 shown]
	v_and_b32_e32 v5, 0xff000000, v35
	v_and_b32_e32 v16, 0xff00, v38
	v_perm_b32 v30, v37, v30, s9
	v_dot4c_i32_i8_e32 v25, v26, v7
	v_or3_b32 v29, v29, v36, v52
	v_and_b32_e32 v35, 0xff000000, v39
	v_and_b32_e32 v36, 0xff00, v41
	v_perm_b32 v31, v40, v31, s9
	v_or3_b32 v5, v30, v5, v16
	v_dot4c_i32_i8_e32 v25, v27, v0
	v_and_b32_e32 v44, 0xff000000, v44
	v_and_b32_e32 v53, 0xff00, v53
	v_or3_b32 v6, v31, v35, v36
	v_dot4c_i32_i8_e32 v25, v5, v1
	v_or3_b32 v28, v28, v44, v53
	v_dot4c_i32_i8_e32 v25, v6, v2
	v_dot4c_i32_i8_e32 v25, v28, v3
	v_dot4c_i32_i8_e32 v25, v29, v32
	v_mul_f32_e32 v1, v33, v34
	v_mul_f32_e32 v1, v1, v4
	v_mul_f32_e32 v1, 0.5, v1
	v_cvt_f32_i32_e32 v0, v25
	v_fmac_f32_e32 v21, v1, v0
	s_andn2_b64 exec, exec, s[0:1]
	s_cbranch_execnz .LBB268_3
; %bb.4:
	s_or_b64 exec, exec, s[0:1]
.LBB268_5:
	s_or_b64 exec, exec, s[10:11]
	v_mbcnt_lo_u32_b32 v0, -1, 0
	v_mbcnt_hi_u32_b32 v1, -1, v0
	v_and_b32_e32 v0, 64, v1
	v_add_u32_e32 v2, 64, v0
	v_xor_b32_e32 v0, 32, v1
	v_cmp_lt_i32_e32 vcc, v0, v2
	v_xor_b32_e32 v3, 16, v1
	v_xor_b32_e32 v4, 8, v1
	v_cndmask_b32_e32 v0, v1, v0, vcc
	v_lshlrev_b32_e32 v0, 2, v0
	ds_bpermute_b32 v0, v0, v21
	v_cmp_lt_i32_e32 vcc, v3, v2
	s_waitcnt lgkmcnt(0)
	v_add_f32_e32 v0, v21, v0
	v_cndmask_b32_e32 v3, v1, v3, vcc
	v_lshlrev_b32_e32 v3, 2, v3
	ds_bpermute_b32 v3, v3, v0
	v_cmp_lt_i32_e32 vcc, v4, v2
	s_waitcnt lgkmcnt(0)
	v_add_f32_e32 v0, v0, v3
	v_cndmask_b32_e32 v3, v1, v4, vcc
	v_lshlrev_b32_e32 v3, 2, v3
	ds_bpermute_b32 v3, v3, v0
	v_xor_b32_e32 v4, 4, v1
	v_cmp_lt_i32_e32 vcc, v4, v2
	s_waitcnt lgkmcnt(0)
	v_add_f32_e32 v0, v0, v3
	v_cndmask_b32_e32 v3, v1, v4, vcc
	v_lshlrev_b32_e32 v3, 2, v3
	ds_bpermute_b32 v3, v3, v0
	v_xor_b32_e32 v4, 2, v1
	;; [unrolled: 7-line block ×3, first 2 shown]
	v_cmp_lt_i32_e32 vcc, v4, v2
	s_waitcnt lgkmcnt(0)
	v_add_f32_e32 v0, v0, v3
	v_cndmask_b32_e32 v1, v1, v4, vcc
	v_lshlrev_b32_e32 v1, 2, v1
	ds_bpermute_b32 v1, v1, v0
	v_cmp_eq_u32_e32 vcc, 0, v19
	s_and_b64 exec, exec, vcc
	s_cbranch_execz .LBB268_7
; %bb.6:
	s_waitcnt lgkmcnt(0)
	v_add_f32_e32 v0, v0, v1
	v_cvt_f16_f32_e32 v2, v0
	s_mul_i32 s0, s8, s6
	v_add_u32_e32 v0, s0, v18
	v_mov_b32_e32 v1, 0
	v_lshl_add_u64 v[0:1], v[0:1], 1, s[2:3]
	global_store_short v[0:1], v2, off
.LBB268_7:
	s_endpgm
	.section	.rodata,"a",@progbits
	.p2align	6, 0x0
	.amdhsa_kernel _ZL9moe_vec_qIN3c104HalfELi256ELi8E13block_iq3_xxsLi1EXadL_ZL20vec_dot_iq3_xxs_q8_1PKvPK10block_q8_1RKiEEEvS4_S4_PT_PS8_iiii
		.amdhsa_group_segment_fixed_size 0
		.amdhsa_private_segment_fixed_size 0
		.amdhsa_kernarg_size 304
		.amdhsa_user_sgpr_count 2
		.amdhsa_user_sgpr_dispatch_ptr 0
		.amdhsa_user_sgpr_queue_ptr 0
		.amdhsa_user_sgpr_kernarg_segment_ptr 1
		.amdhsa_user_sgpr_dispatch_id 0
		.amdhsa_user_sgpr_kernarg_preload_length 0
		.amdhsa_user_sgpr_kernarg_preload_offset 0
		.amdhsa_user_sgpr_private_segment_size 0
		.amdhsa_uses_dynamic_stack 0
		.amdhsa_enable_private_segment 0
		.amdhsa_system_sgpr_workgroup_id_x 1
		.amdhsa_system_sgpr_workgroup_id_y 0
		.amdhsa_system_sgpr_workgroup_id_z 1
		.amdhsa_system_sgpr_workgroup_info 0
		.amdhsa_system_vgpr_workitem_id 1
		.amdhsa_next_free_vgpr 61
		.amdhsa_next_free_sgpr 20
		.amdhsa_accum_offset 64
		.amdhsa_reserve_vcc 1
		.amdhsa_float_round_mode_32 0
		.amdhsa_float_round_mode_16_64 0
		.amdhsa_float_denorm_mode_32 3
		.amdhsa_float_denorm_mode_16_64 3
		.amdhsa_dx10_clamp 1
		.amdhsa_ieee_mode 1
		.amdhsa_fp16_overflow 0
		.amdhsa_tg_split 0
		.amdhsa_exception_fp_ieee_invalid_op 0
		.amdhsa_exception_fp_denorm_src 0
		.amdhsa_exception_fp_ieee_div_zero 0
		.amdhsa_exception_fp_ieee_overflow 0
		.amdhsa_exception_fp_ieee_underflow 0
		.amdhsa_exception_fp_ieee_inexact 0
		.amdhsa_exception_int_div_zero 0
	.end_amdhsa_kernel
	.section	.text._ZL9moe_vec_qIN3c104HalfELi256ELi8E13block_iq3_xxsLi1EXadL_ZL20vec_dot_iq3_xxs_q8_1PKvPK10block_q8_1RKiEEEvS4_S4_PT_PS8_iiii,"axG",@progbits,_ZL9moe_vec_qIN3c104HalfELi256ELi8E13block_iq3_xxsLi1EXadL_ZL20vec_dot_iq3_xxs_q8_1PKvPK10block_q8_1RKiEEEvS4_S4_PT_PS8_iiii,comdat
.Lfunc_end268:
	.size	_ZL9moe_vec_qIN3c104HalfELi256ELi8E13block_iq3_xxsLi1EXadL_ZL20vec_dot_iq3_xxs_q8_1PKvPK10block_q8_1RKiEEEvS4_S4_PT_PS8_iiii, .Lfunc_end268-_ZL9moe_vec_qIN3c104HalfELi256ELi8E13block_iq3_xxsLi1EXadL_ZL20vec_dot_iq3_xxs_q8_1PKvPK10block_q8_1RKiEEEvS4_S4_PT_PS8_iiii
                                        ; -- End function
	.section	.AMDGPU.csdata,"",@progbits
; Kernel info:
; codeLenInByte = 1728
; NumSgprs: 26
; NumVgprs: 61
; NumAgprs: 0
; TotalNumVgprs: 61
; ScratchSize: 0
; MemoryBound: 0
; FloatMode: 240
; IeeeMode: 1
; LDSByteSize: 0 bytes/workgroup (compile time only)
; SGPRBlocks: 3
; VGPRBlocks: 7
; NumSGPRsForWavesPerEU: 26
; NumVGPRsForWavesPerEU: 61
; AccumOffset: 64
; Occupancy: 8
; WaveLimiterHint : 1
; COMPUTE_PGM_RSRC2:SCRATCH_EN: 0
; COMPUTE_PGM_RSRC2:USER_SGPR: 2
; COMPUTE_PGM_RSRC2:TRAP_HANDLER: 0
; COMPUTE_PGM_RSRC2:TGID_X_EN: 1
; COMPUTE_PGM_RSRC2:TGID_Y_EN: 0
; COMPUTE_PGM_RSRC2:TGID_Z_EN: 1
; COMPUTE_PGM_RSRC2:TIDIG_COMP_CNT: 1
; COMPUTE_PGM_RSRC3_GFX90A:ACCUM_OFFSET: 15
; COMPUTE_PGM_RSRC3_GFX90A:TG_SPLIT: 0
	.section	.text._ZL9moe_vec_qIN3c104HalfELi256ELi8E11block_iq1_sLi1EXadL_ZL18vec_dot_iq1_s_q8_1PKvPK10block_q8_1RKiEEEvS4_S4_PT_PS8_iiii,"axG",@progbits,_ZL9moe_vec_qIN3c104HalfELi256ELi8E11block_iq1_sLi1EXadL_ZL18vec_dot_iq1_s_q8_1PKvPK10block_q8_1RKiEEEvS4_S4_PT_PS8_iiii,comdat
	.globl	_ZL9moe_vec_qIN3c104HalfELi256ELi8E11block_iq1_sLi1EXadL_ZL18vec_dot_iq1_s_q8_1PKvPK10block_q8_1RKiEEEvS4_S4_PT_PS8_iiii ; -- Begin function _ZL9moe_vec_qIN3c104HalfELi256ELi8E11block_iq1_sLi1EXadL_ZL18vec_dot_iq1_s_q8_1PKvPK10block_q8_1RKiEEEvS4_S4_PT_PS8_iiii
	.p2align	8
	.type	_ZL9moe_vec_qIN3c104HalfELi256ELi8E11block_iq1_sLi1EXadL_ZL18vec_dot_iq1_s_q8_1PKvPK10block_q8_1RKiEEEvS4_S4_PT_PS8_iiii,@function
_ZL9moe_vec_qIN3c104HalfELi256ELi8E11block_iq1_sLi1EXadL_ZL18vec_dot_iq1_s_q8_1PKvPK10block_q8_1RKiEEEvS4_S4_PT_PS8_iiii: ; @_ZL9moe_vec_qIN3c104HalfELi256ELi8E11block_iq1_sLi1EXadL_ZL18vec_dot_iq1_s_q8_1PKvPK10block_q8_1RKiEEEvS4_S4_PT_PS8_iiii
; %bb.0:
	s_mov_b32 s8, s3
	s_load_dword s3, s[0:1], 0x3c
	s_load_dwordx4 s[4:7], s[0:1], 0x20
	v_bfe_u32 v1, v0, 10, 10
	s_waitcnt lgkmcnt(0)
	s_lshr_b32 s3, s3, 16
	s_mul_i32 s2, s2, s3
	v_add_u32_e32 v1, s2, v1
	v_cmp_gt_u32_e32 vcc, s6, v1
	s_and_saveexec_b64 s[2:3], vcc
	s_cbranch_execz .LBB269_7
; %bb.1:
	v_cvt_f32_u32_e32 v2, s4
	v_and_b32_e32 v6, 0x3ff, v0
	s_load_dwordx2 s[2:3], s[0:1], 0x10
	s_ashr_i32 s9, s5, 31
	v_rcp_iflag_f32_e32 v2, v2
	s_lshr_b32 s9, s9, 24
	s_add_i32 s5, s5, s9
	v_lshrrev_b32_e32 v7, 3, v6
	v_mul_f32_e32 v0, 0x4f7ffffe, v2
	v_cvt_u32_f32_e32 v0, v0
	s_ashr_i32 s14, s5, 8
	v_cmp_gt_u32_e32 vcc, s14, v7
	v_mov_b32_e32 v8, 0
	v_readfirstlane_b32 s5, v0
	s_and_saveexec_b64 s[10:11], vcc
	s_cbranch_execz .LBB269_5
; %bb.2:
	s_sub_i32 s12, 0, s4
	s_mul_i32 s15, s12, s5
	s_load_dwordx4 s[16:19], s[0:1], 0x0
	s_load_dwordx2 s[12:13], s[0:1], 0x18
	s_mov_b32 s9, 0
	s_mul_hi_u32 s0, s5, s15
	s_add_i32 s5, s5, s0
	s_lshl_b64 s[0:1], s[8:9], 2
	s_waitcnt lgkmcnt(0)
	s_add_u32 s0, s12, s0
	s_mul_hi_u32 s5, s8, s5
	s_addc_u32 s1, s13, s1
	s_load_dword s0, s[0:1], 0x0
	s_mul_i32 s1, s5, s4
	s_sub_i32 s1, s8, s1
	s_add_i32 s12, s5, 1
	s_sub_i32 s13, s1, s4
	s_cmp_ge_u32 s1, s4
	s_cselect_b32 s5, s12, s5
	s_cselect_b32 s1, s13, s1
	s_add_i32 s12, s5, 1
	s_cmp_ge_u32 s1, s4
	s_mul_i32 s1, s14, s6
	s_waitcnt lgkmcnt(0)
	s_mul_i32 s0, s1, s0
	s_cselect_b32 s4, s12, s5
	s_mul_hi_i32 s1, s0, 50
	s_mul_i32 s0, s0, 50
	s_add_u32 s0, s16, s0
	s_mul_i32 s4, s4, s7
	s_mov_b32 s5, s9
	s_addc_u32 s1, s17, s1
	s_lshl_b64 s[4:5], s[4:5], 2
	v_and_b32_e32 v0, 7, v6
	s_add_u32 s4, s18, s4
	v_lshlrev_b32_e32 v2, 1, v0
	v_mov_b32_e32 v3, 0
	s_addc_u32 s5, s19, s5
	v_mul_lo_u32 v9, v1, s14
	v_lshlrev_b32_e32 v10, 3, v7
	s_mov_b64 s[12:13], 0
	v_lshlrev_b32_e32 v2, 1, v2
	v_lshlrev_b32_e32 v4, 1, v0
	s_movk_i32 s7, 0x700
	v_mov_b32_e32 v11, 0xbf600000
	v_mov_b32_e32 v5, v3
	;; [unrolled: 1-line block ×3, first 2 shown]
.LBB269_3:                              ; =>This Inner Loop Header: Depth=1
	v_add_u32_e32 v12, v9, v7
	v_mad_i64_i32 v[20:21], s[16:17], v12, 50, s[0:1]
	v_lshl_add_u64 v[12:13], v[20:21], 0, v[2:3]
	v_lshl_add_u64 v[14:15], v[20:21], 0, v[4:5]
	global_load_dword v24, v[12:13], off offset:2
	global_load_ushort v25, v[14:15], off offset:34
	v_mad_i64_i32 v[12:13], s[16:17], v10, 36, s[4:5]
	v_mad_u64_u32 v[22:23], s[18:19], v0, 36, v[12:13]
	global_load_dwordx4 v[12:15], v[22:23], off
	global_load_dwordx4 v[16:19], v[22:23], off offset:16
	global_load_ushort v26, v[20:21], off
	s_getpc_b64 s[16:17]
	s_add_u32 s16, s16, _ZL13iq1s_grid_gpu@rel32@lo+4
	s_addc_u32 s17, s17, _ZL13iq1s_grid_gpu@rel32@hi+12
	v_add_u32_e32 v7, 8, v7
	v_cmp_le_u32_e32 vcc, s14, v7
	v_add_u32_e32 v10, 64, v10
	s_or_b64 s[12:13], vcc, s[12:13]
	s_waitcnt vmcnt(4)
	v_and_b32_e32 v27, 0xff, v24
	s_waitcnt vmcnt(3)
	v_lshlrev_b32_e32 v28, 8, v25
	v_lshrrev_b16_e32 v20, 8, v24
	v_lshrrev_b32_e32 v21, 24, v24
	v_lshlrev_b32_e32 v29, 5, v25
	v_bfe_u32 v24, v24, 16, 8
	v_lshlrev_b32_e32 v30, 2, v25
	v_lshrrev_b32_e32 v31, 1, v25
	v_and_or_b32 v27, v28, s7, v27
	v_and_or_b32 v20, v29, s7, v20
	;; [unrolled: 1-line block ×4, first 2 shown]
	v_lshlrev_b32_e32 v27, 3, v27
	v_lshlrev_b32_e32 v20, 3, v20
	;; [unrolled: 1-line block ×4, first 2 shown]
	global_load_dword v28, v27, s[16:17]
	global_load_dword v29, v20, s[16:17]
	;; [unrolled: 1-line block ×4, first 2 shown]
	global_load_dword v32, v[22:23], off offset:32
	s_waitcnt vmcnt(7)
	v_cvt_f32_f16_e32 v20, v12
	v_cvt_f32_f16_sdwa v21, v12 dst_sel:DWORD dst_unused:UNUSED_PAD src0_sel:WORD_1
	v_lshrrev_b32_e32 v12, 11, v25
	v_mov_b32_e32 v22, 0
	s_waitcnt vmcnt(5)
	v_cvt_f32_f16_e32 v23, v26
	v_and_b32_e32 v24, 0x8000, v25
	v_and_or_b32 v25, v12, 14, 1
	v_cvt_f32_u32_e32 v24, v24
	s_waitcnt vmcnt(4)
	v_and_b32_e32 v12, 0xf0f0f0f, v28
	v_lshrrev_b32_e32 v26, 4, v28
	v_and_b32_e32 v26, 0xf0f0f0f, v26
	v_dot4c_i32_i8_e32 v22, v12, v13
	s_waitcnt vmcnt(3)
	v_and_b32_e32 v27, 0xf0f0f0f, v29
	v_lshrrev_b32_e32 v28, 4, v29
	v_dot4c_i32_i8_e32 v22, v26, v14
	v_and_b32_e32 v12, 0xf0f0f0f, v28
	v_dot4c_i32_i8_e32 v22, v27, v15
	s_waitcnt vmcnt(2)
	v_and_b32_e32 v29, 0xf0f0f0f, v30
	v_lshrrev_b32_e32 v30, 4, v30
	v_dot4c_i32_i8_e32 v22, v12, v16
	;; [unrolled: 6-line block ×3, first 2 shown]
	v_and_b32_e32 v28, 0xf0f0f0f, v31
	v_dot4c_i32_i8_e32 v22, v33, v19
	s_waitcnt vmcnt(0)
	v_dot4c_i32_i8_e32 v22, v28, v32
	v_cvt_f32_ubyte0_e32 v13, v25
	v_mul_f32_e32 v14, v13, v23
	v_fmamk_f32 v13, v24, 0xb7000000, v11
	v_cvt_f32_i32_e32 v12, v22
	v_pk_mul_f32 v[12:13], v[12:13], v[20:21]
	s_nop 0
	v_add_f32_e32 v12, v12, v13
	v_fmac_f32_e32 v8, v14, v12
	s_andn2_b64 exec, exec, s[12:13]
	s_cbranch_execnz .LBB269_3
; %bb.4:
	s_or_b64 exec, exec, s[12:13]
.LBB269_5:
	s_or_b64 exec, exec, s[10:11]
	v_mbcnt_lo_u32_b32 v0, -1, 0
	v_mbcnt_hi_u32_b32 v2, -1, v0
	v_and_b32_e32 v0, 64, v2
	v_add_u32_e32 v3, 64, v0
	v_xor_b32_e32 v0, 32, v2
	v_cmp_lt_i32_e32 vcc, v0, v3
	v_xor_b32_e32 v4, 16, v2
	v_xor_b32_e32 v5, 8, v2
	v_cndmask_b32_e32 v0, v2, v0, vcc
	v_lshlrev_b32_e32 v0, 2, v0
	ds_bpermute_b32 v0, v0, v8
	v_cmp_lt_i32_e32 vcc, v4, v3
	s_waitcnt lgkmcnt(0)
	v_add_f32_e32 v0, v8, v0
	v_cndmask_b32_e32 v4, v2, v4, vcc
	v_lshlrev_b32_e32 v4, 2, v4
	ds_bpermute_b32 v4, v4, v0
	v_cmp_lt_i32_e32 vcc, v5, v3
	s_waitcnt lgkmcnt(0)
	v_add_f32_e32 v0, v0, v4
	v_cndmask_b32_e32 v4, v2, v5, vcc
	v_lshlrev_b32_e32 v4, 2, v4
	ds_bpermute_b32 v4, v4, v0
	v_xor_b32_e32 v5, 4, v2
	v_cmp_lt_i32_e32 vcc, v5, v3
	s_waitcnt lgkmcnt(0)
	v_add_f32_e32 v0, v0, v4
	v_cndmask_b32_e32 v4, v2, v5, vcc
	v_lshlrev_b32_e32 v4, 2, v4
	ds_bpermute_b32 v4, v4, v0
	v_xor_b32_e32 v5, 2, v2
	;; [unrolled: 7-line block ×3, first 2 shown]
	v_cmp_lt_i32_e32 vcc, v5, v3
	s_waitcnt lgkmcnt(0)
	v_add_f32_e32 v0, v0, v4
	v_cndmask_b32_e32 v2, v2, v5, vcc
	v_lshlrev_b32_e32 v2, 2, v2
	ds_bpermute_b32 v2, v2, v0
	v_cmp_eq_u32_e32 vcc, 0, v6
	s_and_b64 exec, exec, vcc
	s_cbranch_execz .LBB269_7
; %bb.6:
	s_waitcnt lgkmcnt(0)
	v_add_f32_e32 v0, v0, v2
	v_cvt_f16_f32_e32 v2, v0
	s_mul_i32 s0, s8, s6
	v_add_u32_e32 v0, s0, v1
	v_mov_b32_e32 v1, 0
	v_lshl_add_u64 v[0:1], v[0:1], 1, s[2:3]
	global_store_short v[0:1], v2, off
.LBB269_7:
	s_endpgm
	.section	.rodata,"a",@progbits
	.p2align	6, 0x0
	.amdhsa_kernel _ZL9moe_vec_qIN3c104HalfELi256ELi8E11block_iq1_sLi1EXadL_ZL18vec_dot_iq1_s_q8_1PKvPK10block_q8_1RKiEEEvS4_S4_PT_PS8_iiii
		.amdhsa_group_segment_fixed_size 0
		.amdhsa_private_segment_fixed_size 0
		.amdhsa_kernarg_size 304
		.amdhsa_user_sgpr_count 2
		.amdhsa_user_sgpr_dispatch_ptr 0
		.amdhsa_user_sgpr_queue_ptr 0
		.amdhsa_user_sgpr_kernarg_segment_ptr 1
		.amdhsa_user_sgpr_dispatch_id 0
		.amdhsa_user_sgpr_kernarg_preload_length 0
		.amdhsa_user_sgpr_kernarg_preload_offset 0
		.amdhsa_user_sgpr_private_segment_size 0
		.amdhsa_uses_dynamic_stack 0
		.amdhsa_enable_private_segment 0
		.amdhsa_system_sgpr_workgroup_id_x 1
		.amdhsa_system_sgpr_workgroup_id_y 0
		.amdhsa_system_sgpr_workgroup_id_z 1
		.amdhsa_system_sgpr_workgroup_info 0
		.amdhsa_system_vgpr_workitem_id 1
		.amdhsa_next_free_vgpr 34
		.amdhsa_next_free_sgpr 20
		.amdhsa_accum_offset 36
		.amdhsa_reserve_vcc 1
		.amdhsa_float_round_mode_32 0
		.amdhsa_float_round_mode_16_64 0
		.amdhsa_float_denorm_mode_32 3
		.amdhsa_float_denorm_mode_16_64 3
		.amdhsa_dx10_clamp 1
		.amdhsa_ieee_mode 1
		.amdhsa_fp16_overflow 0
		.amdhsa_tg_split 0
		.amdhsa_exception_fp_ieee_invalid_op 0
		.amdhsa_exception_fp_denorm_src 0
		.amdhsa_exception_fp_ieee_div_zero 0
		.amdhsa_exception_fp_ieee_overflow 0
		.amdhsa_exception_fp_ieee_underflow 0
		.amdhsa_exception_fp_ieee_inexact 0
		.amdhsa_exception_int_div_zero 0
	.end_amdhsa_kernel
	.section	.text._ZL9moe_vec_qIN3c104HalfELi256ELi8E11block_iq1_sLi1EXadL_ZL18vec_dot_iq1_s_q8_1PKvPK10block_q8_1RKiEEEvS4_S4_PT_PS8_iiii,"axG",@progbits,_ZL9moe_vec_qIN3c104HalfELi256ELi8E11block_iq1_sLi1EXadL_ZL18vec_dot_iq1_s_q8_1PKvPK10block_q8_1RKiEEEvS4_S4_PT_PS8_iiii,comdat
.Lfunc_end269:
	.size	_ZL9moe_vec_qIN3c104HalfELi256ELi8E11block_iq1_sLi1EXadL_ZL18vec_dot_iq1_s_q8_1PKvPK10block_q8_1RKiEEEvS4_S4_PT_PS8_iiii, .Lfunc_end269-_ZL9moe_vec_qIN3c104HalfELi256ELi8E11block_iq1_sLi1EXadL_ZL18vec_dot_iq1_s_q8_1PKvPK10block_q8_1RKiEEEvS4_S4_PT_PS8_iiii
                                        ; -- End function
	.section	.AMDGPU.csdata,"",@progbits
; Kernel info:
; codeLenInByte = 1100
; NumSgprs: 26
; NumVgprs: 34
; NumAgprs: 0
; TotalNumVgprs: 34
; ScratchSize: 0
; MemoryBound: 0
; FloatMode: 240
; IeeeMode: 1
; LDSByteSize: 0 bytes/workgroup (compile time only)
; SGPRBlocks: 3
; VGPRBlocks: 4
; NumSGPRsForWavesPerEU: 26
; NumVGPRsForWavesPerEU: 34
; AccumOffset: 36
; Occupancy: 8
; WaveLimiterHint : 1
; COMPUTE_PGM_RSRC2:SCRATCH_EN: 0
; COMPUTE_PGM_RSRC2:USER_SGPR: 2
; COMPUTE_PGM_RSRC2:TRAP_HANDLER: 0
; COMPUTE_PGM_RSRC2:TGID_X_EN: 1
; COMPUTE_PGM_RSRC2:TGID_Y_EN: 0
; COMPUTE_PGM_RSRC2:TGID_Z_EN: 1
; COMPUTE_PGM_RSRC2:TIDIG_COMP_CNT: 1
; COMPUTE_PGM_RSRC3_GFX90A:ACCUM_OFFSET: 8
; COMPUTE_PGM_RSRC3_GFX90A:TG_SPLIT: 0
	.section	.text._ZL9moe_vec_qIN3c104HalfELi32ELi4E12block_iq4_nlLi2EXadL_ZL19vec_dot_iq4_nl_q8_1PKvPK10block_q8_1RKiEEEvS4_S4_PT_PS8_iiii,"axG",@progbits,_ZL9moe_vec_qIN3c104HalfELi32ELi4E12block_iq4_nlLi2EXadL_ZL19vec_dot_iq4_nl_q8_1PKvPK10block_q8_1RKiEEEvS4_S4_PT_PS8_iiii,comdat
	.globl	_ZL9moe_vec_qIN3c104HalfELi32ELi4E12block_iq4_nlLi2EXadL_ZL19vec_dot_iq4_nl_q8_1PKvPK10block_q8_1RKiEEEvS4_S4_PT_PS8_iiii ; -- Begin function _ZL9moe_vec_qIN3c104HalfELi32ELi4E12block_iq4_nlLi2EXadL_ZL19vec_dot_iq4_nl_q8_1PKvPK10block_q8_1RKiEEEvS4_S4_PT_PS8_iiii
	.p2align	8
	.type	_ZL9moe_vec_qIN3c104HalfELi32ELi4E12block_iq4_nlLi2EXadL_ZL19vec_dot_iq4_nl_q8_1PKvPK10block_q8_1RKiEEEvS4_S4_PT_PS8_iiii,@function
_ZL9moe_vec_qIN3c104HalfELi32ELi4E12block_iq4_nlLi2EXadL_ZL19vec_dot_iq4_nl_q8_1PKvPK10block_q8_1RKiEEEvS4_S4_PT_PS8_iiii: ; @_ZL9moe_vec_qIN3c104HalfELi32ELi4E12block_iq4_nlLi2EXadL_ZL19vec_dot_iq4_nl_q8_1PKvPK10block_q8_1RKiEEEvS4_S4_PT_PS8_iiii
; %bb.0:
	s_mov_b32 s8, s3
	s_load_dword s3, s[0:1], 0x3c
	s_load_dwordx4 s[4:7], s[0:1], 0x20
	v_bfe_u32 v1, v0, 10, 10
	s_waitcnt lgkmcnt(0)
	s_lshr_b32 s3, s3, 16
	s_mul_i32 s2, s2, s3
	v_add_u32_e32 v4, s2, v1
	v_cmp_gt_u32_e32 vcc, s6, v4
	s_and_saveexec_b64 s[2:3], vcc
	s_cbranch_execz .LBB270_7
; %bb.1:
	v_cvt_f32_u32_e32 v1, s4
	v_and_b32_e32 v5, 0x3ff, v0
	s_load_dwordx2 s[2:3], s[0:1], 0x10
	s_ashr_i32 s9, s5, 31
	v_rcp_iflag_f32_e32 v1, v1
	s_lshr_b32 s9, s9, 27
	s_add_i32 s5, s5, s9
	v_lshrrev_b32_e32 v6, 1, v5
	v_mul_f32_e32 v0, 0x4f7ffffe, v1
	v_cvt_u32_f32_e32 v0, v0
	s_ashr_i32 s16, s5, 5
	v_cmp_gt_u32_e32 vcc, s16, v6
	v_mov_b32_e32 v7, 0
	v_readfirstlane_b32 s5, v0
	s_and_saveexec_b64 s[10:11], vcc
	s_cbranch_execz .LBB270_5
; %bb.2:
	s_sub_i32 s12, 0, s4
	s_mul_i32 s17, s12, s5
	s_load_dwordx4 s[12:15], s[0:1], 0x0
	s_load_dwordx2 s[18:19], s[0:1], 0x18
	s_mov_b32 s9, 0
	s_mul_hi_u32 s0, s5, s17
	s_add_i32 s5, s5, s0
	s_lshl_b64 s[0:1], s[8:9], 2
	s_waitcnt lgkmcnt(0)
	s_add_u32 s0, s18, s0
	s_mul_hi_u32 s5, s8, s5
	s_addc_u32 s1, s19, s1
	s_load_dword s0, s[0:1], 0x0
	s_mul_i32 s1, s5, s4
	s_sub_i32 s1, s8, s1
	s_add_i32 s17, s5, 1
	s_sub_i32 s18, s1, s4
	s_cmp_ge_u32 s1, s4
	s_cselect_b32 s5, s17, s5
	s_cselect_b32 s1, s18, s1
	s_add_i32 s17, s5, 1
	s_cmp_ge_u32 s1, s4
	s_mul_i32 s1, s16, s6
	s_waitcnt lgkmcnt(0)
	s_mul_i32 s0, s1, s0
	s_cselect_b32 s4, s17, s5
	s_mul_hi_i32 s1, s0, 18
	s_mul_i32 s0, s0, 18
	s_add_u32 s0, s12, s0
	s_mul_i32 s4, s4, s7
	s_mov_b32 s5, s9
	v_lshlrev_b32_e32 v0, 1, v5
	s_addc_u32 s1, s13, s1
	s_lshl_b64 s[4:5], s[4:5], 2
	v_and_b32_e32 v2, 2, v0
	s_add_u32 s4, s14, s4
	v_lshlrev_b32_e32 v0, 1, v2
	v_mov_b32_e32 v1, 0
	s_addc_u32 s5, s15, s5
	v_mul_lo_u32 v8, v4, s16
	s_mov_b64 s[12:13], 0
	v_lshlrev_b32_e32 v0, 1, v0
	v_lshlrev_b32_e32 v2, 2, v2
	v_mov_b32_e32 v3, v1
	v_mov_b32_e32 v7, v1
.LBB270_3:                              ; =>This Inner Loop Header: Depth=1
	v_add_u32_e32 v9, v8, v6
	v_mad_i64_i32 v[10:11], s[14:15], v9, 18, s[0:1]
	v_lshl_add_u64 v[12:13], v[10:11], 0, v[0:1]
	global_load_dwordx2 v[12:13], v[12:13], off offset:2
	v_mad_i64_i32 v[14:15], s[14:15], v6, 36, s[4:5]
	v_lshl_add_u64 v[16:17], v[14:15], 0, v[2:3]
	s_getpc_b64 s[14:15]
	s_add_u32 s14, s14, _ZL13kvalues_iq4nl@rel32@lo+4
	s_addc_u32 s15, s15, _ZL13kvalues_iq4nl@rel32@hi+12
	global_load_dword v9, v[14:15], off
	global_load_dwordx2 v[18:19], v[16:17], off offset:4
	global_load_dwordx2 v[20:21], v[16:17], off offset:20
	v_add_u32_e32 v6, 32, v6
	v_cmp_le_u32_e32 vcc, s16, v6
	s_or_b64 s[12:13], vcc, s[12:13]
	s_waitcnt vmcnt(3)
	v_bfe_u32 v14, v12, 24, 4
	v_and_b32_e32 v15, 15, v12
	v_bfe_u32 v16, v12, 8, 4
	v_bfe_u32 v17, v12, 16, 4
	;; [unrolled: 1-line block ×4, first 2 shown]
	v_lshrrev_b32_e32 v24, 28, v12
	v_bfe_u32 v12, v12, 4, 4
	v_bfe_u32 v25, v13, 24, 4
	v_and_b32_e32 v26, 15, v13
	v_bfe_u32 v27, v13, 8, 4
	v_bfe_u32 v28, v13, 16, 4
	;; [unrolled: 1-line block ×4, first 2 shown]
	v_lshrrev_b32_e32 v31, 28, v13
	v_bfe_u32 v13, v13, 4, 4
	global_load_ubyte v32, v16, s[14:15]
	global_load_ubyte v33, v17, s[14:15]
	;; [unrolled: 1-line block ×15, first 2 shown]
                                        ; kill: killed $vgpr13
                                        ; kill: killed $vgpr15
                                        ; kill: killed $vgpr12
                                        ; kill: killed $vgpr26
                                        ; kill: killed $vgpr30
                                        ; kill: killed $vgpr17
                                        ; kill: killed $vgpr14
                                        ; kill: killed $vgpr16
                                        ; kill: killed $vgpr22
                                        ; kill: killed $vgpr31
                                        ; kill: killed $vgpr24
                                        ; kill: killed $vgpr29
                                        ; kill: killed $vgpr28
                                        ; kill: killed $vgpr23
                                        ; kill: killed $vgpr27
	global_load_ubyte v12, v25, s[14:15]
	s_nop 0
	global_load_ushort v13, v[10:11], off
	v_mov_b32_e32 v10, 0
	v_mov_b32_e32 v11, 0
	s_waitcnt vmcnt(19)
	v_cvt_f32_f16_e32 v9, v9
	s_waitcnt vmcnt(15)
	v_lshlrev_b32_e32 v15, 16, v33
	s_waitcnt vmcnt(13)
	v_lshlrev_b32_e32 v22, 16, v35
	s_waitcnt vmcnt(12)
	v_lshl_or_b32 v23, v34, 8, v36
	s_waitcnt vmcnt(11)
	v_lshlrev_b32_e32 v17, 24, v37
	s_waitcnt vmcnt(10)
	v_lshl_or_b32 v16, v32, 8, v38
	s_waitcnt vmcnt(9)
	v_lshlrev_b32_e32 v14, 24, v39
	v_or3_b32 v14, v16, v15, v14
	s_waitcnt vmcnt(7)
	v_lshlrev_b32_e32 v24, 16, v41
	v_or3_b32 v15, v23, v22, v17
	s_waitcnt vmcnt(5)
	v_lshlrev_b32_e32 v27, 16, v43
	s_waitcnt vmcnt(4)
	v_lshl_or_b32 v28, v42, 8, v44
	s_waitcnt vmcnt(3)
	v_lshlrev_b32_e32 v26, 24, v45
	s_waitcnt vmcnt(2)
	v_lshl_or_b32 v25, v40, 8, v46
	v_or3_b32 v16, v28, v27, v26
	v_dot4c_i32_i8_e32 v10, v14, v18
	v_dot4c_i32_i8_e32 v11, v15, v20
	;; [unrolled: 1-line block ×3, first 2 shown]
	s_waitcnt vmcnt(1)
	v_lshlrev_b32_e32 v12, 24, v12
	v_or3_b32 v12, v25, v24, v12
	v_dot4c_i32_i8_e32 v10, v12, v19
	s_waitcnt vmcnt(0)
	v_cvt_f32_f16_e32 v13, v13
	v_mul_f32_e32 v9, v13, v9
	v_add_u32_e32 v10, v11, v10
	v_cvt_f32_i32_e32 v10, v10
	v_fmac_f32_e32 v7, v9, v10
	s_andn2_b64 exec, exec, s[12:13]
	s_cbranch_execnz .LBB270_3
; %bb.4:
	s_or_b64 exec, exec, s[12:13]
.LBB270_5:
	s_or_b64 exec, exec, s[10:11]
	v_mbcnt_lo_u32_b32 v0, -1, 0
	v_mbcnt_hi_u32_b32 v1, -1, v0
	v_and_b32_e32 v0, 64, v1
	v_add_u32_e32 v2, 64, v0
	v_xor_b32_e32 v0, 32, v1
	v_cmp_lt_i32_e32 vcc, v0, v2
	v_xor_b32_e32 v3, 16, v1
	v_xor_b32_e32 v6, 8, v1
	v_cndmask_b32_e32 v0, v1, v0, vcc
	v_lshlrev_b32_e32 v0, 2, v0
	ds_bpermute_b32 v0, v0, v7
	v_cmp_lt_i32_e32 vcc, v3, v2
	s_waitcnt lgkmcnt(0)
	v_add_f32_e32 v0, v7, v0
	v_cndmask_b32_e32 v3, v1, v3, vcc
	v_lshlrev_b32_e32 v3, 2, v3
	ds_bpermute_b32 v3, v3, v0
	v_cmp_lt_i32_e32 vcc, v6, v2
	s_waitcnt lgkmcnt(0)
	v_add_f32_e32 v0, v0, v3
	v_cndmask_b32_e32 v3, v1, v6, vcc
	v_lshlrev_b32_e32 v3, 2, v3
	ds_bpermute_b32 v3, v3, v0
	v_xor_b32_e32 v6, 4, v1
	v_cmp_lt_i32_e32 vcc, v6, v2
	s_waitcnt lgkmcnt(0)
	v_add_f32_e32 v0, v0, v3
	v_cndmask_b32_e32 v3, v1, v6, vcc
	v_lshlrev_b32_e32 v3, 2, v3
	ds_bpermute_b32 v3, v3, v0
	v_xor_b32_e32 v6, 2, v1
	;; [unrolled: 7-line block ×3, first 2 shown]
	v_cmp_lt_i32_e32 vcc, v6, v2
	s_waitcnt lgkmcnt(0)
	v_add_f32_e32 v0, v0, v3
	v_cndmask_b32_e32 v1, v1, v6, vcc
	v_lshlrev_b32_e32 v1, 2, v1
	ds_bpermute_b32 v1, v1, v0
	v_cmp_eq_u32_e32 vcc, 0, v5
	s_and_b64 exec, exec, vcc
	s_cbranch_execz .LBB270_7
; %bb.6:
	s_waitcnt lgkmcnt(0)
	v_add_f32_e32 v0, v0, v1
	v_cvt_f16_f32_e32 v2, v0
	s_mul_i32 s0, s8, s6
	v_add_u32_e32 v0, s0, v4
	v_mov_b32_e32 v1, 0
	v_lshl_add_u64 v[0:1], v[0:1], 1, s[2:3]
	global_store_short v[0:1], v2, off
.LBB270_7:
	s_endpgm
	.section	.rodata,"a",@progbits
	.p2align	6, 0x0
	.amdhsa_kernel _ZL9moe_vec_qIN3c104HalfELi32ELi4E12block_iq4_nlLi2EXadL_ZL19vec_dot_iq4_nl_q8_1PKvPK10block_q8_1RKiEEEvS4_S4_PT_PS8_iiii
		.amdhsa_group_segment_fixed_size 0
		.amdhsa_private_segment_fixed_size 0
		.amdhsa_kernarg_size 304
		.amdhsa_user_sgpr_count 2
		.amdhsa_user_sgpr_dispatch_ptr 0
		.amdhsa_user_sgpr_queue_ptr 0
		.amdhsa_user_sgpr_kernarg_segment_ptr 1
		.amdhsa_user_sgpr_dispatch_id 0
		.amdhsa_user_sgpr_kernarg_preload_length 0
		.amdhsa_user_sgpr_kernarg_preload_offset 0
		.amdhsa_user_sgpr_private_segment_size 0
		.amdhsa_uses_dynamic_stack 0
		.amdhsa_enable_private_segment 0
		.amdhsa_system_sgpr_workgroup_id_x 1
		.amdhsa_system_sgpr_workgroup_id_y 0
		.amdhsa_system_sgpr_workgroup_id_z 1
		.amdhsa_system_sgpr_workgroup_info 0
		.amdhsa_system_vgpr_workitem_id 1
		.amdhsa_next_free_vgpr 47
		.amdhsa_next_free_sgpr 20
		.amdhsa_accum_offset 48
		.amdhsa_reserve_vcc 1
		.amdhsa_float_round_mode_32 0
		.amdhsa_float_round_mode_16_64 0
		.amdhsa_float_denorm_mode_32 3
		.amdhsa_float_denorm_mode_16_64 3
		.amdhsa_dx10_clamp 1
		.amdhsa_ieee_mode 1
		.amdhsa_fp16_overflow 0
		.amdhsa_tg_split 0
		.amdhsa_exception_fp_ieee_invalid_op 0
		.amdhsa_exception_fp_denorm_src 0
		.amdhsa_exception_fp_ieee_div_zero 0
		.amdhsa_exception_fp_ieee_overflow 0
		.amdhsa_exception_fp_ieee_underflow 0
		.amdhsa_exception_fp_ieee_inexact 0
		.amdhsa_exception_int_div_zero 0
	.end_amdhsa_kernel
	.section	.text._ZL9moe_vec_qIN3c104HalfELi32ELi4E12block_iq4_nlLi2EXadL_ZL19vec_dot_iq4_nl_q8_1PKvPK10block_q8_1RKiEEEvS4_S4_PT_PS8_iiii,"axG",@progbits,_ZL9moe_vec_qIN3c104HalfELi32ELi4E12block_iq4_nlLi2EXadL_ZL19vec_dot_iq4_nl_q8_1PKvPK10block_q8_1RKiEEEvS4_S4_PT_PS8_iiii,comdat
.Lfunc_end270:
	.size	_ZL9moe_vec_qIN3c104HalfELi32ELi4E12block_iq4_nlLi2EXadL_ZL19vec_dot_iq4_nl_q8_1PKvPK10block_q8_1RKiEEEvS4_S4_PT_PS8_iiii, .Lfunc_end270-_ZL9moe_vec_qIN3c104HalfELi32ELi4E12block_iq4_nlLi2EXadL_ZL19vec_dot_iq4_nl_q8_1PKvPK10block_q8_1RKiEEEvS4_S4_PT_PS8_iiii
                                        ; -- End function
	.section	.AMDGPU.csdata,"",@progbits
; Kernel info:
; codeLenInByte = 1164
; NumSgprs: 26
; NumVgprs: 47
; NumAgprs: 0
; TotalNumVgprs: 47
; ScratchSize: 0
; MemoryBound: 0
; FloatMode: 240
; IeeeMode: 1
; LDSByteSize: 0 bytes/workgroup (compile time only)
; SGPRBlocks: 3
; VGPRBlocks: 5
; NumSGPRsForWavesPerEU: 26
; NumVGPRsForWavesPerEU: 47
; AccumOffset: 48
; Occupancy: 8
; WaveLimiterHint : 1
; COMPUTE_PGM_RSRC2:SCRATCH_EN: 0
; COMPUTE_PGM_RSRC2:USER_SGPR: 2
; COMPUTE_PGM_RSRC2:TRAP_HANDLER: 0
; COMPUTE_PGM_RSRC2:TGID_X_EN: 1
; COMPUTE_PGM_RSRC2:TGID_Y_EN: 0
; COMPUTE_PGM_RSRC2:TGID_Z_EN: 1
; COMPUTE_PGM_RSRC2:TIDIG_COMP_CNT: 1
; COMPUTE_PGM_RSRC3_GFX90A:ACCUM_OFFSET: 11
; COMPUTE_PGM_RSRC3_GFX90A:TG_SPLIT: 0
	.section	.text._ZL9moe_vec_qIN3c104HalfELi256ELi8E11block_iq3_sLi1EXadL_ZL18vec_dot_iq3_s_q8_1PKvPK10block_q8_1RKiEEEvS4_S4_PT_PS8_iiii,"axG",@progbits,_ZL9moe_vec_qIN3c104HalfELi256ELi8E11block_iq3_sLi1EXadL_ZL18vec_dot_iq3_s_q8_1PKvPK10block_q8_1RKiEEEvS4_S4_PT_PS8_iiii,comdat
	.globl	_ZL9moe_vec_qIN3c104HalfELi256ELi8E11block_iq3_sLi1EXadL_ZL18vec_dot_iq3_s_q8_1PKvPK10block_q8_1RKiEEEvS4_S4_PT_PS8_iiii ; -- Begin function _ZL9moe_vec_qIN3c104HalfELi256ELi8E11block_iq3_sLi1EXadL_ZL18vec_dot_iq3_s_q8_1PKvPK10block_q8_1RKiEEEvS4_S4_PT_PS8_iiii
	.p2align	8
	.type	_ZL9moe_vec_qIN3c104HalfELi256ELi8E11block_iq3_sLi1EXadL_ZL18vec_dot_iq3_s_q8_1PKvPK10block_q8_1RKiEEEvS4_S4_PT_PS8_iiii,@function
_ZL9moe_vec_qIN3c104HalfELi256ELi8E11block_iq3_sLi1EXadL_ZL18vec_dot_iq3_s_q8_1PKvPK10block_q8_1RKiEEEvS4_S4_PT_PS8_iiii: ; @_ZL9moe_vec_qIN3c104HalfELi256ELi8E11block_iq3_sLi1EXadL_ZL18vec_dot_iq3_s_q8_1PKvPK10block_q8_1RKiEEEvS4_S4_PT_PS8_iiii
; %bb.0:
	s_mov_b32 s8, s3
	s_load_dword s3, s[0:1], 0x3c
	s_load_dwordx4 s[4:7], s[0:1], 0x20
	v_bfe_u32 v1, v0, 10, 10
	s_waitcnt lgkmcnt(0)
	s_lshr_b32 s3, s3, 16
	s_mul_i32 s2, s2, s3
	v_add_u32_e32 v24, s2, v1
	v_cmp_gt_u32_e32 vcc, s6, v24
	s_and_saveexec_b64 s[2:3], vcc
	s_cbranch_execz .LBB271_9
; %bb.1:
	s_load_dwordx2 s[2:3], s[0:1], 0x10
	s_ashr_i32 s9, s5, 31
	s_lshr_b32 s9, s9, 24
	s_add_i32 s5, s5, s9
	v_and_b32_e32 v25, 0x3ff, v0
	s_ashr_i32 s5, s5, 8
	v_lshrrev_b32_e32 v26, 3, v25
	v_cmp_gt_u32_e32 vcc, s5, v26
	v_mov_b32_e32 v1, 0
	s_and_saveexec_b64 s[10:11], vcc
	s_cbranch_execz .LBB271_7
; %bb.2:
	s_load_dwordx2 s[12:13], s[0:1], 0x18
	v_cvt_f32_u32_e32 v0, s4
	s_mov_b32 s9, 0
	s_lshl_b64 s[14:15], s[8:9], 2
	v_and_b32_e32 v2, 7, v25
	s_waitcnt lgkmcnt(0)
	s_add_u32 s12, s12, s14
	v_rcp_iflag_f32_e32 v0, v0
	s_addc_u32 s13, s13, s15
	s_load_dword s14, s[12:13], 0x0
	s_load_dwordx4 s[16:19], s[0:1], 0x0
	s_mul_i32 s0, s5, s6
	v_mul_f32_e32 v0, 0x4f7ffffe, v0
	v_cvt_u32_f32_e32 v0, v0
	s_waitcnt lgkmcnt(0)
	s_mul_i32 s0, s0, s14
	s_mul_hi_i32 s1, s0, 0x6e
	s_mulk_i32 s0, 0x6e
	s_add_u32 s14, s16, s0
	s_addc_u32 s15, s17, s1
	s_sub_i32 s0, 0, s4
	v_readfirstlane_b32 s1, v0
	s_mul_i32 s0, s0, s1
	s_mul_hi_u32 s0, s1, s0
	s_add_i32 s1, s1, s0
	s_mul_hi_u32 s0, s8, s1
	s_mul_i32 s1, s0, s4
	s_sub_i32 s1, s8, s1
	s_add_i32 s13, s0, 1
	s_sub_i32 s16, s1, s4
	s_cmp_ge_u32 s1, s4
	s_cselect_b32 s0, s13, s0
	s_cselect_b32 s1, s16, s1
	s_add_i32 s13, s0, 1
	s_cmp_ge_u32 s1, s4
	s_cselect_b32 s0, s13, s0
	s_mul_i32 s0, s0, s7
	s_mov_b32 s1, s9
	s_lshl_b64 s[0:1], s[0:1], 2
	s_add_u32 s0, s18, s0
	s_addc_u32 s1, s19, s1
	v_mov_b32_e32 v1, 0
	v_lshlrev_b32_e32 v8, 2, v25
	v_lshlrev_b32_e32 v0, 3, v2
	v_mad_u64_u32 v[4:5], s[0:1], v2, 36, s[0:1]
	v_and_b32_e32 v28, 4, v8
	v_lshlrev_b32_e32 v8, 2, v2
	v_mov_b32_e32 v9, v1
	v_mul_lo_u32 v27, v24, s5
	v_lshl_add_u64 v[8:9], s[14:15], 0, v[8:9]
	s_mov_b64 s[0:1], 0x4a
	v_lshl_add_u64 v[10:11], s[14:15], 0, v[0:1]
	s_movk_i32 s12, 0x6e
	v_mov_b32_e32 v3, v1
	v_bfe_u32 v6, v25, 1, 2
	v_mov_b32_e32 v7, v1
	v_lshl_add_u64 v[8:9], v[8:9], 0, s[0:1]
	v_add_u32_e32 v29, v26, v27
	v_lshl_add_u64 v[10:11], v[10:11], 0, 2
	s_mov_b64 s[0:1], 0
	v_mov_b64_e32 v[12:13], s[14:15]
	s_movk_i32 s4, 0x100
	s_mov_b32 s7, 0x1010101
	s_mov_b32 s9, 0x1000000
	v_mov_b32_e32 v0, 0xff0000
	v_mov_b32_e32 v30, 0xff00
	;; [unrolled: 1-line block ×3, first 2 shown]
	s_mov_b32 s13, 0xc060c00
	s_getpc_b64 s[16:17]
	s_add_u32 s16, s16, _ZL10iq3xs_grid@rel32@lo+4
	s_addc_u32 s17, s17, _ZL10iq3xs_grid@rel32@hi+12
.LBB271_3:                              ; =>This Loop Header: Depth=1
                                        ;     Child Loop BB271_4 Depth 2
	v_add_u32_e32 v14, v26, v27
	v_mad_i64_i32 v[16:17], s[14:15], v14, s12, v[12:13]
	v_lshl_add_u64 v[14:15], v[16:17], 0, v[2:3]
	global_load_ubyte v33, v[14:15], off offset:66
	v_lshlrev_b32_e32 v14, 3, v26
	v_mad_i64_i32 v[18:19], s[14:15], v29, s12, v[8:9]
	v_mad_i64_i32 v[20:21], s[14:15], v29, s12, v[10:11]
	;; [unrolled: 1-line block ×3, first 2 shown]
	v_lshl_add_u64 v[22:23], v[14:15], 0, 4
	s_mov_b32 s14, 7
	v_mov_b32_e32 v32, 0
.LBB271_4:                              ;   Parent Loop BB271_3 Depth=1
                                        ; =>  This Inner Loop Header: Depth=2
	global_load_ushort v34, v[20:21], off
	global_load_ubyte v36, v[18:19], off
	s_add_i32 s15, s14, 1
	s_waitcnt vmcnt(2)
	v_lshlrev_b32_e32 v37, s15, v33
	v_lshlrev_b32_e32 v35, s14, v33
	s_add_i32 s14, s14, -2
	v_lshl_add_u64 v[18:19], v[18:19], 0, 1
	v_lshl_add_u64 v[20:21], v[20:21], 0, 2
	s_cmp_lg_u32 s14, -1
	s_waitcnt vmcnt(1)
	v_and_b32_e32 v38, 0xff, v34
	v_lshrrev_b16_e32 v34, 8, v34
	v_and_or_b32 v37, v37, s4, v38
	v_and_or_b32 v34, v35, s4, v34
	v_lshlrev_b32_e32 v37, 2, v37
	v_lshlrev_b32_e32 v38, 2, v34
	global_load_dword v39, v37, s[16:17]
	global_load_dword v40, v38, s[16:17]
	global_load_dwordx2 v[34:35], v[22:23], off
	s_waitcnt vmcnt(3)
	v_and_b32_e32 v37, 15, v36
	v_lshrrev_b16_e32 v36, 4, v36
	v_mul_lo_u32 v36, v36, s7
	v_not_b32_e32 v36, v36
	v_and_b32_e32 v38, 0x8040201, v36
	v_and_b32_e32 v37, 0xffff, v37
	;; [unrolled: 1-line block ×3, first 2 shown]
	v_cmp_gt_u32_e32 vcc, s9, v38
	v_mul_lo_u32 v37, v37, s7
	v_and_b32_e32 v42, 0x200, v36
	v_cndmask_b32_e64 v38, 0, -1, vcc
	v_cmp_eq_u32_e32 vcc, 0, v41
	v_not_b32_e32 v37, v37
	v_and_b32_e32 v36, 1, v36
	v_cndmask_b32_e32 v41, 0, v0, vcc
	v_cmp_eq_u32_e32 vcc, 0, v42
	v_and_b32_e32 v43, 0x8040201, v37
	v_and_b32_e32 v44, 0x40000, v37
	v_cndmask_b32_e32 v42, 0, v30, vcc
	v_cmp_eq_u32_e32 vcc, 0, v36
	v_and_b32_e32 v45, 0x200, v37
	v_and_b32_e32 v37, 1, v37
	v_cndmask_b32_e32 v36, 0, v31, vcc
	v_cmp_gt_u32_e32 vcc, s9, v43
	v_lshlrev_b32_e32 v38, 24, v38
	v_or_b32_e32 v46, v42, v36
	v_cndmask_b32_e64 v43, 0, -1, vcc
	v_cmp_eq_u32_e32 vcc, 0, v44
	v_lshlrev_b32_e32 v43, 24, v43
	v_or3_b32 v46, v46, v41, v38
	v_cndmask_b32_e32 v44, 0, v0, vcc
	v_cmp_eq_u32_e32 vcc, 0, v45
	v_lshl_add_u64 v[22:23], v[22:23], 0, 8
	s_waitcnt vmcnt(1)
	v_xor_b32_e32 v40, v46, v40
	v_cndmask_b32_e32 v45, 0, v30, vcc
	v_cmp_eq_u32_e32 vcc, 0, v37
	v_sub_u32_e32 v38, v40, v38
	v_sub_u32_e32 v36, v40, v36
	v_cndmask_b32_e32 v37, 0, v31, vcc
	v_or_b32_e32 v47, v45, v37
	v_or3_b32 v47, v47, v44, v43
	v_xor_b32_e32 v39, v47, v39
	v_sub_u32_e32 v43, v39, v43
	v_sub_u32_e32 v44, v39, v44
	;; [unrolled: 1-line block ×6, first 2 shown]
	v_and_b32_e32 v40, 0xff000000, v43
	v_and_b32_e32 v42, 0xff00, v45
	v_perm_b32 v37, v44, v37, s13
	v_and_b32_e32 v38, 0xff000000, v38
	v_and_b32_e32 v41, 0xff00, v41
	v_perm_b32 v36, v39, v36, s13
	v_or3_b32 v37, v37, v40, v42
	v_or3_b32 v36, v36, v38, v41
	s_waitcnt vmcnt(0)
	v_dot4c_i32_i8_e32 v32, v37, v34
	v_dot4c_i32_i8_e32 v32, v36, v35
	s_cbranch_scc1 .LBB271_4
; %bb.5:                                ;   in Loop: Header=BB271_3 Depth=1
	global_load_ushort v18, v[16:17], off
	v_lshl_add_u64 v[16:17], v[16:17], 0, v[6:7]
	global_load_dword v19, v[14:15], off
	global_load_ubyte v20, v[16:17], off offset:106
	v_cvt_f32_i32_e32 v14, v32
	v_add_u32_e32 v26, 8, v26
	v_cmp_le_u32_e32 vcc, s5, v26
	s_or_b64 s[0:1], vcc, s[0:1]
	v_add_u32_e32 v29, 8, v29
	s_waitcnt vmcnt(2)
	v_cvt_f32_f16_e32 v15, v18
	s_waitcnt vmcnt(1)
	v_cvt_f32_f16_e32 v16, v19
	s_waitcnt vmcnt(0)
	v_bfe_u32 v17, v20, v28, 4
	v_cvt_f32_ubyte0_e32 v17, v17
	v_add_f32_e32 v17, 0.5, v17
	v_mul_f32_e32 v15, v17, v15
	v_mul_f32_e32 v15, v15, v16
	v_mul_f32_e32 v15, 0.5, v15
	v_fmac_f32_e32 v1, v15, v14
	s_andn2_b64 exec, exec, s[0:1]
	s_cbranch_execnz .LBB271_3
; %bb.6:
	s_or_b64 exec, exec, s[0:1]
.LBB271_7:
	s_or_b64 exec, exec, s[10:11]
	v_mbcnt_lo_u32_b32 v0, -1, 0
	v_mbcnt_hi_u32_b32 v2, -1, v0
	v_and_b32_e32 v0, 64, v2
	v_add_u32_e32 v3, 64, v0
	v_xor_b32_e32 v0, 32, v2
	v_cmp_lt_i32_e32 vcc, v0, v3
	v_xor_b32_e32 v4, 16, v2
	s_nop 0
	v_cndmask_b32_e32 v0, v2, v0, vcc
	v_lshlrev_b32_e32 v0, 2, v0
	ds_bpermute_b32 v0, v0, v1
	v_cmp_lt_i32_e32 vcc, v4, v3
	s_waitcnt lgkmcnt(0)
	v_add_f32_e32 v0, v1, v0
	v_cndmask_b32_e32 v1, v2, v4, vcc
	v_lshlrev_b32_e32 v1, 2, v1
	ds_bpermute_b32 v1, v1, v0
	v_xor_b32_e32 v4, 8, v2
	v_cmp_lt_i32_e32 vcc, v4, v3
	s_waitcnt lgkmcnt(0)
	v_add_f32_e32 v0, v0, v1
	v_cndmask_b32_e32 v1, v2, v4, vcc
	v_lshlrev_b32_e32 v1, 2, v1
	ds_bpermute_b32 v1, v1, v0
	v_xor_b32_e32 v4, 4, v2
	;; [unrolled: 7-line block ×4, first 2 shown]
	v_cmp_lt_i32_e32 vcc, v4, v3
	s_waitcnt lgkmcnt(0)
	v_add_f32_e32 v0, v0, v1
	v_cndmask_b32_e32 v1, v2, v4, vcc
	v_lshlrev_b32_e32 v1, 2, v1
	ds_bpermute_b32 v1, v1, v0
	v_cmp_eq_u32_e32 vcc, 0, v25
	s_and_b64 exec, exec, vcc
	s_cbranch_execz .LBB271_9
; %bb.8:
	s_waitcnt lgkmcnt(0)
	v_add_f32_e32 v0, v0, v1
	v_cvt_f16_f32_e32 v2, v0
	s_mul_i32 s0, s8, s6
	v_add_u32_e32 v0, s0, v24
	v_mov_b32_e32 v1, 0
	v_lshl_add_u64 v[0:1], v[0:1], 1, s[2:3]
	global_store_short v[0:1], v2, off
.LBB271_9:
	s_endpgm
	.section	.rodata,"a",@progbits
	.p2align	6, 0x0
	.amdhsa_kernel _ZL9moe_vec_qIN3c104HalfELi256ELi8E11block_iq3_sLi1EXadL_ZL18vec_dot_iq3_s_q8_1PKvPK10block_q8_1RKiEEEvS4_S4_PT_PS8_iiii
		.amdhsa_group_segment_fixed_size 0
		.amdhsa_private_segment_fixed_size 0
		.amdhsa_kernarg_size 304
		.amdhsa_user_sgpr_count 2
		.amdhsa_user_sgpr_dispatch_ptr 0
		.amdhsa_user_sgpr_queue_ptr 0
		.amdhsa_user_sgpr_kernarg_segment_ptr 1
		.amdhsa_user_sgpr_dispatch_id 0
		.amdhsa_user_sgpr_kernarg_preload_length 0
		.amdhsa_user_sgpr_kernarg_preload_offset 0
		.amdhsa_user_sgpr_private_segment_size 0
		.amdhsa_uses_dynamic_stack 0
		.amdhsa_enable_private_segment 0
		.amdhsa_system_sgpr_workgroup_id_x 1
		.amdhsa_system_sgpr_workgroup_id_y 0
		.amdhsa_system_sgpr_workgroup_id_z 1
		.amdhsa_system_sgpr_workgroup_info 0
		.amdhsa_system_vgpr_workitem_id 1
		.amdhsa_next_free_vgpr 48
		.amdhsa_next_free_sgpr 20
		.amdhsa_accum_offset 48
		.amdhsa_reserve_vcc 1
		.amdhsa_float_round_mode_32 0
		.amdhsa_float_round_mode_16_64 0
		.amdhsa_float_denorm_mode_32 3
		.amdhsa_float_denorm_mode_16_64 3
		.amdhsa_dx10_clamp 1
		.amdhsa_ieee_mode 1
		.amdhsa_fp16_overflow 0
		.amdhsa_tg_split 0
		.amdhsa_exception_fp_ieee_invalid_op 0
		.amdhsa_exception_fp_denorm_src 0
		.amdhsa_exception_fp_ieee_div_zero 0
		.amdhsa_exception_fp_ieee_overflow 0
		.amdhsa_exception_fp_ieee_underflow 0
		.amdhsa_exception_fp_ieee_inexact 0
		.amdhsa_exception_int_div_zero 0
	.end_amdhsa_kernel
	.section	.text._ZL9moe_vec_qIN3c104HalfELi256ELi8E11block_iq3_sLi1EXadL_ZL18vec_dot_iq3_s_q8_1PKvPK10block_q8_1RKiEEEvS4_S4_PT_PS8_iiii,"axG",@progbits,_ZL9moe_vec_qIN3c104HalfELi256ELi8E11block_iq3_sLi1EXadL_ZL18vec_dot_iq3_s_q8_1PKvPK10block_q8_1RKiEEEvS4_S4_PT_PS8_iiii,comdat
.Lfunc_end271:
	.size	_ZL9moe_vec_qIN3c104HalfELi256ELi8E11block_iq3_sLi1EXadL_ZL18vec_dot_iq3_s_q8_1PKvPK10block_q8_1RKiEEEvS4_S4_PT_PS8_iiii, .Lfunc_end271-_ZL9moe_vec_qIN3c104HalfELi256ELi8E11block_iq3_sLi1EXadL_ZL18vec_dot_iq3_s_q8_1PKvPK10block_q8_1RKiEEEvS4_S4_PT_PS8_iiii
                                        ; -- End function
	.section	.AMDGPU.csdata,"",@progbits
; Kernel info:
; codeLenInByte = 1392
; NumSgprs: 26
; NumVgprs: 48
; NumAgprs: 0
; TotalNumVgprs: 48
; ScratchSize: 0
; MemoryBound: 0
; FloatMode: 240
; IeeeMode: 1
; LDSByteSize: 0 bytes/workgroup (compile time only)
; SGPRBlocks: 3
; VGPRBlocks: 5
; NumSGPRsForWavesPerEU: 26
; NumVGPRsForWavesPerEU: 48
; AccumOffset: 48
; Occupancy: 8
; WaveLimiterHint : 1
; COMPUTE_PGM_RSRC2:SCRATCH_EN: 0
; COMPUTE_PGM_RSRC2:USER_SGPR: 2
; COMPUTE_PGM_RSRC2:TRAP_HANDLER: 0
; COMPUTE_PGM_RSRC2:TGID_X_EN: 1
; COMPUTE_PGM_RSRC2:TGID_Y_EN: 0
; COMPUTE_PGM_RSRC2:TGID_Z_EN: 1
; COMPUTE_PGM_RSRC2:TIDIG_COMP_CNT: 1
; COMPUTE_PGM_RSRC3_GFX90A:ACCUM_OFFSET: 11
; COMPUTE_PGM_RSRC3_GFX90A:TG_SPLIT: 0
	.section	.text._ZL9moe_vec_qIN3c104HalfELi256ELi8E11block_iq2_sLi1EXadL_ZL18vec_dot_iq2_s_q8_1PKvPK10block_q8_1RKiEEEvS4_S4_PT_PS8_iiii,"axG",@progbits,_ZL9moe_vec_qIN3c104HalfELi256ELi8E11block_iq2_sLi1EXadL_ZL18vec_dot_iq2_s_q8_1PKvPK10block_q8_1RKiEEEvS4_S4_PT_PS8_iiii,comdat
	.globl	_ZL9moe_vec_qIN3c104HalfELi256ELi8E11block_iq2_sLi1EXadL_ZL18vec_dot_iq2_s_q8_1PKvPK10block_q8_1RKiEEEvS4_S4_PT_PS8_iiii ; -- Begin function _ZL9moe_vec_qIN3c104HalfELi256ELi8E11block_iq2_sLi1EXadL_ZL18vec_dot_iq2_s_q8_1PKvPK10block_q8_1RKiEEEvS4_S4_PT_PS8_iiii
	.p2align	8
	.type	_ZL9moe_vec_qIN3c104HalfELi256ELi8E11block_iq2_sLi1EXadL_ZL18vec_dot_iq2_s_q8_1PKvPK10block_q8_1RKiEEEvS4_S4_PT_PS8_iiii,@function
_ZL9moe_vec_qIN3c104HalfELi256ELi8E11block_iq2_sLi1EXadL_ZL18vec_dot_iq2_s_q8_1PKvPK10block_q8_1RKiEEEvS4_S4_PT_PS8_iiii: ; @_ZL9moe_vec_qIN3c104HalfELi256ELi8E11block_iq2_sLi1EXadL_ZL18vec_dot_iq2_s_q8_1PKvPK10block_q8_1RKiEEEvS4_S4_PT_PS8_iiii
; %bb.0:
	s_mov_b32 s8, s3
	s_load_dword s3, s[0:1], 0x3c
	s_load_dwordx4 s[4:7], s[0:1], 0x20
	v_bfe_u32 v1, v0, 10, 10
	s_waitcnt lgkmcnt(0)
	s_lshr_b32 s3, s3, 16
	s_mul_i32 s2, s2, s3
	v_add_u32_e32 v14, s2, v1
	v_cmp_gt_u32_e32 vcc, s6, v14
	s_and_saveexec_b64 s[2:3], vcc
	s_cbranch_execz .LBB272_7
; %bb.1:
	s_load_dwordx2 s[2:3], s[0:1], 0x10
	s_ashr_i32 s9, s5, 31
	s_lshr_b32 s9, s9, 24
	s_add_i32 s5, s5, s9
	v_and_b32_e32 v15, 0x3ff, v0
	s_ashr_i32 s12, s5, 8
	v_lshrrev_b32_e32 v16, 3, v15
	v_cmp_gt_u32_e32 vcc, s12, v16
	v_mov_b32_e32 v17, 0
	s_and_saveexec_b64 s[10:11], vcc
	s_cbranch_execz .LBB272_5
; %bb.2:
	s_load_dwordx2 s[14:15], s[0:1], 0x18
	v_cvt_f32_u32_e32 v0, s4
	s_mov_b32 s9, 0
	s_lshl_b64 s[16:17], s[8:9], 2
	v_mov_b32_e32 v1, 0
	s_waitcnt lgkmcnt(0)
	s_add_u32 s14, s14, s16
	v_rcp_iflag_f32_e32 v0, v0
	s_addc_u32 s15, s15, s17
	s_load_dword s5, s[14:15], 0x0
	s_load_dwordx4 s[16:19], s[0:1], 0x0
	s_mul_i32 s0, s12, s6
	v_mul_f32_e32 v0, 0x4f7ffffe, v0
	v_cvt_u32_f32_e32 v0, v0
	s_waitcnt lgkmcnt(0)
	s_mul_i32 s0, s0, s5
	s_mul_hi_i32 s1, s0, 0x52
	s_mulk_i32 s0, 0x52
	s_add_u32 s0, s16, s0
	s_addc_u32 s1, s17, s1
	s_sub_i32 s5, 0, s4
	v_readfirstlane_b32 s14, v0
	s_mul_i32 s5, s5, s14
	s_mul_hi_u32 s5, s14, s5
	s_add_i32 s14, s14, s5
	s_mul_hi_u32 s5, s8, s14
	s_mul_i32 s14, s5, s4
	s_sub_i32 s14, s8, s14
	s_add_i32 s15, s5, 1
	s_sub_i32 s16, s14, s4
	s_cmp_ge_u32 s14, s4
	s_cselect_b32 s5, s15, s5
	s_cselect_b32 s14, s16, s14
	s_add_i32 s15, s5, 1
	s_cmp_ge_u32 s14, s4
	s_cselect_b32 s4, s15, s5
	s_mul_i32 s4, s4, s7
	s_mov_b32 s5, s9
	s_lshl_b64 s[4:5], s[4:5], 2
	s_add_u32 s4, s18, s4
	s_addc_u32 s5, s19, s5
	v_and_b32_e32 v0, 7, v15
	v_mad_u64_u32 v[2:3], s[4:5], v0, 36, s[4:5]
	s_movk_i32 s13, 0x52
	v_mul_lo_u32 v18, v14, s12
	v_lshlrev_b32_e32 v4, 2, v0
	v_mov_b32_e32 v5, v1
	v_lshlrev_b32_e32 v19, 3, v16
	s_mov_b64 s[4:5], 0
	v_mov_b64_e32 v[6:7], s[0:1]
	s_movk_i32 s7, 0x300
	s_mov_b32 s9, 0x1010101
	s_mov_b32 s14, 0x1000000
	v_mov_b32_e32 v20, 0xff0000
	v_mov_b32_e32 v21, 0xff00
	;; [unrolled: 1-line block ×3, first 2 shown]
	s_mov_b32 s15, 0xc060c00
	v_mov_b32_e32 v23, 4
	v_mov_b32_e32 v17, v1
.LBB272_3:                              ; =>This Inner Loop Header: Depth=1
	v_add_u32_e32 v8, v18, v16
	v_mad_i64_i32 v[8:9], s[16:17], v8, s13, v[6:7]
	v_lshl_add_u64 v[10:11], v[8:9], 0, v[4:5]
	v_lshl_add_u64 v[12:13], v[8:9], 0, v[0:1]
	global_load_ushort v28, v[8:9], off
	global_load_dword v24, v[10:11], off offset:2
	global_load_ubyte v25, v[12:13], off offset:66
	global_load_dword v26, v[10:11], off offset:34
	global_load_ubyte v29, v[12:13], off offset:74
	s_getpc_b64 s[0:1]
	s_add_u32 s0, s0, _ZL9iq2s_grid@rel32@lo+4
	s_addc_u32 s1, s1, _ZL9iq2s_grid@rel32@hi+12
	v_add_u32_e32 v16, 8, v16
	s_waitcnt vmcnt(4)
	v_cvt_f32_f16_e32 v28, v28
	s_waitcnt vmcnt(3)
	v_lshrrev_b32_e32 v8, 24, v24
	v_and_b32_e32 v9, 0xff, v24
	s_waitcnt vmcnt(2)
	v_lshlrev_b32_e32 v10, 8, v25
	s_waitcnt vmcnt(1)
	v_lshrrev_b32_e32 v11, 8, v26
	v_and_b32_e32 v12, 15, v26
	v_lshrrev_b16_e32 v13, 4, v26
	v_bfe_u32 v27, v24, 8, 8
	v_lshlrev_b32_e32 v30, 6, v25
	v_bfe_u32 v31, v26, 8, 4
	v_bfe_u32 v24, v24, 16, 8
	v_lshlrev_b32_e32 v32, 4, v25
	v_bfe_u32 v33, v26, 16, 4
	;; [unrolled: 3-line block ×3, first 2 shown]
	v_lshrrev_b16_sdwa v26, v23, v26 dst_sel:DWORD dst_unused:UNUSED_PAD src0_sel:DWORD src1_sel:BYTE_3
	v_and_or_b32 v9, v10, s7, v9
	v_mul_lo_u32 v10, v12, s9
	v_and_b32_e32 v12, 15, v13
	v_and_or_b32 v13, v30, s7, v27
	v_mul_lo_u32 v27, v31, s9
	v_lshrrev_b16_e32 v11, 4, v11
	v_and_or_b32 v24, v32, s7, v24
	v_mul_lo_u32 v30, v33, s9
	v_mul_lo_u32 v31, v34, s9
	v_and_or_b32 v8, v25, s7, v8
	v_mul_lo_u32 v25, v35, s9
	v_mul_lo_u32 v26, v26, s9
	v_lshlrev_b32_e32 v32, 3, v9
	v_not_b32_e32 v9, v10
	v_and_b32_e32 v10, 0xffff, v12
	v_lshlrev_b32_e32 v33, 3, v13
	v_not_b32_e32 v12, v27
	v_and_b32_e32 v11, 15, v11
	v_lshlrev_b32_e32 v27, 3, v24
	v_not_b32_e32 v13, v30
	v_not_b32_e32 v24, v31
	v_lshlrev_b32_e32 v30, 3, v8
	v_not_b32_e32 v8, v25
	v_not_b32_e32 v25, v26
	v_and_b32_e32 v26, 0x8040201, v9
	v_and_b32_e32 v31, 0x40000, v9
	;; [unrolled: 1-line block ×4, first 2 shown]
	v_mul_lo_u32 v36, v10, s9
	v_and_b32_e32 v37, 0x8040201, v12
	v_and_b32_e32 v38, 0x40000, v12
	;; [unrolled: 1-line block ×21, first 2 shown]
	global_load_dwordx2 v[8:9], v32, s[0:1]
	global_load_dwordx2 v[10:11], v33, s[0:1]
	global_load_dwordx2 v[12:13], v27, s[0:1]
	global_load_dwordx2 v[24:25], v30, s[0:1]
	v_cmp_gt_u32_e32 vcc, s14, v26
	v_not_b32_e32 v32, v36
	s_nop 0
	v_cndmask_b32_e64 v26, 0, -1, vcc
	v_cmp_eq_u32_e32 vcc, 0, v31
	v_lshlrev_b32_e32 v26, 24, v26
	s_nop 0
	v_cndmask_b32_e32 v27, 0, v20, vcc
	v_cmp_eq_u32_e32 vcc, 0, v34
	s_nop 1
	v_cndmask_b32_e32 v30, 0, v21, vcc
	v_cmp_eq_u32_e32 vcc, 0, v35
	s_nop 1
	v_cndmask_b32_e32 v31, 0, v22, vcc
	v_cmp_gt_u32_e32 vcc, s14, v37
	v_mul_lo_u32 v37, v41, s9
	v_not_b32_e32 v37, v37
	v_cndmask_b32_e64 v33, 0, -1, vcc
	v_cmp_eq_u32_e32 vcc, 0, v38
	v_and_b32_e32 v59, 0x8040201, v37
	v_and_b32_e32 v60, 0x40000, v37
	v_cndmask_b32_e32 v34, 0, v20, vcc
	v_cmp_eq_u32_e32 vcc, 0, v39
	v_and_b32_e32 v61, 0x200, v37
	v_and_b32_e32 v37, 1, v37
	v_cndmask_b32_e32 v35, 0, v21, vcc
	v_cmp_eq_u32_e32 vcc, 0, v40
	v_cmp_gt_u32_e64 s[0:1], s14, v59
	v_lshlrev_b32_e32 v33, 24, v33
	v_cndmask_b32_e32 v36, 0, v22, vcc
	v_cmp_gt_u32_e32 vcc, s14, v42
	v_cndmask_b32_e64 v59, 0, -1, s[0:1]
	v_cmp_eq_u32_e64 s[0:1], 0, v60
	v_cndmask_b32_e64 v38, 0, -1, vcc
	v_cmp_eq_u32_e32 vcc, 0, v43
	v_cndmask_b32_e64 v60, 0, v20, s[0:1]
	v_cmp_eq_u32_e64 s[0:1], 0, v61
	v_cndmask_b32_e32 v39, 0, v20, vcc
	v_cmp_eq_u32_e32 vcc, 0, v44
	v_cndmask_b32_e64 v61, 0, v21, s[0:1]
	v_or_b32_e32 v58, v35, v36
	v_cndmask_b32_e32 v40, 0, v21, vcc
	v_cmp_eq_u32_e32 vcc, 0, v45
	v_or3_b32 v58, v58, v34, v33
	v_lshlrev_b32_e32 v38, 24, v38
	v_cndmask_b32_e32 v41, 0, v22, vcc
	v_cmp_gt_u32_e32 vcc, s14, v46
	s_waitcnt vmcnt(2)
	v_xor_b32_e32 v10, v58, v10
	v_cndmask_b32_e64 v42, 0, -1, vcc
	v_cmp_eq_u32_e32 vcc, 0, v47
	v_or_b32_e32 v58, v40, v41
	v_lshlrev_b32_e32 v42, 24, v42
	v_cndmask_b32_e32 v43, 0, v20, vcc
	v_cmp_eq_u32_e32 vcc, 0, v48
	v_or3_b32 v58, v58, v39, v38
	s_waitcnt vmcnt(1)
	v_xor_b32_e32 v58, v58, v12
	v_cndmask_b32_e32 v44, 0, v21, vcc
	v_cmp_eq_u32_e32 vcc, 0, v49
	v_sub_u32_e32 v33, v10, v33
	v_sub_u32_e32 v34, v10, v34
	v_cndmask_b32_e32 v45, 0, v22, vcc
	v_cmp_gt_u32_e32 vcc, s14, v50
	v_sub_u32_e32 v35, v10, v35
	v_sub_u32_e32 v36, v10, v36
	v_cndmask_b32_e64 v46, 0, -1, vcc
	v_cmp_eq_u32_e32 vcc, 0, v51
	v_lshlrev_b32_e32 v46, 24, v46
	v_sub_u32_e32 v38, v58, v38
	v_cndmask_b32_e32 v47, 0, v20, vcc
	v_cmp_eq_u32_e32 vcc, 0, v52
	v_sub_u32_e32 v39, v58, v39
	v_sub_u32_e32 v40, v58, v40
	v_cndmask_b32_e32 v48, 0, v21, vcc
	v_cmp_eq_u32_e32 vcc, 0, v53
	v_sub_u32_e32 v41, v58, v41
	v_and_b32_e32 v38, 0xff000000, v38
	v_cndmask_b32_e32 v49, 0, v22, vcc
	v_cmp_gt_u32_e32 vcc, s14, v54
	v_or_b32_e32 v54, v30, v31
	v_or3_b32 v54, v54, v27, v26
	v_cndmask_b32_e64 v50, 0, -1, vcc
	v_cmp_eq_u32_e32 vcc, 0, v55
	v_and_b32_e32 v55, 0x8040201, v32
	v_xor_b32_e32 v8, v54, v8
	v_cndmask_b32_e32 v51, 0, v20, vcc
	v_cmp_eq_u32_e32 vcc, 0, v56
	v_and_b32_e32 v56, 0x40000, v32
	v_lshlrev_b32_e32 v54, 24, v59
	v_cndmask_b32_e32 v52, 0, v21, vcc
	v_cmp_eq_u32_e32 vcc, 0, v57
	v_and_b32_e32 v57, 0x200, v32
	v_and_b32_e32 v32, 1, v32
	v_cndmask_b32_e32 v53, 0, v22, vcc
	v_cmp_gt_u32_e32 vcc, s14, v55
	v_or_b32_e32 v12, v48, v49
	v_lshlrev_b32_e32 v50, 24, v50
	v_cndmask_b32_e64 v55, 0, -1, vcc
	v_cmp_eq_u32_e32 vcc, 0, v56
	v_lshlrev_b32_e32 v55, 24, v55
	v_or3_b32 v12, v12, v47, v46
	v_cndmask_b32_e32 v56, 0, v20, vcc
	v_cmp_eq_u32_e32 vcc, 0, v57
	s_waitcnt vmcnt(0)
	v_xor_b32_e32 v24, v12, v24
	v_sub_u32_e32 v63, v8, v26
	v_cndmask_b32_e32 v57, 0, v21, vcc
	v_cmp_eq_u32_e32 vcc, 0, v32
	v_sub_u32_e32 v64, v8, v27
	v_sub_u32_e32 v30, v8, v30
	v_cndmask_b32_e32 v32, 0, v22, vcc
	v_cmp_eq_u32_e32 vcc, 0, v37
	v_or_b32_e32 v37, v57, v32
	v_or3_b32 v37, v37, v56, v55
	v_xor_b32_e32 v9, v37, v9
	v_cndmask_b32_e32 v37, 0, v22, vcc
	v_or_b32_e32 v59, v61, v37
	v_or3_b32 v59, v59, v60, v54
	v_xor_b32_e32 v11, v59, v11
	v_or_b32_e32 v59, v44, v45
	v_or3_b32 v59, v59, v43, v42
	v_xor_b32_e32 v59, v59, v13
	v_or_b32_e32 v13, v52, v53
	v_or3_b32 v13, v13, v51, v50
	v_xor_b32_e32 v62, v13, v25
	v_mad_i64_i32 v[12:13], s[0:1], v19, 36, v[2:3]
	v_sub_u32_e32 v31, v8, v31
	v_sub_u32_e32 v55, v9, v55
	;; [unrolled: 1-line block ×9, first 2 shown]
	global_load_dwordx4 v[8:11], v[12:13], off
	v_sub_u32_e32 v46, v24, v46
	v_sub_u32_e32 v47, v24, v47
	;; [unrolled: 1-line block ×4, first 2 shown]
	global_load_dwordx4 v[24:27], v[12:13], off offset:16
	global_load_dword v58, v[12:13], off offset:32
	v_sub_u32_e32 v42, v59, v42
	v_sub_u32_e32 v43, v59, v43
	;; [unrolled: 1-line block ×8, first 2 shown]
	v_and_b32_e32 v40, 0xff00, v40
	v_perm_b32 v39, v39, v41, s15
	v_mov_b32_e32 v52, 0
	v_perm_b32 v31, v64, v31, s15
	v_perm_b32 v32, v56, v32, s15
	v_and_b32_e32 v56, 0xff000000, v63
	v_and_b32_e32 v41, 0xff000000, v42
	;; [unrolled: 1-line block ×3, first 2 shown]
	v_perm_b32 v43, v43, v45, s15
	v_and_b32_e32 v44, 0xff000000, v46
	v_perm_b32 v46, v47, v49, s15
	v_and_b32_e32 v12, 0xff000000, v12
	v_and_b32_e32 v47, 0xff00, v50
	v_perm_b32 v13, v13, v51, s15
	v_and_b32_e32 v30, 0xff00, v30
	v_or3_b32 v38, v39, v38, v40
	v_mov_b32_e32 v53, 0
	v_and_b32_e32 v55, 0xff000000, v55
	v_and_b32_e32 v45, 0xff00, v48
	;; [unrolled: 1-line block ×3, first 2 shown]
	v_or3_b32 v39, v43, v41, v42
	v_or3_b32 v12, v13, v12, v47
	;; [unrolled: 1-line block ×3, first 2 shown]
	v_perm_b32 v34, v34, v36, s15
	v_and_b32_e32 v33, 0xff000000, v33
	v_and_b32_e32 v35, 0xff00, v35
	v_or3_b32 v40, v46, v44, v45
	v_or3_b32 v30, v32, v55, v48
	v_and_b32_e32 v54, 0xff000000, v54
	v_perm_b32 v37, v60, v37, s15
	v_and_b32_e32 v49, 0xff00, v61
	v_or3_b32 v31, v34, v33, v35
	v_or3_b32 v32, v37, v54, v49
	v_lshrrev_b16_e32 v36, 4, v29
	v_and_b32_e32 v29, 15, v29
	v_cvt_f32_ubyte0_e32 v36, v36
	v_cvt_f32_ubyte0_e32 v29, v29
	v_add_f32_e32 v36, 0.5, v36
	v_add_f32_e32 v29, 0.5, v29
	v_cmp_le_u32_e32 vcc, s12, v16
	v_add_u32_e32 v19, 64, v19
	s_or_b64 s[4:5], vcc, s[4:5]
	s_waitcnt vmcnt(2)
	v_dot4c_i32_i8_e32 v53, v13, v9
	v_dot4c_i32_i8_e32 v53, v30, v10
	v_dot4c_i32_i8_e32 v53, v31, v11
	v_cvt_f32_f16_e32 v8, v8
	s_waitcnt vmcnt(1)
	v_dot4c_i32_i8_e32 v52, v38, v25
	v_dot4c_i32_i8_e32 v52, v39, v26
	;; [unrolled: 1-line block ×3, first 2 shown]
	s_waitcnt vmcnt(0)
	v_dot4c_i32_i8_e32 v52, v12, v58
	v_dot4c_i32_i8_e32 v53, v32, v24
	v_mul_f32_e32 v8, v28, v8
	v_mul_f32_e32 v8, 0x3e800000, v8
	v_cvt_f32_i32_e32 v9, v52
	v_cvt_f32_i32_e32 v10, v53
	v_mul_f32_e32 v9, v36, v9
	v_fmac_f32_e32 v9, v29, v10
	v_fmac_f32_e32 v17, v8, v9
	s_andn2_b64 exec, exec, s[4:5]
	s_cbranch_execnz .LBB272_3
; %bb.4:
	s_or_b64 exec, exec, s[4:5]
.LBB272_5:
	s_or_b64 exec, exec, s[10:11]
	v_mbcnt_lo_u32_b32 v0, -1, 0
	v_mbcnt_hi_u32_b32 v1, -1, v0
	v_and_b32_e32 v0, 64, v1
	v_add_u32_e32 v2, 64, v0
	v_xor_b32_e32 v0, 32, v1
	v_cmp_lt_i32_e32 vcc, v0, v2
	v_xor_b32_e32 v3, 16, v1
	v_xor_b32_e32 v4, 8, v1
	v_cndmask_b32_e32 v0, v1, v0, vcc
	v_lshlrev_b32_e32 v0, 2, v0
	ds_bpermute_b32 v0, v0, v17
	v_cmp_lt_i32_e32 vcc, v3, v2
	s_waitcnt lgkmcnt(0)
	v_add_f32_e32 v0, v17, v0
	v_cndmask_b32_e32 v3, v1, v3, vcc
	v_lshlrev_b32_e32 v3, 2, v3
	ds_bpermute_b32 v3, v3, v0
	v_cmp_lt_i32_e32 vcc, v4, v2
	s_waitcnt lgkmcnt(0)
	v_add_f32_e32 v0, v0, v3
	v_cndmask_b32_e32 v3, v1, v4, vcc
	v_lshlrev_b32_e32 v3, 2, v3
	ds_bpermute_b32 v3, v3, v0
	v_xor_b32_e32 v4, 4, v1
	v_cmp_lt_i32_e32 vcc, v4, v2
	s_waitcnt lgkmcnt(0)
	v_add_f32_e32 v0, v0, v3
	v_cndmask_b32_e32 v3, v1, v4, vcc
	v_lshlrev_b32_e32 v3, 2, v3
	ds_bpermute_b32 v3, v3, v0
	v_xor_b32_e32 v4, 2, v1
	;; [unrolled: 7-line block ×3, first 2 shown]
	v_cmp_lt_i32_e32 vcc, v4, v2
	s_waitcnt lgkmcnt(0)
	v_add_f32_e32 v0, v0, v3
	v_cndmask_b32_e32 v1, v1, v4, vcc
	v_lshlrev_b32_e32 v1, 2, v1
	ds_bpermute_b32 v1, v1, v0
	v_cmp_eq_u32_e32 vcc, 0, v15
	s_and_b64 exec, exec, vcc
	s_cbranch_execz .LBB272_7
; %bb.6:
	s_waitcnt lgkmcnt(0)
	v_add_f32_e32 v0, v0, v1
	v_cvt_f16_f32_e32 v2, v0
	s_mul_i32 s0, s8, s6
	v_add_u32_e32 v0, s0, v14
	v_mov_b32_e32 v1, 0
	v_lshl_add_u64 v[0:1], v[0:1], 1, s[2:3]
	global_store_short v[0:1], v2, off
.LBB272_7:
	s_endpgm
	.section	.rodata,"a",@progbits
	.p2align	6, 0x0
	.amdhsa_kernel _ZL9moe_vec_qIN3c104HalfELi256ELi8E11block_iq2_sLi1EXadL_ZL18vec_dot_iq2_s_q8_1PKvPK10block_q8_1RKiEEEvS4_S4_PT_PS8_iiii
		.amdhsa_group_segment_fixed_size 0
		.amdhsa_private_segment_fixed_size 0
		.amdhsa_kernarg_size 304
		.amdhsa_user_sgpr_count 2
		.amdhsa_user_sgpr_dispatch_ptr 0
		.amdhsa_user_sgpr_queue_ptr 0
		.amdhsa_user_sgpr_kernarg_segment_ptr 1
		.amdhsa_user_sgpr_dispatch_id 0
		.amdhsa_user_sgpr_kernarg_preload_length 0
		.amdhsa_user_sgpr_kernarg_preload_offset 0
		.amdhsa_user_sgpr_private_segment_size 0
		.amdhsa_uses_dynamic_stack 0
		.amdhsa_enable_private_segment 0
		.amdhsa_system_sgpr_workgroup_id_x 1
		.amdhsa_system_sgpr_workgroup_id_y 0
		.amdhsa_system_sgpr_workgroup_id_z 1
		.amdhsa_system_sgpr_workgroup_info 0
		.amdhsa_system_vgpr_workitem_id 1
		.amdhsa_next_free_vgpr 65
		.amdhsa_next_free_sgpr 20
		.amdhsa_accum_offset 68
		.amdhsa_reserve_vcc 1
		.amdhsa_float_round_mode_32 0
		.amdhsa_float_round_mode_16_64 0
		.amdhsa_float_denorm_mode_32 3
		.amdhsa_float_denorm_mode_16_64 3
		.amdhsa_dx10_clamp 1
		.amdhsa_ieee_mode 1
		.amdhsa_fp16_overflow 0
		.amdhsa_tg_split 0
		.amdhsa_exception_fp_ieee_invalid_op 0
		.amdhsa_exception_fp_denorm_src 0
		.amdhsa_exception_fp_ieee_div_zero 0
		.amdhsa_exception_fp_ieee_overflow 0
		.amdhsa_exception_fp_ieee_underflow 0
		.amdhsa_exception_fp_ieee_inexact 0
		.amdhsa_exception_int_div_zero 0
	.end_amdhsa_kernel
	.section	.text._ZL9moe_vec_qIN3c104HalfELi256ELi8E11block_iq2_sLi1EXadL_ZL18vec_dot_iq2_s_q8_1PKvPK10block_q8_1RKiEEEvS4_S4_PT_PS8_iiii,"axG",@progbits,_ZL9moe_vec_qIN3c104HalfELi256ELi8E11block_iq2_sLi1EXadL_ZL18vec_dot_iq2_s_q8_1PKvPK10block_q8_1RKiEEEvS4_S4_PT_PS8_iiii,comdat
.Lfunc_end272:
	.size	_ZL9moe_vec_qIN3c104HalfELi256ELi8E11block_iq2_sLi1EXadL_ZL18vec_dot_iq2_s_q8_1PKvPK10block_q8_1RKiEEEvS4_S4_PT_PS8_iiii, .Lfunc_end272-_ZL9moe_vec_qIN3c104HalfELi256ELi8E11block_iq2_sLi1EXadL_ZL18vec_dot_iq2_s_q8_1PKvPK10block_q8_1RKiEEEvS4_S4_PT_PS8_iiii
                                        ; -- End function
	.section	.AMDGPU.csdata,"",@progbits
; Kernel info:
; codeLenInByte = 2348
; NumSgprs: 26
; NumVgprs: 65
; NumAgprs: 0
; TotalNumVgprs: 65
; ScratchSize: 0
; MemoryBound: 0
; FloatMode: 240
; IeeeMode: 1
; LDSByteSize: 0 bytes/workgroup (compile time only)
; SGPRBlocks: 3
; VGPRBlocks: 8
; NumSGPRsForWavesPerEU: 26
; NumVGPRsForWavesPerEU: 65
; AccumOffset: 68
; Occupancy: 7
; WaveLimiterHint : 1
; COMPUTE_PGM_RSRC2:SCRATCH_EN: 0
; COMPUTE_PGM_RSRC2:USER_SGPR: 2
; COMPUTE_PGM_RSRC2:TRAP_HANDLER: 0
; COMPUTE_PGM_RSRC2:TGID_X_EN: 1
; COMPUTE_PGM_RSRC2:TGID_Y_EN: 0
; COMPUTE_PGM_RSRC2:TGID_Z_EN: 1
; COMPUTE_PGM_RSRC2:TIDIG_COMP_CNT: 1
; COMPUTE_PGM_RSRC3_GFX90A:ACCUM_OFFSET: 16
; COMPUTE_PGM_RSRC3_GFX90A:TG_SPLIT: 0
	.section	.text._ZL9moe_vec_qIN3c104HalfELi256ELi8E12block_iq4_xsLi1EXadL_ZL19vec_dot_iq4_xs_q8_1PKvPK10block_q8_1RKiEEEvS4_S4_PT_PS8_iiii,"axG",@progbits,_ZL9moe_vec_qIN3c104HalfELi256ELi8E12block_iq4_xsLi1EXadL_ZL19vec_dot_iq4_xs_q8_1PKvPK10block_q8_1RKiEEEvS4_S4_PT_PS8_iiii,comdat
	.globl	_ZL9moe_vec_qIN3c104HalfELi256ELi8E12block_iq4_xsLi1EXadL_ZL19vec_dot_iq4_xs_q8_1PKvPK10block_q8_1RKiEEEvS4_S4_PT_PS8_iiii ; -- Begin function _ZL9moe_vec_qIN3c104HalfELi256ELi8E12block_iq4_xsLi1EXadL_ZL19vec_dot_iq4_xs_q8_1PKvPK10block_q8_1RKiEEEvS4_S4_PT_PS8_iiii
	.p2align	8
	.type	_ZL9moe_vec_qIN3c104HalfELi256ELi8E12block_iq4_xsLi1EXadL_ZL19vec_dot_iq4_xs_q8_1PKvPK10block_q8_1RKiEEEvS4_S4_PT_PS8_iiii,@function
_ZL9moe_vec_qIN3c104HalfELi256ELi8E12block_iq4_xsLi1EXadL_ZL19vec_dot_iq4_xs_q8_1PKvPK10block_q8_1RKiEEEvS4_S4_PT_PS8_iiii: ; @_ZL9moe_vec_qIN3c104HalfELi256ELi8E12block_iq4_xsLi1EXadL_ZL19vec_dot_iq4_xs_q8_1PKvPK10block_q8_1RKiEEEvS4_S4_PT_PS8_iiii
; %bb.0:
	s_mov_b32 s8, s3
	s_load_dword s3, s[0:1], 0x3c
	s_load_dwordx4 s[4:7], s[0:1], 0x20
	v_bfe_u32 v1, v0, 10, 10
	s_waitcnt lgkmcnt(0)
	s_lshr_b32 s3, s3, 16
	s_mul_i32 s2, s2, s3
	v_add_u32_e32 v18, s2, v1
	v_cmp_gt_u32_e32 vcc, s6, v18
	s_and_saveexec_b64 s[2:3], vcc
	s_cbranch_execz .LBB273_7
; %bb.1:
	s_load_dwordx2 s[2:3], s[0:1], 0x10
	s_ashr_i32 s9, s5, 31
	s_lshr_b32 s9, s9, 24
	s_add_i32 s5, s5, s9
	v_and_b32_e32 v19, 0x3ff, v0
	s_ashr_i32 s12, s5, 8
	v_lshrrev_b32_e32 v20, 3, v19
	v_cmp_gt_u32_e32 vcc, s12, v20
	v_mov_b32_e32 v21, 0
	s_and_saveexec_b64 s[10:11], vcc
	s_cbranch_execz .LBB273_5
; %bb.2:
	s_load_dwordx2 s[14:15], s[0:1], 0x18
	v_cvt_f32_u32_e32 v0, s4
	s_mov_b32 s9, 0
	s_lshl_b64 s[16:17], s[8:9], 2
	v_and_b32_e32 v1, 7, v19
	s_waitcnt lgkmcnt(0)
	s_add_u32 s14, s14, s16
	v_rcp_iflag_f32_e32 v0, v0
	s_addc_u32 s15, s15, s17
	s_load_dword s5, s[14:15], 0x0
	s_load_dwordx4 s[16:19], s[0:1], 0x0
	s_mul_i32 s0, s12, s6
	v_mul_f32_e32 v0, 0x4f7ffffe, v0
	v_cvt_u32_f32_e32 v0, v0
	s_waitcnt lgkmcnt(0)
	s_mul_i32 s0, s0, s5
	s_mul_hi_i32 s1, s0, 0x88
	s_mulk_i32 s0, 0x88
	s_add_u32 s14, s16, s0
	s_addc_u32 s15, s17, s1
	s_sub_i32 s0, 0, s4
	v_readfirstlane_b32 s1, v0
	s_mul_i32 s0, s0, s1
	s_mul_hi_u32 s0, s1, s0
	s_add_i32 s1, s1, s0
	s_mul_hi_u32 s0, s8, s1
	s_mul_i32 s1, s0, s4
	s_sub_i32 s1, s8, s1
	s_add_i32 s5, s0, 1
	s_sub_i32 s16, s1, s4
	s_cmp_ge_u32 s1, s4
	s_cselect_b32 s0, s5, s0
	s_cselect_b32 s1, s16, s1
	s_add_i32 s5, s0, 1
	s_cmp_ge_u32 s1, s4
	s_cselect_b32 s0, s5, s0
	s_mul_i32 s0, s0, s7
	s_mov_b32 s1, s9
	s_lshl_b64 s[0:1], s[0:1], 2
	s_add_u32 s0, s18, s0
	s_addc_u32 s1, s19, s1
	v_mad_u64_u32 v[8:9], s[0:1], v1, 36, s[0:1]
	v_lshlrev_b32_e32 v0, 2, v1
	v_mov_b32_e32 v11, 0
	v_lshlrev_b32_e32 v2, 2, v19
	s_movk_i32 s13, 0x88
	v_mul_lo_u32 v22, v18, s12
	v_bfe_u32 v10, v19, 1, 2
	v_and_b32_e32 v23, 4, v2
	v_lshlrev_b32_e32 v24, 1, v1
	v_lshlrev_b32_e32 v25, 3, v20
	s_mov_b64 s[0:1], 0
	v_mov_b64_e32 v[12:13], s[14:15]
	v_lshlrev_b32_e32 v14, 2, v0
	v_mov_b32_e32 v15, v11
	v_mov_b32_e32 v21, v11
.LBB273_3:                              ; =>This Inner Loop Header: Depth=1
	v_add_u32_e32 v0, v22, v20
	v_mad_i64_i32 v[26:27], s[14:15], v0, s13, v[12:13]
	v_lshl_add_u64 v[28:29], v[26:27], 0, v[14:15]
	v_mad_i64_i32 v[16:17], s[4:5], v25, 36, v[8:9]
	v_lshl_add_u64 v[30:31], v[26:27], 0, v[10:11]
	global_load_dwordx4 v[4:7], v[28:29], off offset:8
	global_load_ubyte v32, v[30:31], off offset:4
	global_load_dwordx4 v[0:3], v[16:17], off
	s_getpc_b64 s[4:5]
	s_add_u32 s4, s4, _ZL13kvalues_iq4nl@rel32@lo+4
	s_addc_u32 s5, s5, _ZL13kvalues_iq4nl@rel32@hi+12
	v_add_u32_e32 v20, 8, v20
	v_cmp_le_u32_e32 vcc, s12, v20
	v_add_u32_e32 v25, 64, v25
	s_or_b64 s[0:1], vcc, s[0:1]
	s_waitcnt vmcnt(2)
	v_bfe_u32 v28, v4, 24, 4
	v_and_b32_e32 v29, 15, v4
	v_bfe_u32 v30, v4, 8, 4
	v_bfe_u32 v31, v4, 16, 4
	v_bfe_u32 v33, v4, 20, 4
	v_lshrrev_b32_e32 v34, 28, v4
	v_bfe_u32 v35, v4, 4, 4
	v_bfe_u32 v36, v4, 12, 4
	v_bfe_u32 v37, v5, 24, 4
	v_and_b32_e32 v38, 15, v5
	v_bfe_u32 v39, v5, 8, 4
	v_bfe_u32 v40, v5, 16, 4
	v_bfe_u32 v41, v5, 20, 4
	v_lshrrev_b32_e32 v42, 28, v5
	v_bfe_u32 v43, v5, 4, 4
	v_bfe_u32 v44, v5, 12, 4
	;; [unrolled: 8-line block ×3, first 2 shown]
	v_bfe_u32 v53, v7, 24, 4
	v_bfe_u32 v55, v7, 8, 4
	;; [unrolled: 1-line block ×5, first 2 shown]
	v_and_b32_e32 v54, 15, v7
	v_lshrrev_b32_e32 v58, 28, v7
	v_bfe_u32 v59, v7, 4, 4
	global_load_dwordx4 v[4:7], v[16:17], off offset:16
	global_load_dword v61, v[26:27], off
	global_load_ubyte v62, v36, s[4:5]
	global_load_ubyte v63, v30, s[4:5]
                                        ; kill: killed $vgpr26_vgpr27
                                        ; kill: killed $vgpr36
                                        ; kill: killed $vgpr30
	s_nop 0
	global_load_ubyte v26, v31, s[4:5]
	global_load_ubyte v27, v33, s[4:5]
	;; [unrolled: 1-line block ×4, first 2 shown]
                                        ; kill: killed $vgpr34
                                        ; kill: killed $vgpr33
                                        ; kill: killed $vgpr31
                                        ; kill: killed $vgpr35
	s_nop 0
	global_load_ubyte v31, v29, s[4:5]
	global_load_ubyte v33, v28, s[4:5]
	;; [unrolled: 1-line block ×4, first 2 shown]
                                        ; kill: killed $vgpr39
                                        ; kill: killed $vgpr29
                                        ; kill: killed $vgpr28
                                        ; kill: killed $vgpr44
	s_nop 0
	global_load_ubyte v28, v40, s[4:5]
	global_load_ubyte v29, v41, s[4:5]
	;; [unrolled: 1-line block ×4, first 2 shown]
                                        ; kill: killed $vgpr43
                                        ; kill: killed $vgpr41
                                        ; kill: killed $vgpr40
                                        ; kill: killed $vgpr42
	s_nop 0
	global_load_ubyte v40, v38, s[4:5]
	global_load_ubyte v41, v37, s[4:5]
	;; [unrolled: 1-line block ×4, first 2 shown]
                                        ; kill: killed $vgpr37
                                        ; kill: killed $vgpr47
                                        ; kill: killed $vgpr38
                                        ; kill: killed $vgpr52
	s_nop 0
	global_load_ubyte v37, v48, s[4:5]
	global_load_ubyte v38, v49, s[4:5]
	;; [unrolled: 1-line block ×4, first 2 shown]
                                        ; kill: killed $vgpr51
                                        ; kill: killed $vgpr49
                                        ; kill: killed $vgpr48
                                        ; kill: killed $vgpr50
	s_nop 0
	global_load_ubyte v48, v46, s[4:5]
	global_load_ubyte v49, v45, s[4:5]
	;; [unrolled: 1-line block ×4, first 2 shown]
                                        ; kill: killed $vgpr45
                                        ; kill: killed $vgpr55
                                        ; kill: killed $vgpr46
                                        ; kill: killed $vgpr60
	s_nop 0
	global_load_ubyte v45, v56, s[4:5]
	global_load_ubyte v46, v57, s[4:5]
	;; [unrolled: 1-line block ×4, first 2 shown]
                                        ; kill: killed $vgpr53
                                        ; kill: killed $vgpr57
                                        ; kill: killed $vgpr56
                                        ; kill: killed $vgpr58
	s_nop 0
	global_load_ubyte v53, v54, s[4:5]
	global_load_ubyte v56, v59, s[4:5]
	global_load_dword v57, v[16:17], off offset:32
	v_mov_b32_e32 v16, 0
	v_mov_b32_e32 v17, 0
	s_waitcnt vmcnt(36)
	v_bfe_u32 v32, v32, v23, 4
	s_waitcnt vmcnt(35)
	v_cvt_f32_f16_e32 v0, v0
	s_waitcnt vmcnt(33)
	v_lshrrev_b32_sdwa v54, v24, v61 dst_sel:DWORD dst_unused:UNUSED_PAD src0_sel:DWORD src1_sel:WORD_1
	v_lshlrev_b32_e32 v54, 4, v54
	v_and_or_b32 v32, v54, 48, v32
	v_subrev_u32_e32 v32, 32, v32
	v_cvt_f32_f16_e32 v54, v61
	v_cvt_f32_i32_e32 v32, v32
	s_waitcnt vmcnt(30)
	v_lshlrev_b32_e32 v26, 16, v26
	s_waitcnt vmcnt(29)
	v_lshlrev_b32_e32 v27, 16, v27
	s_waitcnt vmcnt(28)
	v_lshl_or_b32 v30, v62, 8, v30
	s_waitcnt vmcnt(27)
	v_lshlrev_b32_e32 v36, 24, v36
	v_or3_b32 v27, v30, v27, v36
	v_dot4c_i32_i8_e32 v17, v27, v5
	s_waitcnt vmcnt(26)
	v_lshl_or_b32 v31, v63, 8, v31
	s_waitcnt vmcnt(25)
	v_lshlrev_b32_e32 v33, 24, v33
	v_or3_b32 v26, v31, v26, v33
	v_dot4c_i32_i8_e32 v16, v26, v1
	s_waitcnt vmcnt(22)
	v_lshlrev_b32_e32 v28, 16, v28
	s_waitcnt vmcnt(21)
	v_lshlrev_b32_e32 v29, 16, v29
	s_waitcnt vmcnt(20)
	v_lshl_or_b32 v34, v34, 8, v39
	s_waitcnt vmcnt(18)
	v_lshl_or_b32 v35, v35, 8, v40
	s_waitcnt vmcnt(17)
	v_lshlrev_b32_e32 v41, 24, v41
	v_lshlrev_b32_e32 v40, 24, v44
	v_or3_b32 v28, v35, v28, v41
	v_or3_b32 v29, v34, v29, v40
	v_dot4c_i32_i8_e32 v16, v28, v2
	v_dot4c_i32_i8_e32 v17, v29, v6
	v_mul_f32_e32 v2, v54, v32
	s_waitcnt vmcnt(14)
	v_lshlrev_b32_e32 v37, 16, v37
	s_waitcnt vmcnt(13)
	v_lshlrev_b32_e32 v38, 16, v38
	s_waitcnt vmcnt(12)
	v_lshl_or_b32 v42, v42, 8, v47
	s_waitcnt vmcnt(11)
	v_lshlrev_b32_e32 v44, 24, v52
	v_or3_b32 v31, v42, v38, v44
	v_dot4c_i32_i8_e32 v17, v31, v7
	v_mul_f32_e32 v0, v2, v0
	s_waitcnt vmcnt(10)
	v_lshl_or_b32 v43, v43, 8, v48
	s_waitcnt vmcnt(9)
	v_lshlrev_b32_e32 v39, 24, v49
	v_or3_b32 v30, v43, v37, v39
	v_dot4c_i32_i8_e32 v16, v30, v3
	s_waitcnt vmcnt(6)
	v_lshlrev_b32_e32 v45, 16, v45
	s_waitcnt vmcnt(5)
	v_lshlrev_b32_e32 v46, 16, v46
	;; [unrolled: 2-line block ×4, first 2 shown]
	s_waitcnt vmcnt(2)
	v_lshl_or_b32 v48, v51, 8, v53
	s_waitcnt vmcnt(1)
	v_lshl_or_b32 v50, v50, 8, v56
	v_or3_b32 v33, v48, v45, v47
	v_or3_b32 v34, v50, v46, v49
	v_dot4c_i32_i8_e32 v16, v33, v4
	s_waitcnt vmcnt(0)
	v_dot4c_i32_i8_e32 v17, v34, v57
	s_nop 2
	v_add_u32_e32 v1, v17, v16
	v_cvt_f32_i32_e32 v1, v1
	v_fmac_f32_e32 v21, v0, v1
	s_andn2_b64 exec, exec, s[0:1]
	s_cbranch_execnz .LBB273_3
; %bb.4:
	s_or_b64 exec, exec, s[0:1]
.LBB273_5:
	s_or_b64 exec, exec, s[10:11]
	v_mbcnt_lo_u32_b32 v0, -1, 0
	v_mbcnt_hi_u32_b32 v1, -1, v0
	v_and_b32_e32 v0, 64, v1
	v_add_u32_e32 v2, 64, v0
	v_xor_b32_e32 v0, 32, v1
	v_cmp_lt_i32_e32 vcc, v0, v2
	v_xor_b32_e32 v3, 16, v1
	v_xor_b32_e32 v4, 8, v1
	v_cndmask_b32_e32 v0, v1, v0, vcc
	v_lshlrev_b32_e32 v0, 2, v0
	ds_bpermute_b32 v0, v0, v21
	v_cmp_lt_i32_e32 vcc, v3, v2
	s_waitcnt lgkmcnt(0)
	v_add_f32_e32 v0, v21, v0
	v_cndmask_b32_e32 v3, v1, v3, vcc
	v_lshlrev_b32_e32 v3, 2, v3
	ds_bpermute_b32 v3, v3, v0
	v_cmp_lt_i32_e32 vcc, v4, v2
	s_waitcnt lgkmcnt(0)
	v_add_f32_e32 v0, v0, v3
	v_cndmask_b32_e32 v3, v1, v4, vcc
	v_lshlrev_b32_e32 v3, 2, v3
	ds_bpermute_b32 v3, v3, v0
	v_xor_b32_e32 v4, 4, v1
	v_cmp_lt_i32_e32 vcc, v4, v2
	s_waitcnt lgkmcnt(0)
	v_add_f32_e32 v0, v0, v3
	v_cndmask_b32_e32 v3, v1, v4, vcc
	v_lshlrev_b32_e32 v3, 2, v3
	ds_bpermute_b32 v3, v3, v0
	v_xor_b32_e32 v4, 2, v1
	;; [unrolled: 7-line block ×3, first 2 shown]
	v_cmp_lt_i32_e32 vcc, v4, v2
	s_waitcnt lgkmcnt(0)
	v_add_f32_e32 v0, v0, v3
	v_cndmask_b32_e32 v1, v1, v4, vcc
	v_lshlrev_b32_e32 v1, 2, v1
	ds_bpermute_b32 v1, v1, v0
	v_cmp_eq_u32_e32 vcc, 0, v19
	s_and_b64 exec, exec, vcc
	s_cbranch_execz .LBB273_7
; %bb.6:
	s_waitcnt lgkmcnt(0)
	v_add_f32_e32 v0, v0, v1
	v_cvt_f16_f32_e32 v2, v0
	s_mul_i32 s0, s8, s6
	v_add_u32_e32 v0, s0, v18
	v_mov_b32_e32 v1, 0
	v_lshl_add_u64 v[0:1], v[0:1], 1, s[2:3]
	global_store_short v[0:1], v2, off
.LBB273_7:
	s_endpgm
	.section	.rodata,"a",@progbits
	.p2align	6, 0x0
	.amdhsa_kernel _ZL9moe_vec_qIN3c104HalfELi256ELi8E12block_iq4_xsLi1EXadL_ZL19vec_dot_iq4_xs_q8_1PKvPK10block_q8_1RKiEEEvS4_S4_PT_PS8_iiii
		.amdhsa_group_segment_fixed_size 0
		.amdhsa_private_segment_fixed_size 0
		.amdhsa_kernarg_size 304
		.amdhsa_user_sgpr_count 2
		.amdhsa_user_sgpr_dispatch_ptr 0
		.amdhsa_user_sgpr_queue_ptr 0
		.amdhsa_user_sgpr_kernarg_segment_ptr 1
		.amdhsa_user_sgpr_dispatch_id 0
		.amdhsa_user_sgpr_kernarg_preload_length 0
		.amdhsa_user_sgpr_kernarg_preload_offset 0
		.amdhsa_user_sgpr_private_segment_size 0
		.amdhsa_uses_dynamic_stack 0
		.amdhsa_enable_private_segment 0
		.amdhsa_system_sgpr_workgroup_id_x 1
		.amdhsa_system_sgpr_workgroup_id_y 0
		.amdhsa_system_sgpr_workgroup_id_z 1
		.amdhsa_system_sgpr_workgroup_info 0
		.amdhsa_system_vgpr_workitem_id 1
		.amdhsa_next_free_vgpr 64
		.amdhsa_next_free_sgpr 20
		.amdhsa_accum_offset 64
		.amdhsa_reserve_vcc 1
		.amdhsa_float_round_mode_32 0
		.amdhsa_float_round_mode_16_64 0
		.amdhsa_float_denorm_mode_32 3
		.amdhsa_float_denorm_mode_16_64 3
		.amdhsa_dx10_clamp 1
		.amdhsa_ieee_mode 1
		.amdhsa_fp16_overflow 0
		.amdhsa_tg_split 0
		.amdhsa_exception_fp_ieee_invalid_op 0
		.amdhsa_exception_fp_denorm_src 0
		.amdhsa_exception_fp_ieee_div_zero 0
		.amdhsa_exception_fp_ieee_overflow 0
		.amdhsa_exception_fp_ieee_underflow 0
		.amdhsa_exception_fp_ieee_inexact 0
		.amdhsa_exception_int_div_zero 0
	.end_amdhsa_kernel
	.section	.text._ZL9moe_vec_qIN3c104HalfELi256ELi8E12block_iq4_xsLi1EXadL_ZL19vec_dot_iq4_xs_q8_1PKvPK10block_q8_1RKiEEEvS4_S4_PT_PS8_iiii,"axG",@progbits,_ZL9moe_vec_qIN3c104HalfELi256ELi8E12block_iq4_xsLi1EXadL_ZL19vec_dot_iq4_xs_q8_1PKvPK10block_q8_1RKiEEEvS4_S4_PT_PS8_iiii,comdat
.Lfunc_end273:
	.size	_ZL9moe_vec_qIN3c104HalfELi256ELi8E12block_iq4_xsLi1EXadL_ZL19vec_dot_iq4_xs_q8_1PKvPK10block_q8_1RKiEEEvS4_S4_PT_PS8_iiii, .Lfunc_end273-_ZL9moe_vec_qIN3c104HalfELi256ELi8E12block_iq4_xsLi1EXadL_ZL19vec_dot_iq4_xs_q8_1PKvPK10block_q8_1RKiEEEvS4_S4_PT_PS8_iiii
                                        ; -- End function
	.section	.AMDGPU.csdata,"",@progbits
; Kernel info:
; codeLenInByte = 1688
; NumSgprs: 26
; NumVgprs: 64
; NumAgprs: 0
; TotalNumVgprs: 64
; ScratchSize: 0
; MemoryBound: 0
; FloatMode: 240
; IeeeMode: 1
; LDSByteSize: 0 bytes/workgroup (compile time only)
; SGPRBlocks: 3
; VGPRBlocks: 7
; NumSGPRsForWavesPerEU: 26
; NumVGPRsForWavesPerEU: 64
; AccumOffset: 64
; Occupancy: 8
; WaveLimiterHint : 1
; COMPUTE_PGM_RSRC2:SCRATCH_EN: 0
; COMPUTE_PGM_RSRC2:USER_SGPR: 2
; COMPUTE_PGM_RSRC2:TRAP_HANDLER: 0
; COMPUTE_PGM_RSRC2:TGID_X_EN: 1
; COMPUTE_PGM_RSRC2:TGID_Y_EN: 0
; COMPUTE_PGM_RSRC2:TGID_Z_EN: 1
; COMPUTE_PGM_RSRC2:TIDIG_COMP_CNT: 1
; COMPUTE_PGM_RSRC3_GFX90A:ACCUM_OFFSET: 15
; COMPUTE_PGM_RSRC3_GFX90A:TG_SPLIT: 0
	.section	.text._ZL9moe_vec_qIN3c104HalfELi256ELi8E11block_iq1_mLi1EXadL_ZL18vec_dot_iq1_m_q8_1PKvPK10block_q8_1RKiEEEvS4_S4_PT_PS8_iiii,"axG",@progbits,_ZL9moe_vec_qIN3c104HalfELi256ELi8E11block_iq1_mLi1EXadL_ZL18vec_dot_iq1_m_q8_1PKvPK10block_q8_1RKiEEEvS4_S4_PT_PS8_iiii,comdat
	.globl	_ZL9moe_vec_qIN3c104HalfELi256ELi8E11block_iq1_mLi1EXadL_ZL18vec_dot_iq1_m_q8_1PKvPK10block_q8_1RKiEEEvS4_S4_PT_PS8_iiii ; -- Begin function _ZL9moe_vec_qIN3c104HalfELi256ELi8E11block_iq1_mLi1EXadL_ZL18vec_dot_iq1_m_q8_1PKvPK10block_q8_1RKiEEEvS4_S4_PT_PS8_iiii
	.p2align	8
	.type	_ZL9moe_vec_qIN3c104HalfELi256ELi8E11block_iq1_mLi1EXadL_ZL18vec_dot_iq1_m_q8_1PKvPK10block_q8_1RKiEEEvS4_S4_PT_PS8_iiii,@function
_ZL9moe_vec_qIN3c104HalfELi256ELi8E11block_iq1_mLi1EXadL_ZL18vec_dot_iq1_m_q8_1PKvPK10block_q8_1RKiEEEvS4_S4_PT_PS8_iiii: ; @_ZL9moe_vec_qIN3c104HalfELi256ELi8E11block_iq1_mLi1EXadL_ZL18vec_dot_iq1_m_q8_1PKvPK10block_q8_1RKiEEEvS4_S4_PT_PS8_iiii
; %bb.0:
	s_mov_b32 s8, s3
	s_load_dword s3, s[0:1], 0x3c
	s_load_dwordx4 s[4:7], s[0:1], 0x20
	v_bfe_u32 v1, v0, 10, 10
	s_waitcnt lgkmcnt(0)
	s_lshr_b32 s3, s3, 16
	s_mul_i32 s2, s2, s3
	v_add_u32_e32 v9, s2, v1
	v_cmp_gt_u32_e32 vcc, s6, v9
	s_and_saveexec_b64 s[2:3], vcc
	s_cbranch_execz .LBB274_7
; %bb.1:
	v_cvt_f32_u32_e32 v1, s4
	v_and_b32_e32 v18, 0x3ff, v0
	s_load_dwordx2 s[2:3], s[0:1], 0x10
	s_ashr_i32 s9, s5, 31
	v_rcp_iflag_f32_e32 v1, v1
	s_lshr_b32 s9, s9, 24
	s_add_i32 s5, s5, s9
	v_lshrrev_b32_e32 v19, 3, v18
	v_mul_f32_e32 v0, 0x4f7ffffe, v1
	v_cvt_u32_f32_e32 v0, v0
	s_ashr_i32 s15, s5, 8
	v_cmp_gt_u32_e32 vcc, s15, v19
	v_mov_b32_e32 v21, 0
	v_readfirstlane_b32 s5, v0
	s_and_saveexec_b64 s[10:11], vcc
	s_cbranch_execz .LBB274_5
; %bb.2:
	s_sub_i32 s12, 0, s4
	s_mul_i32 s14, s12, s5
	s_load_dwordx4 s[16:19], s[0:1], 0x0
	s_load_dwordx2 s[12:13], s[0:1], 0x18
	s_mov_b32 s9, 0
	s_mul_hi_u32 s0, s5, s14
	s_add_i32 s5, s5, s0
	s_lshl_b64 s[0:1], s[8:9], 2
	s_waitcnt lgkmcnt(0)
	s_add_u32 s0, s12, s0
	s_mul_hi_u32 s5, s8, s5
	s_addc_u32 s1, s13, s1
	s_load_dword s0, s[0:1], 0x0
	s_mul_i32 s1, s5, s4
	s_sub_i32 s1, s8, s1
	s_add_i32 s12, s5, 1
	s_sub_i32 s13, s1, s4
	s_cmp_ge_u32 s1, s4
	s_cselect_b32 s5, s12, s5
	s_cselect_b32 s1, s13, s1
	s_add_i32 s12, s5, 1
	s_cmp_ge_u32 s1, s4
	s_mul_i32 s1, s15, s6
	s_waitcnt lgkmcnt(0)
	s_mul_i32 s0, s1, s0
	s_cselect_b32 s4, s12, s5
	s_mul_hi_i32 s1, s0, 56
	s_mul_i32 s0, s0, 56
	s_add_u32 s0, s16, s0
	s_mul_i32 s4, s4, s7
	s_mov_b32 s5, s9
	s_addc_u32 s1, s17, s1
	s_lshl_b64 s[4:5], s[4:5], 2
	v_and_b32_e32 v1, 1, v18
	s_add_u32 s4, s18, s4
	v_and_b32_e32 v8, 7, v18
	v_mov_b32_e32 v11, 0
	v_bfe_u32 v0, v18, 1, 2
	v_cmp_eq_u32_e32 vcc, 1, v1
	s_mov_b32 s18, 0xbf600000
	s_addc_u32 s5, s19, s5
	v_mul_lo_u32 v20, v9, s15
	v_lshlrev_b32_e32 v10, 1, v8
	v_cndmask_b32_e64 v22, 0, 6, vcc
	v_lshlrev_b32_e32 v23, 3, v19
	s_mov_b64 s[12:13], 0
	v_lshlrev_b32_e32 v12, 2, v8
	s_mov_b32 s7, 0x40008
	s_movk_i32 s9, 0xf000
	v_lshlrev_b32_e32 v14, 1, v0
	s_movk_i32 s16, 0x700
	s_mov_b32 s14, 0x3d000000
	v_mov_b64_e32 v[16:17], s[18:19]
	v_mov_b32_e32 v13, v11
	v_mov_b32_e32 v15, v11
	;; [unrolled: 1-line block ×4, first 2 shown]
.LBB274_3:                              ; =>This Inner Loop Header: Depth=1
	v_add_u32_e32 v0, v20, v19
	v_mad_i64_i32 v[26:27], s[18:19], v0, 56, s[0:1]
	v_lshl_add_u64 v[0:1], v[26:27], 0, v[12:13]
	v_lshl_add_u64 v[2:3], v[26:27], 0, v[10:11]
	global_load_dword v25, v[0:1], off
	global_load_ushort v30, v[2:3], off offset:32
	v_mad_i64_i32 v[0:1], s[18:19], v23, 36, s[4:5]
	v_mad_u64_u32 v[28:29], s[20:21], v8, 36, v[0:1]
	s_getpc_b64 s[18:19]
	s_add_u32 s18, s18, _ZL13iq1s_grid_gpu@rel32@lo+4
	s_addc_u32 s19, s19, _ZL13iq1s_grid_gpu@rel32@hi+12
	global_load_dword v36, v[28:29], off offset:32
	global_load_dwordx4 v[4:7], v[28:29], off
	global_load_dwordx4 v[0:3], v[28:29], off offset:16
	v_lshl_add_u64 v[28:29], v[26:27], 0, v[14:15]
	global_load_dwordx2 v[26:27], v[26:27], off offset:48
	v_mov_b32_e32 v42, 0
	v_mov_b32_e32 v43, 0
	v_add_u32_e32 v19, 8, v19
	v_cmp_le_u32_e32 vcc, s15, v19
	v_add_u32_e32 v23, 64, v23
	s_or_b64 s[12:13], vcc, s[12:13]
	s_waitcnt vmcnt(5)
	v_and_b32_e32 v31, 0xff, v25
	s_waitcnt vmcnt(4)
	v_lshlrev_b32_e32 v34, 8, v30
	v_lshrrev_b16_e32 v37, 4, v30
	v_and_or_b32 v31, v34, s16, v31
	v_and_b32_e32 v34, 15, v37
	v_bfe_u32 v32, v25, 8, 8
	v_lshrrev_b16_e32 v35, 12, v30
	v_lshlrev_b32_e32 v34, 8, v34
	v_bfe_u32 v33, v25, 16, 8
	v_lshlrev_b32_sdwa v38, v24, v30 dst_sel:DWORD dst_unused:UNUSED_PAD src0_sel:DWORD src1_sel:BYTE_1
	v_alignbit_b32 v25, v35, v25, 24
	v_lshlrev_b32_e32 v31, 3, v31
	v_and_or_b32 v32, v34, s16, v32
	v_and_or_b32 v33, v38, s16, v33
	v_and_b32_e32 v25, 0x7ff, v25
	global_load_dword v38, v31, s[18:19]
	v_lshlrev_b32_e32 v31, 3, v32
	v_lshlrev_b32_e32 v33, 3, v33
	;; [unrolled: 1-line block ×3, first 2 shown]
	global_load_dword v39, v31, s[18:19]
	global_load_dword v40, v33, s[18:19]
	;; [unrolled: 1-line block ×3, first 2 shown]
	global_load_ushort v32, v[28:29], off offset:48
	v_mov_b32_e32 v25, 0
	v_mov_b32_e32 v28, 0
	s_waitcnt vmcnt(7)
	v_dot4c_i32_i8_e32 v25, 0x1010101, v5
	s_waitcnt vmcnt(6)
	v_dot4c_i32_i8_e32 v28, 0x1010101, v1
	v_dot4c_i32_i8_e32 v25, 0x1010101, v6
	;; [unrolled: 1-line block ×3, first 2 shown]
	s_waitcnt vmcnt(5)
	v_alignbit_b32 v29, v27, v26, 16
	v_lshrrev_b16_e32 v34, 12, v26
	v_and_b32_sdwa v44, v27, s9 dst_sel:DWORD dst_unused:UNUSED_PAD src0_sel:WORD_1 src1_sel:DWORD
	v_and_b32_sdwa v27, v30, v24 dst_sel:DWORD dst_unused:UNUSED_PAD src0_sel:BYTE_1 src1_sel:DWORD
	v_and_b32_e32 v30, 8, v30
	v_cvt_f32_ubyte0_e32 v27, v27
	v_mov_b32_e32 v33, 0
	v_mov_b32_e32 v31, 0
	v_dot4c_i32_i8_e32 v33, 0x1010101, v7
	v_dot4c_i32_i8_e32 v31, 0x1010101, v3
	;; [unrolled: 1-line block ×4, first 2 shown]
	v_and_b32_e32 v35, 8, v35
	v_cvt_f32_f16_e32 v4, v4
	s_waitcnt vmcnt(0)
	v_lshrrev_b32_e32 v26, v22, v32
	v_pk_lshrrev_b16 v32, s7, v29
	v_cvt_f32_i32_e32 v29, v28
	v_cvt_f32_i32_e32 v28, v25
	v_lshlrev_b32_e32 v45, 1, v26
	v_lshrrev_b32_e32 v46, 2, v26
	v_cvt_f32_ubyte0_e32 v26, v30
	v_pk_fma_f32 v[26:27], v[26:27], s[14:15], v[16:17] op_sel_hi:[1,0,0] neg_lo:[1,0,0] neg_hi:[1,0,0]
	v_and_b32_e32 v25, 8, v37
	v_pk_fma_f32 v[26:27], v[26:27], v[28:29], 0 op_sel_hi:[1,1,0]
	v_and_b32_e32 v28, 0xf0f0f0f, v38
	v_lshrrev_b32_e32 v29, 4, v38
	v_and_b32_e32 v29, 0xf0f0f0f, v29
	v_dot4c_i32_i8_e32 v42, v28, v5
	v_and_b32_e32 v37, 0xf0000f0, v32
	v_dot4c_i32_i8_e32 v42, v29, v6
	v_and_b32_e32 v5, 0xf0f0f0f, v39
	v_and_b32_e32 v28, 0xf0f0f0f, v40
	v_lshrrev_b32_e32 v29, 4, v40
	v_cvt_f32_ubyte0_e32 v32, v25
	v_and_or_b32 v25, v45, 14, 1
	v_or_b32_e32 v45, v37, v34
	v_dot4c_i32_i8_e32 v42, v5, v7
	v_and_b32_e32 v5, 0xf0f0f0f, v29
	v_dot4c_i32_i8_e32 v43, v28, v1
	v_cvt_f32_ubyte0_e32 v34, v25
	v_or_b32_sdwa v25, v45, v37 dst_sel:DWORD dst_unused:UNUSED_PAD src0_sel:DWORD src1_sel:WORD_1
	v_lshrrev_b32_e32 v6, 4, v39
	v_and_b32_e32 v37, 0xf0f0f0f, v41
	v_lshrrev_b32_e32 v38, 4, v41
	v_dot4c_i32_i8_e32 v43, v5, v2
	v_and_b32_e32 v6, 0xf0f0f0f, v6
	v_and_b32_e32 v1, 0xf0f0f0f, v38
	v_dot4c_i32_i8_e32 v43, v37, v3
	v_cvt_f32_i32_e32 v31, v31
	v_cvt_f32_i32_e32 v30, v33
	v_dot4c_i32_i8_e32 v42, v6, v0
	v_dot4c_i32_i8_e32 v43, v1, v36
	v_cvt_f32_ubyte0_e32 v33, v35
	v_or_b32_e32 v25, v25, v44
	v_cvt_f32_i32_e32 v0, v42
	v_cvt_f32_i32_e32 v1, v43
	v_pk_fma_f32 v[32:33], v[32:33], s[14:15], v[16:17] op_sel_hi:[1,0,0] neg_lo:[1,0,0] neg_hi:[1,0,0]
	v_cvt_f32_f16_e32 v5, v25
	v_and_or_b32 v35, v46, 14, 1
	v_pk_fma_f32 v[2:3], v[32:33], v[30:31], v[26:27]
	v_cvt_f32_ubyte0_e32 v35, v35
	v_pk_add_f32 v[0:1], v[2:3], v[0:1]
	v_mul_f32_e32 v4, v5, v4
	v_pk_mul_f32 v[0:1], v[0:1], v[34:35]
	s_nop 0
	v_add_f32_e32 v0, v0, v1
	v_fmac_f32_e32 v21, v4, v0
	s_andn2_b64 exec, exec, s[12:13]
	s_cbranch_execnz .LBB274_3
; %bb.4:
	s_or_b64 exec, exec, s[12:13]
.LBB274_5:
	s_or_b64 exec, exec, s[10:11]
	v_mbcnt_lo_u32_b32 v0, -1, 0
	v_mbcnt_hi_u32_b32 v1, -1, v0
	v_and_b32_e32 v0, 64, v1
	v_add_u32_e32 v2, 64, v0
	v_xor_b32_e32 v0, 32, v1
	v_cmp_lt_i32_e32 vcc, v0, v2
	v_xor_b32_e32 v3, 16, v1
	v_xor_b32_e32 v4, 8, v1
	v_cndmask_b32_e32 v0, v1, v0, vcc
	v_lshlrev_b32_e32 v0, 2, v0
	ds_bpermute_b32 v0, v0, v21
	v_cmp_lt_i32_e32 vcc, v3, v2
	s_waitcnt lgkmcnt(0)
	v_add_f32_e32 v0, v21, v0
	v_cndmask_b32_e32 v3, v1, v3, vcc
	v_lshlrev_b32_e32 v3, 2, v3
	ds_bpermute_b32 v3, v3, v0
	v_cmp_lt_i32_e32 vcc, v4, v2
	s_waitcnt lgkmcnt(0)
	v_add_f32_e32 v0, v0, v3
	v_cndmask_b32_e32 v3, v1, v4, vcc
	v_lshlrev_b32_e32 v3, 2, v3
	ds_bpermute_b32 v3, v3, v0
	v_xor_b32_e32 v4, 4, v1
	v_cmp_lt_i32_e32 vcc, v4, v2
	s_waitcnt lgkmcnt(0)
	v_add_f32_e32 v0, v0, v3
	v_cndmask_b32_e32 v3, v1, v4, vcc
	v_lshlrev_b32_e32 v3, 2, v3
	ds_bpermute_b32 v3, v3, v0
	v_xor_b32_e32 v4, 2, v1
	;; [unrolled: 7-line block ×3, first 2 shown]
	v_cmp_lt_i32_e32 vcc, v4, v2
	s_waitcnt lgkmcnt(0)
	v_add_f32_e32 v0, v0, v3
	v_cndmask_b32_e32 v1, v1, v4, vcc
	v_lshlrev_b32_e32 v1, 2, v1
	ds_bpermute_b32 v1, v1, v0
	v_cmp_eq_u32_e32 vcc, 0, v18
	s_and_b64 exec, exec, vcc
	s_cbranch_execz .LBB274_7
; %bb.6:
	s_waitcnt lgkmcnt(0)
	v_add_f32_e32 v0, v0, v1
	v_cvt_f16_f32_e32 v2, v0
	s_mul_i32 s0, s8, s6
	v_add_u32_e32 v0, s0, v9
	v_mov_b32_e32 v1, 0
	v_lshl_add_u64 v[0:1], v[0:1], 1, s[2:3]
	global_store_short v[0:1], v2, off
.LBB274_7:
	s_endpgm
	.section	.rodata,"a",@progbits
	.p2align	6, 0x0
	.amdhsa_kernel _ZL9moe_vec_qIN3c104HalfELi256ELi8E11block_iq1_mLi1EXadL_ZL18vec_dot_iq1_m_q8_1PKvPK10block_q8_1RKiEEEvS4_S4_PT_PS8_iiii
		.amdhsa_group_segment_fixed_size 0
		.amdhsa_private_segment_fixed_size 0
		.amdhsa_kernarg_size 304
		.amdhsa_user_sgpr_count 2
		.amdhsa_user_sgpr_dispatch_ptr 0
		.amdhsa_user_sgpr_queue_ptr 0
		.amdhsa_user_sgpr_kernarg_segment_ptr 1
		.amdhsa_user_sgpr_dispatch_id 0
		.amdhsa_user_sgpr_kernarg_preload_length 0
		.amdhsa_user_sgpr_kernarg_preload_offset 0
		.amdhsa_user_sgpr_private_segment_size 0
		.amdhsa_uses_dynamic_stack 0
		.amdhsa_enable_private_segment 0
		.amdhsa_system_sgpr_workgroup_id_x 1
		.amdhsa_system_sgpr_workgroup_id_y 0
		.amdhsa_system_sgpr_workgroup_id_z 1
		.amdhsa_system_sgpr_workgroup_info 0
		.amdhsa_system_vgpr_workitem_id 1
		.amdhsa_next_free_vgpr 47
		.amdhsa_next_free_sgpr 22
		.amdhsa_accum_offset 48
		.amdhsa_reserve_vcc 1
		.amdhsa_float_round_mode_32 0
		.amdhsa_float_round_mode_16_64 0
		.amdhsa_float_denorm_mode_32 3
		.amdhsa_float_denorm_mode_16_64 3
		.amdhsa_dx10_clamp 1
		.amdhsa_ieee_mode 1
		.amdhsa_fp16_overflow 0
		.amdhsa_tg_split 0
		.amdhsa_exception_fp_ieee_invalid_op 0
		.amdhsa_exception_fp_denorm_src 0
		.amdhsa_exception_fp_ieee_div_zero 0
		.amdhsa_exception_fp_ieee_overflow 0
		.amdhsa_exception_fp_ieee_underflow 0
		.amdhsa_exception_fp_ieee_inexact 0
		.amdhsa_exception_int_div_zero 0
	.end_amdhsa_kernel
	.section	.text._ZL9moe_vec_qIN3c104HalfELi256ELi8E11block_iq1_mLi1EXadL_ZL18vec_dot_iq1_m_q8_1PKvPK10block_q8_1RKiEEEvS4_S4_PT_PS8_iiii,"axG",@progbits,_ZL9moe_vec_qIN3c104HalfELi256ELi8E11block_iq1_mLi1EXadL_ZL18vec_dot_iq1_m_q8_1PKvPK10block_q8_1RKiEEEvS4_S4_PT_PS8_iiii,comdat
.Lfunc_end274:
	.size	_ZL9moe_vec_qIN3c104HalfELi256ELi8E11block_iq1_mLi1EXadL_ZL18vec_dot_iq1_m_q8_1PKvPK10block_q8_1RKiEEEvS4_S4_PT_PS8_iiii, .Lfunc_end274-_ZL9moe_vec_qIN3c104HalfELi256ELi8E11block_iq1_mLi1EXadL_ZL18vec_dot_iq1_m_q8_1PKvPK10block_q8_1RKiEEEvS4_S4_PT_PS8_iiii
                                        ; -- End function
	.section	.AMDGPU.csdata,"",@progbits
; Kernel info:
; codeLenInByte = 1404
; NumSgprs: 28
; NumVgprs: 47
; NumAgprs: 0
; TotalNumVgprs: 47
; ScratchSize: 0
; MemoryBound: 0
; FloatMode: 240
; IeeeMode: 1
; LDSByteSize: 0 bytes/workgroup (compile time only)
; SGPRBlocks: 3
; VGPRBlocks: 5
; NumSGPRsForWavesPerEU: 28
; NumVGPRsForWavesPerEU: 47
; AccumOffset: 48
; Occupancy: 8
; WaveLimiterHint : 1
; COMPUTE_PGM_RSRC2:SCRATCH_EN: 0
; COMPUTE_PGM_RSRC2:USER_SGPR: 2
; COMPUTE_PGM_RSRC2:TRAP_HANDLER: 0
; COMPUTE_PGM_RSRC2:TGID_X_EN: 1
; COMPUTE_PGM_RSRC2:TGID_Y_EN: 0
; COMPUTE_PGM_RSRC2:TGID_Z_EN: 1
; COMPUTE_PGM_RSRC2:TIDIG_COMP_CNT: 1
; COMPUTE_PGM_RSRC3_GFX90A:ACCUM_OFFSET: 11
; COMPUTE_PGM_RSRC3_GFX90A:TG_SPLIT: 0
	.section	.text._ZL9moe_vec_qIN3c108BFloat16ELi32ELi4E10block_q4_0Li2EXadL_ZL17vec_dot_q4_0_q8_1PKvPK10block_q8_1RKiEEEvS4_S4_PT_PS8_iiii,"axG",@progbits,_ZL9moe_vec_qIN3c108BFloat16ELi32ELi4E10block_q4_0Li2EXadL_ZL17vec_dot_q4_0_q8_1PKvPK10block_q8_1RKiEEEvS4_S4_PT_PS8_iiii,comdat
	.globl	_ZL9moe_vec_qIN3c108BFloat16ELi32ELi4E10block_q4_0Li2EXadL_ZL17vec_dot_q4_0_q8_1PKvPK10block_q8_1RKiEEEvS4_S4_PT_PS8_iiii ; -- Begin function _ZL9moe_vec_qIN3c108BFloat16ELi32ELi4E10block_q4_0Li2EXadL_ZL17vec_dot_q4_0_q8_1PKvPK10block_q8_1RKiEEEvS4_S4_PT_PS8_iiii
	.p2align	8
	.type	_ZL9moe_vec_qIN3c108BFloat16ELi32ELi4E10block_q4_0Li2EXadL_ZL17vec_dot_q4_0_q8_1PKvPK10block_q8_1RKiEEEvS4_S4_PT_PS8_iiii,@function
_ZL9moe_vec_qIN3c108BFloat16ELi32ELi4E10block_q4_0Li2EXadL_ZL17vec_dot_q4_0_q8_1PKvPK10block_q8_1RKiEEEvS4_S4_PT_PS8_iiii: ; @_ZL9moe_vec_qIN3c108BFloat16ELi32ELi4E10block_q4_0Li2EXadL_ZL17vec_dot_q4_0_q8_1PKvPK10block_q8_1RKiEEEvS4_S4_PT_PS8_iiii
; %bb.0:
	s_mov_b32 s8, s3
	s_load_dword s3, s[0:1], 0x3c
	s_load_dwordx4 s[4:7], s[0:1], 0x20
	v_bfe_u32 v1, v0, 10, 10
	s_waitcnt lgkmcnt(0)
	s_lshr_b32 s3, s3, 16
	s_mul_i32 s2, s2, s3
	v_add_u32_e32 v4, s2, v1
	v_cmp_gt_u32_e32 vcc, s6, v4
	s_and_saveexec_b64 s[2:3], vcc
	s_cbranch_execz .LBB275_7
; %bb.1:
	v_cvt_f32_u32_e32 v1, s4
	v_and_b32_e32 v5, 0x3ff, v0
	s_load_dwordx2 s[2:3], s[0:1], 0x10
	s_ashr_i32 s9, s5, 31
	v_rcp_iflag_f32_e32 v1, v1
	s_lshr_b32 s9, s9, 27
	s_add_i32 s5, s5, s9
	v_lshrrev_b32_e32 v6, 1, v5
	v_mul_f32_e32 v0, 0x4f7ffffe, v1
	v_cvt_u32_f32_e32 v0, v0
	s_ashr_i32 s14, s5, 5
	v_cmp_gt_u32_e32 vcc, s14, v6
	v_mov_b32_e32 v7, 0
	v_readfirstlane_b32 s5, v0
	s_and_saveexec_b64 s[10:11], vcc
	s_cbranch_execz .LBB275_5
; %bb.2:
	s_sub_i32 s12, 0, s4
	s_mul_i32 s15, s12, s5
	s_load_dwordx4 s[16:19], s[0:1], 0x0
	s_load_dwordx2 s[12:13], s[0:1], 0x18
	s_mov_b32 s9, 0
	s_mul_hi_u32 s0, s5, s15
	s_add_i32 s5, s5, s0
	s_lshl_b64 s[0:1], s[8:9], 2
	s_waitcnt lgkmcnt(0)
	s_add_u32 s0, s12, s0
	s_mul_hi_u32 s5, s8, s5
	s_addc_u32 s1, s13, s1
	s_load_dword s0, s[0:1], 0x0
	s_mul_i32 s1, s5, s4
	s_sub_i32 s1, s8, s1
	s_add_i32 s12, s5, 1
	s_sub_i32 s13, s1, s4
	s_cmp_ge_u32 s1, s4
	s_cselect_b32 s5, s12, s5
	s_cselect_b32 s1, s13, s1
	s_add_i32 s12, s5, 1
	s_cmp_ge_u32 s1, s4
	s_mul_i32 s1, s14, s6
	s_waitcnt lgkmcnt(0)
	s_mul_i32 s0, s1, s0
	s_cselect_b32 s4, s12, s5
	s_mul_hi_i32 s1, s0, 18
	s_mul_i32 s0, s0, 18
	s_add_u32 s0, s16, s0
	s_mul_i32 s4, s4, s7
	s_mov_b32 s5, s9
	s_addc_u32 s1, s17, s1
	s_lshl_b64 s[4:5], s[4:5], 2
	s_add_u32 s4, s18, s4
	v_lshlrev_b32_e32 v0, 3, v5
	v_mov_b32_e32 v1, 0
	s_addc_u32 s5, s19, s5
	v_mul_lo_u32 v8, v4, s14
	v_and_b32_e32 v0, 8, v0
	s_mov_b64 s[12:13], 0
	v_mov_b32_e32 v3, 4.0
	v_mov_b32_e32 v7, v1
.LBB275_3:                              ; =>This Inner Loop Header: Depth=1
	v_add_u32_e32 v2, v8, v6
	v_mad_i64_i32 v[10:11], s[16:17], v6, 36, s[4:5]
	v_mad_i64_i32 v[12:13], s[16:17], v2, 18, s[0:1]
	v_lshl_add_u64 v[14:15], v[10:11], 0, v[0:1]
	v_lshl_add_u64 v[16:17], v[12:13], 0, v[0:1]
	global_load_dwordx2 v[18:19], v[14:15], off offset:4
	global_load_dwordx2 v[20:21], v[14:15], off offset:20
	global_load_dword v2, v[16:17], off offset:2
	global_load_dword v9, v[16:17], off offset:6
	global_load_dword v22, v[10:11], off
	global_load_ushort v23, v[12:13], off
	v_mov_b32_e32 v12, 0
	v_add_u32_e32 v6, 32, v6
	v_cmp_le_u32_e32 vcc, s14, v6
	s_or_b64 s[12:13], vcc, s[12:13]
	s_waitcnt vmcnt(3)
	v_and_b32_e32 v13, 0xf0f0f0f, v2
	v_lshrrev_b32_e32 v2, 4, v2
	v_and_b32_e32 v2, 0xf0f0f0f, v2
	v_dot4c_i32_i8_e32 v12, v13, v18
	s_waitcnt vmcnt(2)
	v_and_b32_e32 v14, 0xf0f0f0f, v9
	v_lshrrev_b32_e32 v9, 4, v9
	v_dot4c_i32_i8_e32 v12, v2, v20
	v_and_b32_e32 v9, 0xf0f0f0f, v9
	v_dot4c_i32_i8_e32 v12, v14, v19
	v_dot4c_i32_i8_e32 v12, v9, v21
	s_waitcnt vmcnt(1)
	v_cvt_f32_f16_e32 v10, v22
	v_cvt_f32_f16_sdwa v11, v22 dst_sel:DWORD dst_unused:UNUSED_PAD src0_sel:WORD_1
	v_cvt_f32_i32_e32 v2, v12
	v_pk_mul_f32 v[10:11], v[2:3], v[10:11]
	s_nop 0
	v_sub_f32_e32 v2, v10, v11
	s_waitcnt vmcnt(0)
	v_fma_mix_f32 v7, v2, v23, v7 op_sel_hi:[0,1,0]
	s_andn2_b64 exec, exec, s[12:13]
	s_cbranch_execnz .LBB275_3
; %bb.4:
	s_or_b64 exec, exec, s[12:13]
.LBB275_5:
	s_or_b64 exec, exec, s[10:11]
	v_mbcnt_lo_u32_b32 v0, -1, 0
	v_mbcnt_hi_u32_b32 v1, -1, v0
	v_and_b32_e32 v0, 64, v1
	v_add_u32_e32 v2, 64, v0
	v_xor_b32_e32 v0, 32, v1
	v_cmp_lt_i32_e32 vcc, v0, v2
	v_xor_b32_e32 v3, 16, v1
	v_xor_b32_e32 v6, 8, v1
	v_cndmask_b32_e32 v0, v1, v0, vcc
	v_lshlrev_b32_e32 v0, 2, v0
	ds_bpermute_b32 v0, v0, v7
	v_cmp_lt_i32_e32 vcc, v3, v2
	s_waitcnt lgkmcnt(0)
	v_add_f32_e32 v0, v7, v0
	v_cndmask_b32_e32 v3, v1, v3, vcc
	v_lshlrev_b32_e32 v3, 2, v3
	ds_bpermute_b32 v3, v3, v0
	v_cmp_lt_i32_e32 vcc, v6, v2
	s_waitcnt lgkmcnt(0)
	v_add_f32_e32 v0, v0, v3
	v_cndmask_b32_e32 v3, v1, v6, vcc
	v_lshlrev_b32_e32 v3, 2, v3
	ds_bpermute_b32 v3, v3, v0
	v_xor_b32_e32 v6, 4, v1
	v_cmp_lt_i32_e32 vcc, v6, v2
	s_waitcnt lgkmcnt(0)
	v_add_f32_e32 v0, v0, v3
	v_cndmask_b32_e32 v3, v1, v6, vcc
	v_lshlrev_b32_e32 v3, 2, v3
	ds_bpermute_b32 v3, v3, v0
	v_xor_b32_e32 v6, 2, v1
	;; [unrolled: 7-line block ×3, first 2 shown]
	v_cmp_lt_i32_e32 vcc, v6, v2
	s_waitcnt lgkmcnt(0)
	v_add_f32_e32 v0, v0, v3
	v_cndmask_b32_e32 v1, v1, v6, vcc
	v_lshlrev_b32_e32 v1, 2, v1
	ds_bpermute_b32 v1, v1, v0
	v_cmp_eq_u32_e32 vcc, 0, v5
	s_and_b64 exec, exec, vcc
	s_cbranch_execz .LBB275_7
; %bb.6:
	s_waitcnt lgkmcnt(0)
	v_add_f32_e32 v0, v0, v1
	v_bfe_u32 v1, v0, 16, 1
	s_movk_i32 s0, 0x7fff
	v_add3_u32 v1, v0, v1, s0
	v_lshrrev_b32_e32 v1, 16, v1
	v_mov_b32_e32 v2, 0x7fc0
	v_cmp_o_f32_e32 vcc, v0, v0
	s_mul_i32 s0, s8, s6
	v_add_u32_e32 v0, s0, v4
	v_cndmask_b32_e32 v2, v2, v1, vcc
	v_mov_b32_e32 v1, 0
	v_lshl_add_u64 v[0:1], v[0:1], 1, s[2:3]
	global_store_short v[0:1], v2, off
.LBB275_7:
	s_endpgm
	.section	.rodata,"a",@progbits
	.p2align	6, 0x0
	.amdhsa_kernel _ZL9moe_vec_qIN3c108BFloat16ELi32ELi4E10block_q4_0Li2EXadL_ZL17vec_dot_q4_0_q8_1PKvPK10block_q8_1RKiEEEvS4_S4_PT_PS8_iiii
		.amdhsa_group_segment_fixed_size 0
		.amdhsa_private_segment_fixed_size 0
		.amdhsa_kernarg_size 304
		.amdhsa_user_sgpr_count 2
		.amdhsa_user_sgpr_dispatch_ptr 0
		.amdhsa_user_sgpr_queue_ptr 0
		.amdhsa_user_sgpr_kernarg_segment_ptr 1
		.amdhsa_user_sgpr_dispatch_id 0
		.amdhsa_user_sgpr_kernarg_preload_length 0
		.amdhsa_user_sgpr_kernarg_preload_offset 0
		.amdhsa_user_sgpr_private_segment_size 0
		.amdhsa_uses_dynamic_stack 0
		.amdhsa_enable_private_segment 0
		.amdhsa_system_sgpr_workgroup_id_x 1
		.amdhsa_system_sgpr_workgroup_id_y 0
		.amdhsa_system_sgpr_workgroup_id_z 1
		.amdhsa_system_sgpr_workgroup_info 0
		.amdhsa_system_vgpr_workitem_id 1
		.amdhsa_next_free_vgpr 24
		.amdhsa_next_free_sgpr 20
		.amdhsa_accum_offset 24
		.amdhsa_reserve_vcc 1
		.amdhsa_float_round_mode_32 0
		.amdhsa_float_round_mode_16_64 0
		.amdhsa_float_denorm_mode_32 3
		.amdhsa_float_denorm_mode_16_64 3
		.amdhsa_dx10_clamp 1
		.amdhsa_ieee_mode 1
		.amdhsa_fp16_overflow 0
		.amdhsa_tg_split 0
		.amdhsa_exception_fp_ieee_invalid_op 0
		.amdhsa_exception_fp_denorm_src 0
		.amdhsa_exception_fp_ieee_div_zero 0
		.amdhsa_exception_fp_ieee_overflow 0
		.amdhsa_exception_fp_ieee_underflow 0
		.amdhsa_exception_fp_ieee_inexact 0
		.amdhsa_exception_int_div_zero 0
	.end_amdhsa_kernel
	.section	.text._ZL9moe_vec_qIN3c108BFloat16ELi32ELi4E10block_q4_0Li2EXadL_ZL17vec_dot_q4_0_q8_1PKvPK10block_q8_1RKiEEEvS4_S4_PT_PS8_iiii,"axG",@progbits,_ZL9moe_vec_qIN3c108BFloat16ELi32ELi4E10block_q4_0Li2EXadL_ZL17vec_dot_q4_0_q8_1PKvPK10block_q8_1RKiEEEvS4_S4_PT_PS8_iiii,comdat
.Lfunc_end275:
	.size	_ZL9moe_vec_qIN3c108BFloat16ELi32ELi4E10block_q4_0Li2EXadL_ZL17vec_dot_q4_0_q8_1PKvPK10block_q8_1RKiEEEvS4_S4_PT_PS8_iiii, .Lfunc_end275-_ZL9moe_vec_qIN3c108BFloat16ELi32ELi4E10block_q4_0Li2EXadL_ZL17vec_dot_q4_0_q8_1PKvPK10block_q8_1RKiEEEvS4_S4_PT_PS8_iiii
                                        ; -- End function
	.section	.AMDGPU.csdata,"",@progbits
; Kernel info:
; codeLenInByte = 844
; NumSgprs: 26
; NumVgprs: 24
; NumAgprs: 0
; TotalNumVgprs: 24
; ScratchSize: 0
; MemoryBound: 0
; FloatMode: 240
; IeeeMode: 1
; LDSByteSize: 0 bytes/workgroup (compile time only)
; SGPRBlocks: 3
; VGPRBlocks: 2
; NumSGPRsForWavesPerEU: 26
; NumVGPRsForWavesPerEU: 24
; AccumOffset: 24
; Occupancy: 8
; WaveLimiterHint : 1
; COMPUTE_PGM_RSRC2:SCRATCH_EN: 0
; COMPUTE_PGM_RSRC2:USER_SGPR: 2
; COMPUTE_PGM_RSRC2:TRAP_HANDLER: 0
; COMPUTE_PGM_RSRC2:TGID_X_EN: 1
; COMPUTE_PGM_RSRC2:TGID_Y_EN: 0
; COMPUTE_PGM_RSRC2:TGID_Z_EN: 1
; COMPUTE_PGM_RSRC2:TIDIG_COMP_CNT: 1
; COMPUTE_PGM_RSRC3_GFX90A:ACCUM_OFFSET: 5
; COMPUTE_PGM_RSRC3_GFX90A:TG_SPLIT: 0
	.section	.text._ZL9moe_vec_qIN3c108BFloat16ELi32ELi4E10block_q4_1Li2EXadL_ZL17vec_dot_q4_1_q8_1PKvPK10block_q8_1RKiEEEvS4_S4_PT_PS8_iiii,"axG",@progbits,_ZL9moe_vec_qIN3c108BFloat16ELi32ELi4E10block_q4_1Li2EXadL_ZL17vec_dot_q4_1_q8_1PKvPK10block_q8_1RKiEEEvS4_S4_PT_PS8_iiii,comdat
	.globl	_ZL9moe_vec_qIN3c108BFloat16ELi32ELi4E10block_q4_1Li2EXadL_ZL17vec_dot_q4_1_q8_1PKvPK10block_q8_1RKiEEEvS4_S4_PT_PS8_iiii ; -- Begin function _ZL9moe_vec_qIN3c108BFloat16ELi32ELi4E10block_q4_1Li2EXadL_ZL17vec_dot_q4_1_q8_1PKvPK10block_q8_1RKiEEEvS4_S4_PT_PS8_iiii
	.p2align	8
	.type	_ZL9moe_vec_qIN3c108BFloat16ELi32ELi4E10block_q4_1Li2EXadL_ZL17vec_dot_q4_1_q8_1PKvPK10block_q8_1RKiEEEvS4_S4_PT_PS8_iiii,@function
_ZL9moe_vec_qIN3c108BFloat16ELi32ELi4E10block_q4_1Li2EXadL_ZL17vec_dot_q4_1_q8_1PKvPK10block_q8_1RKiEEEvS4_S4_PT_PS8_iiii: ; @_ZL9moe_vec_qIN3c108BFloat16ELi32ELi4E10block_q4_1Li2EXadL_ZL17vec_dot_q4_1_q8_1PKvPK10block_q8_1RKiEEEvS4_S4_PT_PS8_iiii
; %bb.0:
	s_mov_b32 s8, s3
	s_load_dword s3, s[0:1], 0x3c
	s_load_dwordx4 s[4:7], s[0:1], 0x20
	v_bfe_u32 v1, v0, 10, 10
	s_waitcnt lgkmcnt(0)
	s_lshr_b32 s3, s3, 16
	s_mul_i32 s2, s2, s3
	v_add_u32_e32 v2, s2, v1
	v_cmp_gt_u32_e32 vcc, s6, v2
	s_and_saveexec_b64 s[2:3], vcc
	s_cbranch_execz .LBB276_7
; %bb.1:
	v_cvt_f32_u32_e32 v1, s4
	v_and_b32_e32 v3, 0x3ff, v0
	s_load_dwordx2 s[2:3], s[0:1], 0x10
	s_ashr_i32 s9, s5, 31
	v_rcp_iflag_f32_e32 v1, v1
	s_lshr_b32 s9, s9, 27
	s_add_i32 s5, s5, s9
	v_lshrrev_b32_e32 v4, 1, v3
	v_mul_f32_e32 v0, 0x4f7ffffe, v1
	v_cvt_u32_f32_e32 v0, v0
	s_ashr_i32 s14, s5, 5
	v_cmp_gt_u32_e32 vcc, s14, v4
	v_mov_b32_e32 v5, 0
	v_readfirstlane_b32 s5, v0
	s_and_saveexec_b64 s[10:11], vcc
	s_cbranch_execz .LBB276_5
; %bb.2:
	s_sub_i32 s12, 0, s4
	s_mul_i32 s15, s12, s5
	s_load_dwordx4 s[16:19], s[0:1], 0x0
	s_load_dwordx2 s[12:13], s[0:1], 0x18
	s_mov_b32 s9, 0
	s_mul_hi_u32 s0, s5, s15
	s_add_i32 s5, s5, s0
	s_lshl_b64 s[0:1], s[8:9], 2
	s_waitcnt lgkmcnt(0)
	s_add_u32 s0, s12, s0
	s_mul_hi_u32 s5, s8, s5
	s_addc_u32 s1, s13, s1
	s_load_dword s0, s[0:1], 0x0
	s_mul_i32 s1, s5, s4
	s_sub_i32 s1, s8, s1
	s_add_i32 s12, s5, 1
	s_sub_i32 s13, s1, s4
	s_cmp_ge_u32 s1, s4
	s_cselect_b32 s5, s12, s5
	s_cselect_b32 s1, s13, s1
	s_add_i32 s12, s5, 1
	s_cmp_ge_u32 s1, s4
	s_mul_i32 s1, s14, s6
	s_waitcnt lgkmcnt(0)
	s_mul_i32 s0, s1, s0
	s_cselect_b32 s4, s12, s5
	s_mul_hi_i32 s1, s0, 20
	s_mul_i32 s0, s0, 20
	s_add_u32 s0, s16, s0
	s_mul_i32 s4, s4, s7
	s_mov_b32 s5, s9
	s_addc_u32 s1, s17, s1
	s_lshl_b64 s[4:5], s[4:5], 2
	s_add_u32 s4, s18, s4
	v_lshlrev_b32_e32 v0, 3, v3
	v_mov_b32_e32 v1, 0
	s_addc_u32 s5, s19, s5
	v_mul_lo_u32 v6, v2, s14
	v_and_b32_e32 v0, 8, v0
	s_mov_b64 s[12:13], 0
	s_mov_b32 s7, 0.5
	v_mov_b32_e32 v5, v1
.LBB276_3:                              ; =>This Inner Loop Header: Depth=1
	v_add_u32_e32 v7, v6, v4
	v_mad_i64_i32 v[8:9], s[16:17], v4, 36, s[4:5]
	v_mad_i64_i32 v[10:11], s[16:17], v7, 20, s[0:1]
	v_lshl_add_u64 v[12:13], v[8:9], 0, v[0:1]
	global_load_dword v7, v[8:9], off
	v_lshl_add_u64 v[8:9], v[10:11], 0, v[0:1]
	global_load_dwordx2 v[14:15], v[12:13], off offset:4
	global_load_dwordx2 v[16:17], v[12:13], off offset:20
	;; [unrolled: 1-line block ×3, first 2 shown]
	global_load_dword v20, v[10:11], off
	v_mov_b32_e32 v8, 0
	v_add_u32_e32 v4, 32, v4
	v_cmp_le_u32_e32 vcc, s14, v4
	s_or_b64 s[12:13], vcc, s[12:13]
	s_waitcnt vmcnt(1)
	v_and_b32_e32 v9, 0xf0f0f0f, v18
	v_lshrrev_b32_e32 v10, 4, v18
	v_and_b32_e32 v10, 0xf0f0f0f, v10
	v_dot4c_i32_i8_e32 v8, v9, v14
	v_and_b32_e32 v11, 0xf0f0f0f, v19
	v_lshrrev_b32_e32 v12, 4, v19
	v_dot4c_i32_i8_e32 v8, v10, v16
	v_and_b32_e32 v9, 0xf0f0f0f, v12
	v_dot4c_i32_i8_e32 v8, v11, v15
	s_waitcnt vmcnt(0)
	v_pk_mul_f16 v7, v20, v7
	v_dot4c_i32_i8_e32 v8, v9, v17
	v_cvt_f32_f16_e32 v13, v7
	s_nop 1
	v_cvt_f32_i32_e32 v8, v8
	v_mul_f32_e32 v8, v8, v13
	v_fma_mix_f32 v7, v7, s7, v8 op_sel:[1,0,0] op_sel_hi:[1,0,0]
	s_nop 0
	v_add_f32_e32 v5, v5, v7
	s_andn2_b64 exec, exec, s[12:13]
	s_cbranch_execnz .LBB276_3
; %bb.4:
	s_or_b64 exec, exec, s[12:13]
.LBB276_5:
	s_or_b64 exec, exec, s[10:11]
	v_mbcnt_lo_u32_b32 v0, -1, 0
	v_mbcnt_hi_u32_b32 v1, -1, v0
	v_and_b32_e32 v0, 64, v1
	v_add_u32_e32 v4, 64, v0
	v_xor_b32_e32 v0, 32, v1
	v_cmp_lt_i32_e32 vcc, v0, v4
	v_xor_b32_e32 v6, 16, v1
	s_nop 0
	v_cndmask_b32_e32 v0, v1, v0, vcc
	v_lshlrev_b32_e32 v0, 2, v0
	ds_bpermute_b32 v0, v0, v5
	v_cmp_lt_i32_e32 vcc, v6, v4
	s_waitcnt lgkmcnt(0)
	v_add_f32_e32 v0, v5, v0
	v_cndmask_b32_e32 v5, v1, v6, vcc
	v_lshlrev_b32_e32 v5, 2, v5
	ds_bpermute_b32 v5, v5, v0
	v_xor_b32_e32 v6, 8, v1
	v_cmp_lt_i32_e32 vcc, v6, v4
	s_waitcnt lgkmcnt(0)
	v_add_f32_e32 v0, v0, v5
	v_cndmask_b32_e32 v5, v1, v6, vcc
	v_lshlrev_b32_e32 v5, 2, v5
	ds_bpermute_b32 v5, v5, v0
	v_xor_b32_e32 v6, 4, v1
	;; [unrolled: 7-line block ×4, first 2 shown]
	v_cmp_lt_i32_e32 vcc, v6, v4
	s_waitcnt lgkmcnt(0)
	v_add_f32_e32 v0, v0, v5
	v_cndmask_b32_e32 v1, v1, v6, vcc
	v_lshlrev_b32_e32 v1, 2, v1
	ds_bpermute_b32 v1, v1, v0
	v_cmp_eq_u32_e32 vcc, 0, v3
	s_and_b64 exec, exec, vcc
	s_cbranch_execz .LBB276_7
; %bb.6:
	s_waitcnt lgkmcnt(0)
	v_add_f32_e32 v0, v0, v1
	v_bfe_u32 v1, v0, 16, 1
	s_movk_i32 s0, 0x7fff
	v_add3_u32 v1, v0, v1, s0
	v_lshrrev_b32_e32 v1, 16, v1
	v_mov_b32_e32 v3, 0x7fc0
	v_cmp_o_f32_e32 vcc, v0, v0
	s_mul_i32 s0, s8, s6
	v_add_u32_e32 v0, s0, v2
	v_cndmask_b32_e32 v3, v3, v1, vcc
	v_mov_b32_e32 v1, 0
	v_lshl_add_u64 v[0:1], v[0:1], 1, s[2:3]
	global_store_short v[0:1], v3, off
.LBB276_7:
	s_endpgm
	.section	.rodata,"a",@progbits
	.p2align	6, 0x0
	.amdhsa_kernel _ZL9moe_vec_qIN3c108BFloat16ELi32ELi4E10block_q4_1Li2EXadL_ZL17vec_dot_q4_1_q8_1PKvPK10block_q8_1RKiEEEvS4_S4_PT_PS8_iiii
		.amdhsa_group_segment_fixed_size 0
		.amdhsa_private_segment_fixed_size 0
		.amdhsa_kernarg_size 304
		.amdhsa_user_sgpr_count 2
		.amdhsa_user_sgpr_dispatch_ptr 0
		.amdhsa_user_sgpr_queue_ptr 0
		.amdhsa_user_sgpr_kernarg_segment_ptr 1
		.amdhsa_user_sgpr_dispatch_id 0
		.amdhsa_user_sgpr_kernarg_preload_length 0
		.amdhsa_user_sgpr_kernarg_preload_offset 0
		.amdhsa_user_sgpr_private_segment_size 0
		.amdhsa_uses_dynamic_stack 0
		.amdhsa_enable_private_segment 0
		.amdhsa_system_sgpr_workgroup_id_x 1
		.amdhsa_system_sgpr_workgroup_id_y 0
		.amdhsa_system_sgpr_workgroup_id_z 1
		.amdhsa_system_sgpr_workgroup_info 0
		.amdhsa_system_vgpr_workitem_id 1
		.amdhsa_next_free_vgpr 21
		.amdhsa_next_free_sgpr 20
		.amdhsa_accum_offset 24
		.amdhsa_reserve_vcc 1
		.amdhsa_float_round_mode_32 0
		.amdhsa_float_round_mode_16_64 0
		.amdhsa_float_denorm_mode_32 3
		.amdhsa_float_denorm_mode_16_64 3
		.amdhsa_dx10_clamp 1
		.amdhsa_ieee_mode 1
		.amdhsa_fp16_overflow 0
		.amdhsa_tg_split 0
		.amdhsa_exception_fp_ieee_invalid_op 0
		.amdhsa_exception_fp_denorm_src 0
		.amdhsa_exception_fp_ieee_div_zero 0
		.amdhsa_exception_fp_ieee_overflow 0
		.amdhsa_exception_fp_ieee_underflow 0
		.amdhsa_exception_fp_ieee_inexact 0
		.amdhsa_exception_int_div_zero 0
	.end_amdhsa_kernel
	.section	.text._ZL9moe_vec_qIN3c108BFloat16ELi32ELi4E10block_q4_1Li2EXadL_ZL17vec_dot_q4_1_q8_1PKvPK10block_q8_1RKiEEEvS4_S4_PT_PS8_iiii,"axG",@progbits,_ZL9moe_vec_qIN3c108BFloat16ELi32ELi4E10block_q4_1Li2EXadL_ZL17vec_dot_q4_1_q8_1PKvPK10block_q8_1RKiEEEvS4_S4_PT_PS8_iiii,comdat
.Lfunc_end276:
	.size	_ZL9moe_vec_qIN3c108BFloat16ELi32ELi4E10block_q4_1Li2EXadL_ZL17vec_dot_q4_1_q8_1PKvPK10block_q8_1RKiEEEvS4_S4_PT_PS8_iiii, .Lfunc_end276-_ZL9moe_vec_qIN3c108BFloat16ELi32ELi4E10block_q4_1Li2EXadL_ZL17vec_dot_q4_1_q8_1PKvPK10block_q8_1RKiEEEvS4_S4_PT_PS8_iiii
                                        ; -- End function
	.section	.AMDGPU.csdata,"",@progbits
; Kernel info:
; codeLenInByte = 832
; NumSgprs: 26
; NumVgprs: 21
; NumAgprs: 0
; TotalNumVgprs: 21
; ScratchSize: 0
; MemoryBound: 0
; FloatMode: 240
; IeeeMode: 1
; LDSByteSize: 0 bytes/workgroup (compile time only)
; SGPRBlocks: 3
; VGPRBlocks: 2
; NumSGPRsForWavesPerEU: 26
; NumVGPRsForWavesPerEU: 21
; AccumOffset: 24
; Occupancy: 8
; WaveLimiterHint : 1
; COMPUTE_PGM_RSRC2:SCRATCH_EN: 0
; COMPUTE_PGM_RSRC2:USER_SGPR: 2
; COMPUTE_PGM_RSRC2:TRAP_HANDLER: 0
; COMPUTE_PGM_RSRC2:TGID_X_EN: 1
; COMPUTE_PGM_RSRC2:TGID_Y_EN: 0
; COMPUTE_PGM_RSRC2:TGID_Z_EN: 1
; COMPUTE_PGM_RSRC2:TIDIG_COMP_CNT: 1
; COMPUTE_PGM_RSRC3_GFX90A:ACCUM_OFFSET: 5
; COMPUTE_PGM_RSRC3_GFX90A:TG_SPLIT: 0
	.section	.text._ZL9moe_vec_qIN3c108BFloat16ELi32ELi4E10block_q5_0Li2EXadL_ZL17vec_dot_q5_0_q8_1PKvPK10block_q8_1RKiEEEvS4_S4_PT_PS8_iiii,"axG",@progbits,_ZL9moe_vec_qIN3c108BFloat16ELi32ELi4E10block_q5_0Li2EXadL_ZL17vec_dot_q5_0_q8_1PKvPK10block_q8_1RKiEEEvS4_S4_PT_PS8_iiii,comdat
	.globl	_ZL9moe_vec_qIN3c108BFloat16ELi32ELi4E10block_q5_0Li2EXadL_ZL17vec_dot_q5_0_q8_1PKvPK10block_q8_1RKiEEEvS4_S4_PT_PS8_iiii ; -- Begin function _ZL9moe_vec_qIN3c108BFloat16ELi32ELi4E10block_q5_0Li2EXadL_ZL17vec_dot_q5_0_q8_1PKvPK10block_q8_1RKiEEEvS4_S4_PT_PS8_iiii
	.p2align	8
	.type	_ZL9moe_vec_qIN3c108BFloat16ELi32ELi4E10block_q5_0Li2EXadL_ZL17vec_dot_q5_0_q8_1PKvPK10block_q8_1RKiEEEvS4_S4_PT_PS8_iiii,@function
_ZL9moe_vec_qIN3c108BFloat16ELi32ELi4E10block_q5_0Li2EXadL_ZL17vec_dot_q5_0_q8_1PKvPK10block_q8_1RKiEEEvS4_S4_PT_PS8_iiii: ; @_ZL9moe_vec_qIN3c108BFloat16ELi32ELi4E10block_q5_0Li2EXadL_ZL17vec_dot_q5_0_q8_1PKvPK10block_q8_1RKiEEEvS4_S4_PT_PS8_iiii
; %bb.0:
	s_mov_b32 s8, s3
	s_load_dword s3, s[0:1], 0x3c
	s_load_dwordx4 s[4:7], s[0:1], 0x20
	v_bfe_u32 v1, v0, 10, 10
	s_waitcnt lgkmcnt(0)
	s_lshr_b32 s3, s3, 16
	s_mul_i32 s2, s2, s3
	v_add_u32_e32 v4, s2, v1
	v_cmp_gt_u32_e32 vcc, s6, v4
	s_and_saveexec_b64 s[2:3], vcc
	s_cbranch_execz .LBB277_7
; %bb.1:
	v_cvt_f32_u32_e32 v1, s4
	v_and_b32_e32 v5, 0x3ff, v0
	s_load_dwordx2 s[2:3], s[0:1], 0x10
	s_ashr_i32 s9, s5, 31
	v_rcp_iflag_f32_e32 v1, v1
	s_lshr_b32 s9, s9, 27
	s_add_i32 s5, s5, s9
	v_lshrrev_b32_e32 v6, 1, v5
	v_mul_f32_e32 v0, 0x4f7ffffe, v1
	v_cvt_u32_f32_e32 v0, v0
	s_ashr_i32 s14, s5, 5
	v_cmp_gt_u32_e32 vcc, s14, v6
	v_mov_b32_e32 v7, 0
	v_readfirstlane_b32 s5, v0
	s_and_saveexec_b64 s[10:11], vcc
	s_cbranch_execz .LBB277_5
; %bb.2:
	s_sub_i32 s12, 0, s4
	s_mul_i32 s15, s12, s5
	s_load_dwordx4 s[16:19], s[0:1], 0x0
	s_load_dwordx2 s[12:13], s[0:1], 0x18
	s_mov_b32 s9, 0
	s_mul_hi_u32 s0, s5, s15
	s_add_i32 s5, s5, s0
	s_lshl_b64 s[0:1], s[8:9], 2
	s_waitcnt lgkmcnt(0)
	s_add_u32 s0, s12, s0
	s_mul_hi_u32 s5, s8, s5
	s_addc_u32 s1, s13, s1
	s_load_dword s0, s[0:1], 0x0
	s_mul_i32 s1, s5, s4
	s_sub_i32 s1, s8, s1
	s_add_i32 s12, s5, 1
	s_sub_i32 s13, s1, s4
	s_cmp_ge_u32 s1, s4
	s_cselect_b32 s5, s12, s5
	s_cselect_b32 s1, s13, s1
	s_add_i32 s12, s5, 1
	s_cmp_ge_u32 s1, s4
	s_mul_i32 s1, s14, s6
	s_waitcnt lgkmcnt(0)
	s_mul_i32 s0, s1, s0
	s_cselect_b32 s4, s12, s5
	s_mul_hi_i32 s1, s0, 22
	s_mul_i32 s0, s0, 22
	s_add_u32 s0, s16, s0
	s_mul_i32 s4, s4, s7
	s_mov_b32 s5, s9
	s_addc_u32 s1, s17, s1
	s_lshl_b64 s[4:5], s[4:5], 2
	v_lshlrev_b32_e32 v0, 3, v5
	s_add_u32 s4, s18, s4
	v_and_b32_e32 v0, 8, v0
	v_mov_b32_e32 v1, 0
	s_addc_u32 s5, s19, s5
	v_mul_lo_u32 v8, v4, s14
	v_or_b32_e32 v9, 4, v0
	s_mov_b64 s[12:13], 0
	s_mov_b32 s7, 0x1000706
	v_mov_b32_e32 v3, 0x41000000
	v_mov_b32_e32 v7, v1
.LBB277_3:                              ; =>This Inner Loop Header: Depth=1
	v_add_u32_e32 v2, v8, v6
	v_mad_i64_i32 v[12:13], s[16:17], v2, 22, s[0:1]
	v_mad_i64_i32 v[10:11], s[16:17], v6, 36, s[4:5]
	global_load_dword v20, v[12:13], off
	global_load_ushort v2, v[12:13], off offset:4
	v_lshl_add_u64 v[14:15], v[10:11], 0, v[0:1]
	v_lshl_add_u64 v[12:13], v[12:13], 0, v[0:1]
	global_load_dwordx2 v[16:17], v[14:15], off offset:4
	global_load_dwordx2 v[18:19], v[14:15], off offset:20
	global_load_dword v21, v[12:13], off offset:6
	global_load_dword v22, v[12:13], off offset:10
	global_load_dword v23, v[10:11], off
	v_mov_b32_e32 v12, 0
	v_add_u32_e32 v6, 32, v6
	v_cmp_le_u32_e32 vcc, s14, v6
	s_or_b64 s[12:13], vcc, s[12:13]
	s_waitcnt vmcnt(5)
	v_perm_b32 v2, v20, v2, s7
	v_ashrrev_i32_e32 v13, v0, v2
	v_lshlrev_b32_e32 v24, 11, v13
	s_waitcnt vmcnt(0)
	v_cvt_f32_f16_e32 v10, v23
	v_cvt_f32_f16_sdwa v11, v23 dst_sel:DWORD dst_unused:UNUSED_PAD src0_sel:WORD_1
	v_lshlrev_b32_e32 v23, 4, v13
	v_ashrrev_i32_e32 v2, v9, v2
	v_and_b32_e32 v14, 0xf0f0f0f, v21
	v_lshlrev_b32_e32 v25, 18, v13
	v_lshlrev_b32_e32 v26, 25, v13
	v_lshrrev_b32_e32 v27, 12, v13
	v_lshrrev_b32_e32 v28, 5, v13
	v_lshlrev_b32_e32 v29, 2, v13
	v_and_b32_e32 v23, 16, v23
	v_and_b32_e32 v24, 0x1000, v24
	v_lshrrev_b32_e32 v15, 4, v21
	v_lshlrev_b32_e32 v13, 9, v13
	v_lshlrev_b32_e32 v30, 4, v2
	;; [unrolled: 1-line block ×4, first 2 shown]
	v_and_b32_e32 v25, 0x100000, v25
	v_and_b32_e32 v26, 0x10000000, v26
	;; [unrolled: 1-line block ×5, first 2 shown]
	v_or3_b32 v14, v23, v14, v24
	v_and_b32_e32 v15, 0xf0f0f0f, v15
	v_lshlrev_b32_e32 v33, 25, v2
	v_lshrrev_b32_e32 v34, 12, v2
	v_lshrrev_b32_e32 v35, 5, v2
	v_lshlrev_b32_e32 v36, 2, v2
	v_and_b32_e32 v13, 0x10000000, v13
	v_and_b32_e32 v30, 16, v30
	;; [unrolled: 1-line block ×4, first 2 shown]
	v_or3_b32 v23, v28, v27, v29
	v_or3_b32 v14, v14, v25, v26
	v_and_b32_e32 v21, 0xf0f0f0f, v22
	v_lshrrev_b32_e32 v22, 4, v22
	v_lshlrev_b32_e32 v2, 9, v2
	v_and_b32_e32 v33, 0x10000000, v33
	v_and_b32_e32 v34, 16, v34
	;; [unrolled: 1-line block ×4, first 2 shown]
	v_or3_b32 v24, v31, v30, v32
	v_or3_b32 v13, v23, v13, v15
	v_dot4c_i32_i8_e32 v12, v14, v16
	v_and_b32_e32 v22, 0xf0f0f0f, v22
	v_and_b32_e32 v2, 0x10000000, v2
	v_or3_b32 v27, v35, v34, v36
	v_or3_b32 v15, v24, v33, v21
	v_dot4c_i32_i8_e32 v12, v13, v18
	v_or3_b32 v2, v27, v2, v22
	v_dot4c_i32_i8_e32 v12, v15, v17
	v_dot4c_i32_i8_e32 v12, v2, v19
	s_nop 2
	v_cvt_f32_i32_e32 v2, v12
	v_pk_mul_f32 v[10:11], v[2:3], v[10:11]
	s_nop 0
	v_sub_f32_e32 v2, v10, v11
	v_fma_mix_f32 v7, v2, v20, v7 op_sel_hi:[0,1,0]
	s_andn2_b64 exec, exec, s[12:13]
	s_cbranch_execnz .LBB277_3
; %bb.4:
	s_or_b64 exec, exec, s[12:13]
.LBB277_5:
	s_or_b64 exec, exec, s[10:11]
	v_mbcnt_lo_u32_b32 v0, -1, 0
	v_mbcnt_hi_u32_b32 v1, -1, v0
	v_and_b32_e32 v0, 64, v1
	v_add_u32_e32 v2, 64, v0
	v_xor_b32_e32 v0, 32, v1
	v_cmp_lt_i32_e32 vcc, v0, v2
	v_xor_b32_e32 v3, 16, v1
	v_xor_b32_e32 v6, 8, v1
	v_cndmask_b32_e32 v0, v1, v0, vcc
	v_lshlrev_b32_e32 v0, 2, v0
	ds_bpermute_b32 v0, v0, v7
	v_cmp_lt_i32_e32 vcc, v3, v2
	s_waitcnt lgkmcnt(0)
	v_add_f32_e32 v0, v7, v0
	v_cndmask_b32_e32 v3, v1, v3, vcc
	v_lshlrev_b32_e32 v3, 2, v3
	ds_bpermute_b32 v3, v3, v0
	v_cmp_lt_i32_e32 vcc, v6, v2
	s_waitcnt lgkmcnt(0)
	v_add_f32_e32 v0, v0, v3
	v_cndmask_b32_e32 v3, v1, v6, vcc
	v_lshlrev_b32_e32 v3, 2, v3
	ds_bpermute_b32 v3, v3, v0
	v_xor_b32_e32 v6, 4, v1
	v_cmp_lt_i32_e32 vcc, v6, v2
	s_waitcnt lgkmcnt(0)
	v_add_f32_e32 v0, v0, v3
	v_cndmask_b32_e32 v3, v1, v6, vcc
	v_lshlrev_b32_e32 v3, 2, v3
	ds_bpermute_b32 v3, v3, v0
	v_xor_b32_e32 v6, 2, v1
	v_cmp_lt_i32_e32 vcc, v6, v2
	s_waitcnt lgkmcnt(0)
	v_add_f32_e32 v0, v0, v3
	v_cndmask_b32_e32 v3, v1, v6, vcc
	v_lshlrev_b32_e32 v3, 2, v3
	ds_bpermute_b32 v3, v3, v0
	v_xor_b32_e32 v6, 1, v1
	v_cmp_lt_i32_e32 vcc, v6, v2
	s_waitcnt lgkmcnt(0)
	v_add_f32_e32 v0, v0, v3
	v_cndmask_b32_e32 v1, v1, v6, vcc
	v_lshlrev_b32_e32 v1, 2, v1
	ds_bpermute_b32 v1, v1, v0
	v_cmp_eq_u32_e32 vcc, 0, v5
	s_and_b64 exec, exec, vcc
	s_cbranch_execz .LBB277_7
; %bb.6:
	s_waitcnt lgkmcnt(0)
	v_add_f32_e32 v0, v0, v1
	v_bfe_u32 v1, v0, 16, 1
	s_movk_i32 s0, 0x7fff
	v_add3_u32 v1, v0, v1, s0
	v_lshrrev_b32_e32 v1, 16, v1
	v_mov_b32_e32 v2, 0x7fc0
	v_cmp_o_f32_e32 vcc, v0, v0
	s_mul_i32 s0, s8, s6
	v_add_u32_e32 v0, s0, v4
	v_cndmask_b32_e32 v2, v2, v1, vcc
	v_mov_b32_e32 v1, 0
	v_lshl_add_u64 v[0:1], v[0:1], 1, s[2:3]
	global_store_short v[0:1], v2, off
.LBB277_7:
	s_endpgm
	.section	.rodata,"a",@progbits
	.p2align	6, 0x0
	.amdhsa_kernel _ZL9moe_vec_qIN3c108BFloat16ELi32ELi4E10block_q5_0Li2EXadL_ZL17vec_dot_q5_0_q8_1PKvPK10block_q8_1RKiEEEvS4_S4_PT_PS8_iiii
		.amdhsa_group_segment_fixed_size 0
		.amdhsa_private_segment_fixed_size 0
		.amdhsa_kernarg_size 304
		.amdhsa_user_sgpr_count 2
		.amdhsa_user_sgpr_dispatch_ptr 0
		.amdhsa_user_sgpr_queue_ptr 0
		.amdhsa_user_sgpr_kernarg_segment_ptr 1
		.amdhsa_user_sgpr_dispatch_id 0
		.amdhsa_user_sgpr_kernarg_preload_length 0
		.amdhsa_user_sgpr_kernarg_preload_offset 0
		.amdhsa_user_sgpr_private_segment_size 0
		.amdhsa_uses_dynamic_stack 0
		.amdhsa_enable_private_segment 0
		.amdhsa_system_sgpr_workgroup_id_x 1
		.amdhsa_system_sgpr_workgroup_id_y 0
		.amdhsa_system_sgpr_workgroup_id_z 1
		.amdhsa_system_sgpr_workgroup_info 0
		.amdhsa_system_vgpr_workitem_id 1
		.amdhsa_next_free_vgpr 37
		.amdhsa_next_free_sgpr 20
		.amdhsa_accum_offset 40
		.amdhsa_reserve_vcc 1
		.amdhsa_float_round_mode_32 0
		.amdhsa_float_round_mode_16_64 0
		.amdhsa_float_denorm_mode_32 3
		.amdhsa_float_denorm_mode_16_64 3
		.amdhsa_dx10_clamp 1
		.amdhsa_ieee_mode 1
		.amdhsa_fp16_overflow 0
		.amdhsa_tg_split 0
		.amdhsa_exception_fp_ieee_invalid_op 0
		.amdhsa_exception_fp_denorm_src 0
		.amdhsa_exception_fp_ieee_div_zero 0
		.amdhsa_exception_fp_ieee_overflow 0
		.amdhsa_exception_fp_ieee_underflow 0
		.amdhsa_exception_fp_ieee_inexact 0
		.amdhsa_exception_int_div_zero 0
	.end_amdhsa_kernel
	.section	.text._ZL9moe_vec_qIN3c108BFloat16ELi32ELi4E10block_q5_0Li2EXadL_ZL17vec_dot_q5_0_q8_1PKvPK10block_q8_1RKiEEEvS4_S4_PT_PS8_iiii,"axG",@progbits,_ZL9moe_vec_qIN3c108BFloat16ELi32ELi4E10block_q5_0Li2EXadL_ZL17vec_dot_q5_0_q8_1PKvPK10block_q8_1RKiEEEvS4_S4_PT_PS8_iiii,comdat
.Lfunc_end277:
	.size	_ZL9moe_vec_qIN3c108BFloat16ELi32ELi4E10block_q5_0Li2EXadL_ZL17vec_dot_q5_0_q8_1PKvPK10block_q8_1RKiEEEvS4_S4_PT_PS8_iiii, .Lfunc_end277-_ZL9moe_vec_qIN3c108BFloat16ELi32ELi4E10block_q5_0Li2EXadL_ZL17vec_dot_q5_0_q8_1PKvPK10block_q8_1RKiEEEvS4_S4_PT_PS8_iiii
                                        ; -- End function
	.section	.AMDGPU.csdata,"",@progbits
; Kernel info:
; codeLenInByte = 1120
; NumSgprs: 26
; NumVgprs: 37
; NumAgprs: 0
; TotalNumVgprs: 37
; ScratchSize: 0
; MemoryBound: 0
; FloatMode: 240
; IeeeMode: 1
; LDSByteSize: 0 bytes/workgroup (compile time only)
; SGPRBlocks: 3
; VGPRBlocks: 4
; NumSGPRsForWavesPerEU: 26
; NumVGPRsForWavesPerEU: 37
; AccumOffset: 40
; Occupancy: 8
; WaveLimiterHint : 1
; COMPUTE_PGM_RSRC2:SCRATCH_EN: 0
; COMPUTE_PGM_RSRC2:USER_SGPR: 2
; COMPUTE_PGM_RSRC2:TRAP_HANDLER: 0
; COMPUTE_PGM_RSRC2:TGID_X_EN: 1
; COMPUTE_PGM_RSRC2:TGID_Y_EN: 0
; COMPUTE_PGM_RSRC2:TGID_Z_EN: 1
; COMPUTE_PGM_RSRC2:TIDIG_COMP_CNT: 1
; COMPUTE_PGM_RSRC3_GFX90A:ACCUM_OFFSET: 9
; COMPUTE_PGM_RSRC3_GFX90A:TG_SPLIT: 0
	.section	.text._ZL9moe_vec_qIN3c108BFloat16ELi32ELi4E10block_q5_1Li2EXadL_ZL17vec_dot_q5_1_q8_1PKvPK10block_q8_1RKiEEEvS4_S4_PT_PS8_iiii,"axG",@progbits,_ZL9moe_vec_qIN3c108BFloat16ELi32ELi4E10block_q5_1Li2EXadL_ZL17vec_dot_q5_1_q8_1PKvPK10block_q8_1RKiEEEvS4_S4_PT_PS8_iiii,comdat
	.globl	_ZL9moe_vec_qIN3c108BFloat16ELi32ELi4E10block_q5_1Li2EXadL_ZL17vec_dot_q5_1_q8_1PKvPK10block_q8_1RKiEEEvS4_S4_PT_PS8_iiii ; -- Begin function _ZL9moe_vec_qIN3c108BFloat16ELi32ELi4E10block_q5_1Li2EXadL_ZL17vec_dot_q5_1_q8_1PKvPK10block_q8_1RKiEEEvS4_S4_PT_PS8_iiii
	.p2align	8
	.type	_ZL9moe_vec_qIN3c108BFloat16ELi32ELi4E10block_q5_1Li2EXadL_ZL17vec_dot_q5_1_q8_1PKvPK10block_q8_1RKiEEEvS4_S4_PT_PS8_iiii,@function
_ZL9moe_vec_qIN3c108BFloat16ELi32ELi4E10block_q5_1Li2EXadL_ZL17vec_dot_q5_1_q8_1PKvPK10block_q8_1RKiEEEvS4_S4_PT_PS8_iiii: ; @_ZL9moe_vec_qIN3c108BFloat16ELi32ELi4E10block_q5_1Li2EXadL_ZL17vec_dot_q5_1_q8_1PKvPK10block_q8_1RKiEEEvS4_S4_PT_PS8_iiii
; %bb.0:
	s_mov_b32 s8, s3
	s_load_dword s3, s[0:1], 0x3c
	s_load_dwordx4 s[4:7], s[0:1], 0x20
	v_bfe_u32 v1, v0, 10, 10
	s_waitcnt lgkmcnt(0)
	s_lshr_b32 s3, s3, 16
	s_mul_i32 s2, s2, s3
	v_add_u32_e32 v2, s2, v1
	v_cmp_gt_u32_e32 vcc, s6, v2
	s_and_saveexec_b64 s[2:3], vcc
	s_cbranch_execz .LBB278_7
; %bb.1:
	v_cvt_f32_u32_e32 v1, s4
	v_and_b32_e32 v3, 0x3ff, v0
	s_load_dwordx2 s[2:3], s[0:1], 0x10
	s_ashr_i32 s9, s5, 31
	v_rcp_iflag_f32_e32 v1, v1
	s_lshr_b32 s9, s9, 27
	s_add_i32 s5, s5, s9
	v_lshrrev_b32_e32 v4, 1, v3
	v_mul_f32_e32 v0, 0x4f7ffffe, v1
	v_cvt_u32_f32_e32 v0, v0
	s_ashr_i32 s14, s5, 5
	v_cmp_gt_u32_e32 vcc, s14, v4
	v_mov_b32_e32 v5, 0
	v_readfirstlane_b32 s5, v0
	s_and_saveexec_b64 s[10:11], vcc
	s_cbranch_execz .LBB278_5
; %bb.2:
	s_sub_i32 s12, 0, s4
	s_mul_i32 s15, s12, s5
	s_load_dwordx4 s[16:19], s[0:1], 0x0
	s_load_dwordx2 s[12:13], s[0:1], 0x18
	s_mov_b32 s9, 0
	s_mul_hi_u32 s0, s5, s15
	s_add_i32 s5, s5, s0
	s_lshl_b64 s[0:1], s[8:9], 2
	s_waitcnt lgkmcnt(0)
	s_add_u32 s0, s12, s0
	s_mul_hi_u32 s5, s8, s5
	s_addc_u32 s1, s13, s1
	s_load_dword s0, s[0:1], 0x0
	s_mul_i32 s1, s5, s4
	s_sub_i32 s1, s8, s1
	s_add_i32 s12, s5, 1
	s_sub_i32 s13, s1, s4
	s_cmp_ge_u32 s1, s4
	s_cselect_b32 s5, s12, s5
	s_cselect_b32 s1, s13, s1
	s_add_i32 s12, s5, 1
	s_cmp_ge_u32 s1, s4
	s_mul_i32 s1, s14, s6
	s_waitcnt lgkmcnt(0)
	s_mul_i32 s0, s1, s0
	s_cselect_b32 s4, s12, s5
	s_mul_hi_i32 s1, s0, 24
	s_mul_i32 s0, s0, 24
	s_add_u32 s0, s16, s0
	s_mul_i32 s4, s4, s7
	s_mov_b32 s5, s9
	s_addc_u32 s1, s17, s1
	s_lshl_b64 s[4:5], s[4:5], 2
	v_lshlrev_b32_e32 v0, 3, v3
	s_add_u32 s4, s18, s4
	v_and_b32_e32 v0, 8, v0
	v_mov_b32_e32 v1, 0
	s_addc_u32 s5, s19, s5
	v_mul_lo_u32 v6, v2, s14
	v_or_b32_e32 v7, 4, v0
	s_mov_b64 s[12:13], 0
	s_mov_b32 s7, 0.5
	v_mov_b32_e32 v5, v1
.LBB278_3:                              ; =>This Inner Loop Header: Depth=1
	v_add_u32_e32 v10, v6, v4
	v_mad_i64_i32 v[8:9], s[16:17], v4, 36, s[4:5]
	v_mad_i64_i32 v[10:11], s[16:17], v10, 24, s[0:1]
	v_lshl_add_u64 v[12:13], v[8:9], 0, v[0:1]
	global_load_dwordx2 v[14:15], v[10:11], off
	v_lshl_add_u64 v[10:11], v[10:11], 0, v[0:1]
	global_load_dwordx2 v[16:17], v[12:13], off offset:4
	global_load_dwordx2 v[18:19], v[12:13], off offset:20
	;; [unrolled: 1-line block ×3, first 2 shown]
	global_load_dword v22, v[8:9], off
	v_mov_b32_e32 v8, 0
	v_add_u32_e32 v4, 32, v4
	v_cmp_le_u32_e32 vcc, s14, v4
	s_or_b64 s[12:13], vcc, s[12:13]
	s_waitcnt vmcnt(4)
	v_ashrrev_i32_e32 v9, v0, v15
	v_lshlrev_b32_e32 v13, 4, v9
	s_waitcnt vmcnt(0)
	v_pk_mul_f16 v11, v14, v22
	v_lshlrev_b32_e32 v14, 11, v9
	v_ashrrev_i32_e32 v10, v7, v15
	v_and_b32_e32 v12, 0xf0f0f0f, v20
	v_lshlrev_b32_e32 v15, 18, v9
	v_lshlrev_b32_e32 v22, 25, v9
	v_lshrrev_b32_e32 v23, 12, v9
	v_lshrrev_b32_e32 v24, 5, v9
	v_lshlrev_b32_e32 v25, 2, v9
	v_and_b32_e32 v13, 16, v13
	v_and_b32_e32 v14, 0x1000, v14
	v_lshrrev_b32_e32 v20, 4, v20
	v_lshlrev_b32_e32 v9, 9, v9
	v_lshlrev_b32_e32 v27, 4, v10
	;; [unrolled: 1-line block ×4, first 2 shown]
	v_and_b32_e32 v15, 0x100000, v15
	v_and_b32_e32 v22, 0x10000000, v22
	;; [unrolled: 1-line block ×5, first 2 shown]
	v_or3_b32 v12, v13, v12, v14
	v_lshlrev_b32_e32 v30, 25, v10
	v_lshrrev_b32_e32 v31, 12, v10
	v_lshrrev_b32_e32 v32, 5, v10
	v_lshlrev_b32_e32 v33, 2, v10
	v_and_b32_e32 v20, 0xf0f0f0f, v20
	v_and_b32_e32 v9, 0x10000000, v9
	v_and_b32_e32 v27, 16, v27
	v_and_b32_e32 v28, 0x1000, v28
	v_and_b32_e32 v29, 0x100000, v29
	v_or3_b32 v13, v24, v23, v25
	v_or3_b32 v12, v12, v15, v22
	v_and_b32_e32 v26, 0xf0f0f0f, v21
	v_lshrrev_b32_e32 v21, 4, v21
	v_lshlrev_b32_e32 v10, 9, v10
	v_and_b32_e32 v30, 0x10000000, v30
	v_and_b32_e32 v31, 16, v31
	;; [unrolled: 1-line block ×4, first 2 shown]
	v_or3_b32 v14, v28, v27, v29
	v_or3_b32 v9, v13, v9, v20
	v_dot4c_i32_i8_e32 v8, v12, v16
	v_and_b32_e32 v21, 0xf0f0f0f, v21
	v_and_b32_e32 v10, 0x10000000, v10
	v_or3_b32 v23, v32, v31, v33
	v_or3_b32 v13, v14, v30, v26
	v_dot4c_i32_i8_e32 v8, v9, v18
	v_or3_b32 v10, v23, v10, v21
	v_dot4c_i32_i8_e32 v8, v13, v17
	v_dot4c_i32_i8_e32 v8, v10, v19
	v_cvt_f32_f16_e32 v34, v11
	s_nop 1
	v_cvt_f32_i32_e32 v8, v8
	v_mul_f32_e32 v8, v34, v8
	v_fma_mix_f32 v8, v11, s7, v8 op_sel:[1,0,0] op_sel_hi:[1,0,0]
	s_nop 0
	v_add_f32_e32 v5, v5, v8
	s_andn2_b64 exec, exec, s[12:13]
	s_cbranch_execnz .LBB278_3
; %bb.4:
	s_or_b64 exec, exec, s[12:13]
.LBB278_5:
	s_or_b64 exec, exec, s[10:11]
	v_mbcnt_lo_u32_b32 v0, -1, 0
	v_mbcnt_hi_u32_b32 v1, -1, v0
	v_and_b32_e32 v0, 64, v1
	v_add_u32_e32 v4, 64, v0
	v_xor_b32_e32 v0, 32, v1
	v_cmp_lt_i32_e32 vcc, v0, v4
	v_xor_b32_e32 v6, 16, v1
	s_nop 0
	v_cndmask_b32_e32 v0, v1, v0, vcc
	v_lshlrev_b32_e32 v0, 2, v0
	ds_bpermute_b32 v0, v0, v5
	v_cmp_lt_i32_e32 vcc, v6, v4
	s_waitcnt lgkmcnt(0)
	v_add_f32_e32 v0, v5, v0
	v_cndmask_b32_e32 v5, v1, v6, vcc
	v_lshlrev_b32_e32 v5, 2, v5
	ds_bpermute_b32 v5, v5, v0
	v_xor_b32_e32 v6, 8, v1
	v_cmp_lt_i32_e32 vcc, v6, v4
	s_waitcnt lgkmcnt(0)
	v_add_f32_e32 v0, v0, v5
	v_cndmask_b32_e32 v5, v1, v6, vcc
	v_lshlrev_b32_e32 v5, 2, v5
	ds_bpermute_b32 v5, v5, v0
	v_xor_b32_e32 v6, 4, v1
	;; [unrolled: 7-line block ×4, first 2 shown]
	v_cmp_lt_i32_e32 vcc, v6, v4
	s_waitcnt lgkmcnt(0)
	v_add_f32_e32 v0, v0, v5
	v_cndmask_b32_e32 v1, v1, v6, vcc
	v_lshlrev_b32_e32 v1, 2, v1
	ds_bpermute_b32 v1, v1, v0
	v_cmp_eq_u32_e32 vcc, 0, v3
	s_and_b64 exec, exec, vcc
	s_cbranch_execz .LBB278_7
; %bb.6:
	s_waitcnt lgkmcnt(0)
	v_add_f32_e32 v0, v0, v1
	v_bfe_u32 v1, v0, 16, 1
	s_movk_i32 s0, 0x7fff
	v_add3_u32 v1, v0, v1, s0
	v_lshrrev_b32_e32 v1, 16, v1
	v_mov_b32_e32 v3, 0x7fc0
	v_cmp_o_f32_e32 vcc, v0, v0
	s_mul_i32 s0, s8, s6
	v_add_u32_e32 v0, s0, v2
	v_cndmask_b32_e32 v3, v3, v1, vcc
	v_mov_b32_e32 v1, 0
	v_lshl_add_u64 v[0:1], v[0:1], 1, s[2:3]
	global_store_short v[0:1], v3, off
.LBB278_7:
	s_endpgm
	.section	.rodata,"a",@progbits
	.p2align	6, 0x0
	.amdhsa_kernel _ZL9moe_vec_qIN3c108BFloat16ELi32ELi4E10block_q5_1Li2EXadL_ZL17vec_dot_q5_1_q8_1PKvPK10block_q8_1RKiEEEvS4_S4_PT_PS8_iiii
		.amdhsa_group_segment_fixed_size 0
		.amdhsa_private_segment_fixed_size 0
		.amdhsa_kernarg_size 304
		.amdhsa_user_sgpr_count 2
		.amdhsa_user_sgpr_dispatch_ptr 0
		.amdhsa_user_sgpr_queue_ptr 0
		.amdhsa_user_sgpr_kernarg_segment_ptr 1
		.amdhsa_user_sgpr_dispatch_id 0
		.amdhsa_user_sgpr_kernarg_preload_length 0
		.amdhsa_user_sgpr_kernarg_preload_offset 0
		.amdhsa_user_sgpr_private_segment_size 0
		.amdhsa_uses_dynamic_stack 0
		.amdhsa_enable_private_segment 0
		.amdhsa_system_sgpr_workgroup_id_x 1
		.amdhsa_system_sgpr_workgroup_id_y 0
		.amdhsa_system_sgpr_workgroup_id_z 1
		.amdhsa_system_sgpr_workgroup_info 0
		.amdhsa_system_vgpr_workitem_id 1
		.amdhsa_next_free_vgpr 35
		.amdhsa_next_free_sgpr 20
		.amdhsa_accum_offset 36
		.amdhsa_reserve_vcc 1
		.amdhsa_float_round_mode_32 0
		.amdhsa_float_round_mode_16_64 0
		.amdhsa_float_denorm_mode_32 3
		.amdhsa_float_denorm_mode_16_64 3
		.amdhsa_dx10_clamp 1
		.amdhsa_ieee_mode 1
		.amdhsa_fp16_overflow 0
		.amdhsa_tg_split 0
		.amdhsa_exception_fp_ieee_invalid_op 0
		.amdhsa_exception_fp_denorm_src 0
		.amdhsa_exception_fp_ieee_div_zero 0
		.amdhsa_exception_fp_ieee_overflow 0
		.amdhsa_exception_fp_ieee_underflow 0
		.amdhsa_exception_fp_ieee_inexact 0
		.amdhsa_exception_int_div_zero 0
	.end_amdhsa_kernel
	.section	.text._ZL9moe_vec_qIN3c108BFloat16ELi32ELi4E10block_q5_1Li2EXadL_ZL17vec_dot_q5_1_q8_1PKvPK10block_q8_1RKiEEEvS4_S4_PT_PS8_iiii,"axG",@progbits,_ZL9moe_vec_qIN3c108BFloat16ELi32ELi4E10block_q5_1Li2EXadL_ZL17vec_dot_q5_1_q8_1PKvPK10block_q8_1RKiEEEvS4_S4_PT_PS8_iiii,comdat
.Lfunc_end278:
	.size	_ZL9moe_vec_qIN3c108BFloat16ELi32ELi4E10block_q5_1Li2EXadL_ZL17vec_dot_q5_1_q8_1PKvPK10block_q8_1RKiEEEvS4_S4_PT_PS8_iiii, .Lfunc_end278-_ZL9moe_vec_qIN3c108BFloat16ELi32ELi4E10block_q5_1Li2EXadL_ZL17vec_dot_q5_1_q8_1PKvPK10block_q8_1RKiEEEvS4_S4_PT_PS8_iiii
                                        ; -- End function
	.section	.AMDGPU.csdata,"",@progbits
; Kernel info:
; codeLenInByte = 1084
; NumSgprs: 26
; NumVgprs: 35
; NumAgprs: 0
; TotalNumVgprs: 35
; ScratchSize: 0
; MemoryBound: 0
; FloatMode: 240
; IeeeMode: 1
; LDSByteSize: 0 bytes/workgroup (compile time only)
; SGPRBlocks: 3
; VGPRBlocks: 4
; NumSGPRsForWavesPerEU: 26
; NumVGPRsForWavesPerEU: 35
; AccumOffset: 36
; Occupancy: 8
; WaveLimiterHint : 1
; COMPUTE_PGM_RSRC2:SCRATCH_EN: 0
; COMPUTE_PGM_RSRC2:USER_SGPR: 2
; COMPUTE_PGM_RSRC2:TRAP_HANDLER: 0
; COMPUTE_PGM_RSRC2:TGID_X_EN: 1
; COMPUTE_PGM_RSRC2:TGID_Y_EN: 0
; COMPUTE_PGM_RSRC2:TGID_Z_EN: 1
; COMPUTE_PGM_RSRC2:TIDIG_COMP_CNT: 1
; COMPUTE_PGM_RSRC3_GFX90A:ACCUM_OFFSET: 8
; COMPUTE_PGM_RSRC3_GFX90A:TG_SPLIT: 0
	.section	.text._ZL9moe_vec_qIN3c108BFloat16ELi32ELi8E10block_q8_0Li2EXadL_ZL17vec_dot_q8_0_q8_1PKvPK10block_q8_1RKiEEEvS4_S4_PT_PS8_iiii,"axG",@progbits,_ZL9moe_vec_qIN3c108BFloat16ELi32ELi8E10block_q8_0Li2EXadL_ZL17vec_dot_q8_0_q8_1PKvPK10block_q8_1RKiEEEvS4_S4_PT_PS8_iiii,comdat
	.globl	_ZL9moe_vec_qIN3c108BFloat16ELi32ELi8E10block_q8_0Li2EXadL_ZL17vec_dot_q8_0_q8_1PKvPK10block_q8_1RKiEEEvS4_S4_PT_PS8_iiii ; -- Begin function _ZL9moe_vec_qIN3c108BFloat16ELi32ELi8E10block_q8_0Li2EXadL_ZL17vec_dot_q8_0_q8_1PKvPK10block_q8_1RKiEEEvS4_S4_PT_PS8_iiii
	.p2align	8
	.type	_ZL9moe_vec_qIN3c108BFloat16ELi32ELi8E10block_q8_0Li2EXadL_ZL17vec_dot_q8_0_q8_1PKvPK10block_q8_1RKiEEEvS4_S4_PT_PS8_iiii,@function
_ZL9moe_vec_qIN3c108BFloat16ELi32ELi8E10block_q8_0Li2EXadL_ZL17vec_dot_q8_0_q8_1PKvPK10block_q8_1RKiEEEvS4_S4_PT_PS8_iiii: ; @_ZL9moe_vec_qIN3c108BFloat16ELi32ELi8E10block_q8_0Li2EXadL_ZL17vec_dot_q8_0_q8_1PKvPK10block_q8_1RKiEEEvS4_S4_PT_PS8_iiii
; %bb.0:
	s_mov_b32 s8, s3
	s_load_dword s3, s[0:1], 0x3c
	s_load_dwordx4 s[4:7], s[0:1], 0x20
	v_bfe_u32 v1, v0, 10, 10
	s_waitcnt lgkmcnt(0)
	s_lshr_b32 s3, s3, 16
	s_mul_i32 s2, s2, s3
	v_add_u32_e32 v2, s2, v1
	v_cmp_gt_u32_e32 vcc, s6, v2
	s_and_saveexec_b64 s[2:3], vcc
	s_cbranch_execz .LBB279_7
; %bb.1:
	v_cvt_f32_u32_e32 v1, s4
	v_and_b32_e32 v3, 0x3ff, v0
	s_load_dwordx2 s[2:3], s[0:1], 0x10
	s_ashr_i32 s9, s5, 31
	v_rcp_iflag_f32_e32 v1, v1
	s_lshr_b32 s9, s9, 27
	s_add_i32 s5, s5, s9
	v_lshrrev_b32_e32 v4, 2, v3
	v_mul_f32_e32 v0, 0x4f7ffffe, v1
	v_cvt_u32_f32_e32 v0, v0
	s_ashr_i32 s14, s5, 5
	v_cmp_gt_u32_e32 vcc, s14, v4
	v_mov_b32_e32 v5, 0
	v_readfirstlane_b32 s5, v0
	s_and_saveexec_b64 s[10:11], vcc
	s_cbranch_execz .LBB279_5
; %bb.2:
	s_sub_i32 s12, 0, s4
	s_mul_i32 s15, s12, s5
	s_load_dwordx4 s[16:19], s[0:1], 0x0
	s_load_dwordx2 s[12:13], s[0:1], 0x18
	s_mov_b32 s9, 0
	s_mul_hi_u32 s0, s5, s15
	s_add_i32 s5, s5, s0
	s_lshl_b64 s[0:1], s[8:9], 2
	s_waitcnt lgkmcnt(0)
	s_add_u32 s0, s12, s0
	s_mul_hi_u32 s5, s8, s5
	s_addc_u32 s1, s13, s1
	s_load_dword s0, s[0:1], 0x0
	s_mul_i32 s1, s5, s4
	s_sub_i32 s1, s8, s1
	s_add_i32 s12, s5, 1
	s_sub_i32 s13, s1, s4
	s_cmp_ge_u32 s1, s4
	s_cselect_b32 s5, s12, s5
	s_cselect_b32 s1, s13, s1
	s_add_i32 s12, s5, 1
	s_cmp_ge_u32 s1, s4
	s_mul_i32 s1, s14, s6
	s_waitcnt lgkmcnt(0)
	s_mul_i32 s0, s1, s0
	s_cselect_b32 s4, s12, s5
	s_mul_hi_i32 s1, s0, 34
	s_mul_i32 s0, s0, 34
	s_add_u32 s0, s16, s0
	s_mul_i32 s4, s4, s7
	s_mov_b32 s5, s9
	s_addc_u32 s1, s17, s1
	s_lshl_b64 s[4:5], s[4:5], 2
	s_add_u32 s4, s18, s4
	v_lshlrev_b32_e32 v0, 3, v3
	v_mov_b32_e32 v1, 0
	s_addc_u32 s5, s19, s5
	v_mul_lo_u32 v6, v2, s14
	v_and_b32_e32 v0, 24, v0
	s_mov_b64 s[12:13], 0
	v_mov_b32_e32 v5, v1
.LBB279_3:                              ; =>This Inner Loop Header: Depth=1
	v_add_u32_e32 v7, v6, v4
	v_mad_i64_i32 v[8:9], s[16:17], v4, 36, s[4:5]
	v_mad_i64_i32 v[10:11], s[16:17], v7, 34, s[0:1]
	v_lshl_add_u64 v[12:13], v[8:9], 0, v[0:1]
	global_load_dword v7, v[8:9], off
	v_lshl_add_u64 v[8:9], v[10:11], 0, v[0:1]
	global_load_dwordx2 v[14:15], v[12:13], off offset:4
	global_load_dwordx2 v[16:17], v[8:9], off offset:2
	global_load_ushort v18, v[10:11], off
	v_mov_b32_e32 v8, 0
	v_add_u32_e32 v4, 16, v4
	v_cmp_le_u32_e32 vcc, s14, v4
	s_or_b64 s[12:13], vcc, s[12:13]
	s_waitcnt vmcnt(3)
	v_cvt_f32_f16_e32 v7, v7
	s_waitcnt vmcnt(1)
	v_dot4c_i32_i8_e32 v8, v16, v14
	s_waitcnt vmcnt(0)
	v_cvt_f32_f16_e32 v9, v18
	v_dot4c_i32_i8_e32 v8, v17, v15
	v_mul_f32_e32 v7, v9, v7
	s_nop 1
	v_cvt_f32_i32_e32 v8, v8
	v_fmac_f32_e32 v5, v7, v8
	s_andn2_b64 exec, exec, s[12:13]
	s_cbranch_execnz .LBB279_3
; %bb.4:
	s_or_b64 exec, exec, s[12:13]
.LBB279_5:
	s_or_b64 exec, exec, s[10:11]
	v_mbcnt_lo_u32_b32 v0, -1, 0
	v_mbcnt_hi_u32_b32 v1, -1, v0
	v_and_b32_e32 v0, 64, v1
	v_add_u32_e32 v4, 64, v0
	v_xor_b32_e32 v0, 32, v1
	v_cmp_lt_i32_e32 vcc, v0, v4
	v_xor_b32_e32 v6, 16, v1
	s_nop 0
	v_cndmask_b32_e32 v0, v1, v0, vcc
	v_lshlrev_b32_e32 v0, 2, v0
	ds_bpermute_b32 v0, v0, v5
	v_cmp_lt_i32_e32 vcc, v6, v4
	s_waitcnt lgkmcnt(0)
	v_add_f32_e32 v0, v5, v0
	v_cndmask_b32_e32 v5, v1, v6, vcc
	v_lshlrev_b32_e32 v5, 2, v5
	ds_bpermute_b32 v5, v5, v0
	v_xor_b32_e32 v6, 8, v1
	v_cmp_lt_i32_e32 vcc, v6, v4
	s_waitcnt lgkmcnt(0)
	v_add_f32_e32 v0, v0, v5
	v_cndmask_b32_e32 v5, v1, v6, vcc
	v_lshlrev_b32_e32 v5, 2, v5
	ds_bpermute_b32 v5, v5, v0
	v_xor_b32_e32 v6, 4, v1
	;; [unrolled: 7-line block ×4, first 2 shown]
	v_cmp_lt_i32_e32 vcc, v6, v4
	s_waitcnt lgkmcnt(0)
	v_add_f32_e32 v0, v0, v5
	v_cndmask_b32_e32 v1, v1, v6, vcc
	v_lshlrev_b32_e32 v1, 2, v1
	ds_bpermute_b32 v1, v1, v0
	v_cmp_eq_u32_e32 vcc, 0, v3
	s_and_b64 exec, exec, vcc
	s_cbranch_execz .LBB279_7
; %bb.6:
	s_waitcnt lgkmcnt(0)
	v_add_f32_e32 v0, v0, v1
	v_bfe_u32 v1, v0, 16, 1
	s_movk_i32 s0, 0x7fff
	v_add3_u32 v1, v0, v1, s0
	v_lshrrev_b32_e32 v1, 16, v1
	v_mov_b32_e32 v3, 0x7fc0
	v_cmp_o_f32_e32 vcc, v0, v0
	s_mul_i32 s0, s8, s6
	v_add_u32_e32 v0, s0, v2
	v_cndmask_b32_e32 v3, v3, v1, vcc
	v_mov_b32_e32 v1, 0
	v_lshl_add_u64 v[0:1], v[0:1], 1, s[2:3]
	global_store_short v[0:1], v3, off
.LBB279_7:
	s_endpgm
	.section	.rodata,"a",@progbits
	.p2align	6, 0x0
	.amdhsa_kernel _ZL9moe_vec_qIN3c108BFloat16ELi32ELi8E10block_q8_0Li2EXadL_ZL17vec_dot_q8_0_q8_1PKvPK10block_q8_1RKiEEEvS4_S4_PT_PS8_iiii
		.amdhsa_group_segment_fixed_size 0
		.amdhsa_private_segment_fixed_size 0
		.amdhsa_kernarg_size 304
		.amdhsa_user_sgpr_count 2
		.amdhsa_user_sgpr_dispatch_ptr 0
		.amdhsa_user_sgpr_queue_ptr 0
		.amdhsa_user_sgpr_kernarg_segment_ptr 1
		.amdhsa_user_sgpr_dispatch_id 0
		.amdhsa_user_sgpr_kernarg_preload_length 0
		.amdhsa_user_sgpr_kernarg_preload_offset 0
		.amdhsa_user_sgpr_private_segment_size 0
		.amdhsa_uses_dynamic_stack 0
		.amdhsa_enable_private_segment 0
		.amdhsa_system_sgpr_workgroup_id_x 1
		.amdhsa_system_sgpr_workgroup_id_y 0
		.amdhsa_system_sgpr_workgroup_id_z 1
		.amdhsa_system_sgpr_workgroup_info 0
		.amdhsa_system_vgpr_workitem_id 1
		.amdhsa_next_free_vgpr 19
		.amdhsa_next_free_sgpr 20
		.amdhsa_accum_offset 20
		.amdhsa_reserve_vcc 1
		.amdhsa_float_round_mode_32 0
		.amdhsa_float_round_mode_16_64 0
		.amdhsa_float_denorm_mode_32 3
		.amdhsa_float_denorm_mode_16_64 3
		.amdhsa_dx10_clamp 1
		.amdhsa_ieee_mode 1
		.amdhsa_fp16_overflow 0
		.amdhsa_tg_split 0
		.amdhsa_exception_fp_ieee_invalid_op 0
		.amdhsa_exception_fp_denorm_src 0
		.amdhsa_exception_fp_ieee_div_zero 0
		.amdhsa_exception_fp_ieee_overflow 0
		.amdhsa_exception_fp_ieee_underflow 0
		.amdhsa_exception_fp_ieee_inexact 0
		.amdhsa_exception_int_div_zero 0
	.end_amdhsa_kernel
	.section	.text._ZL9moe_vec_qIN3c108BFloat16ELi32ELi8E10block_q8_0Li2EXadL_ZL17vec_dot_q8_0_q8_1PKvPK10block_q8_1RKiEEEvS4_S4_PT_PS8_iiii,"axG",@progbits,_ZL9moe_vec_qIN3c108BFloat16ELi32ELi8E10block_q8_0Li2EXadL_ZL17vec_dot_q8_0_q8_1PKvPK10block_q8_1RKiEEEvS4_S4_PT_PS8_iiii,comdat
.Lfunc_end279:
	.size	_ZL9moe_vec_qIN3c108BFloat16ELi32ELi8E10block_q8_0Li2EXadL_ZL17vec_dot_q8_0_q8_1PKvPK10block_q8_1RKiEEEvS4_S4_PT_PS8_iiii, .Lfunc_end279-_ZL9moe_vec_qIN3c108BFloat16ELi32ELi8E10block_q8_0Li2EXadL_ZL17vec_dot_q8_0_q8_1PKvPK10block_q8_1RKiEEEvS4_S4_PT_PS8_iiii
                                        ; -- End function
	.section	.AMDGPU.csdata,"",@progbits
; Kernel info:
; codeLenInByte = 760
; NumSgprs: 26
; NumVgprs: 19
; NumAgprs: 0
; TotalNumVgprs: 19
; ScratchSize: 0
; MemoryBound: 0
; FloatMode: 240
; IeeeMode: 1
; LDSByteSize: 0 bytes/workgroup (compile time only)
; SGPRBlocks: 3
; VGPRBlocks: 2
; NumSGPRsForWavesPerEU: 26
; NumVGPRsForWavesPerEU: 19
; AccumOffset: 20
; Occupancy: 8
; WaveLimiterHint : 1
; COMPUTE_PGM_RSRC2:SCRATCH_EN: 0
; COMPUTE_PGM_RSRC2:USER_SGPR: 2
; COMPUTE_PGM_RSRC2:TRAP_HANDLER: 0
; COMPUTE_PGM_RSRC2:TGID_X_EN: 1
; COMPUTE_PGM_RSRC2:TGID_Y_EN: 0
; COMPUTE_PGM_RSRC2:TGID_Z_EN: 1
; COMPUTE_PGM_RSRC2:TIDIG_COMP_CNT: 1
; COMPUTE_PGM_RSRC3_GFX90A:ACCUM_OFFSET: 4
; COMPUTE_PGM_RSRC3_GFX90A:TG_SPLIT: 0
	.section	.text._ZL9moe_vec_qIN3c108BFloat16ELi256ELi16E10block_q2_KLi1EXadL_ZL17vec_dot_q2_K_q8_1PKvPK10block_q8_1RKiEEEvS4_S4_PT_PS8_iiii,"axG",@progbits,_ZL9moe_vec_qIN3c108BFloat16ELi256ELi16E10block_q2_KLi1EXadL_ZL17vec_dot_q2_K_q8_1PKvPK10block_q8_1RKiEEEvS4_S4_PT_PS8_iiii,comdat
	.globl	_ZL9moe_vec_qIN3c108BFloat16ELi256ELi16E10block_q2_KLi1EXadL_ZL17vec_dot_q2_K_q8_1PKvPK10block_q8_1RKiEEEvS4_S4_PT_PS8_iiii ; -- Begin function _ZL9moe_vec_qIN3c108BFloat16ELi256ELi16E10block_q2_KLi1EXadL_ZL17vec_dot_q2_K_q8_1PKvPK10block_q8_1RKiEEEvS4_S4_PT_PS8_iiii
	.p2align	8
	.type	_ZL9moe_vec_qIN3c108BFloat16ELi256ELi16E10block_q2_KLi1EXadL_ZL17vec_dot_q2_K_q8_1PKvPK10block_q8_1RKiEEEvS4_S4_PT_PS8_iiii,@function
_ZL9moe_vec_qIN3c108BFloat16ELi256ELi16E10block_q2_KLi1EXadL_ZL17vec_dot_q2_K_q8_1PKvPK10block_q8_1RKiEEEvS4_S4_PT_PS8_iiii: ; @_ZL9moe_vec_qIN3c108BFloat16ELi256ELi16E10block_q2_KLi1EXadL_ZL17vec_dot_q2_K_q8_1PKvPK10block_q8_1RKiEEEvS4_S4_PT_PS8_iiii
; %bb.0:
	s_mov_b32 s8, s3
	s_load_dword s3, s[0:1], 0x3c
	s_load_dwordx4 s[4:7], s[0:1], 0x20
	v_bfe_u32 v1, v0, 10, 10
	s_waitcnt lgkmcnt(0)
	s_lshr_b32 s3, s3, 16
	s_mul_i32 s2, s2, s3
	v_add_u32_e32 v10, s2, v1
	v_cmp_gt_u32_e32 vcc, s6, v10
	s_and_saveexec_b64 s[2:3], vcc
	s_cbranch_execz .LBB280_7
; %bb.1:
	v_cvt_f32_u32_e32 v1, s4
	v_and_b32_e32 v11, 0x3ff, v0
	s_load_dwordx2 s[2:3], s[0:1], 0x10
	s_ashr_i32 s9, s5, 31
	v_rcp_iflag_f32_e32 v1, v1
	s_lshr_b32 s9, s9, 24
	s_add_i32 s5, s5, s9
	v_lshrrev_b32_e32 v12, 4, v11
	v_mul_f32_e32 v0, 0x4f7ffffe, v1
	v_cvt_u32_f32_e32 v0, v0
	s_ashr_i32 s14, s5, 8
	v_cmp_gt_u32_e32 vcc, s14, v12
	v_mov_b32_e32 v14, 0
	v_readfirstlane_b32 s5, v0
	s_and_saveexec_b64 s[10:11], vcc
	s_cbranch_execz .LBB280_5
; %bb.2:
	s_sub_i32 s12, 0, s4
	s_mul_i32 s15, s12, s5
	s_load_dwordx4 s[16:19], s[0:1], 0x0
	s_load_dwordx2 s[12:13], s[0:1], 0x18
	s_mov_b32 s9, 0
	s_mul_hi_u32 s0, s5, s15
	s_add_i32 s5, s5, s0
	s_lshl_b64 s[0:1], s[8:9], 2
	s_waitcnt lgkmcnt(0)
	s_add_u32 s0, s12, s0
	s_mul_hi_u32 s5, s8, s5
	s_addc_u32 s1, s13, s1
	s_load_dword s0, s[0:1], 0x0
	s_mul_i32 s1, s5, s4
	s_sub_i32 s1, s8, s1
	s_add_i32 s12, s5, 1
	s_sub_i32 s13, s1, s4
	s_cmp_ge_u32 s1, s4
	s_cselect_b32 s5, s12, s5
	s_cselect_b32 s1, s13, s1
	s_add_i32 s12, s5, 1
	s_cmp_ge_u32 s1, s4
	s_mul_i32 s4, s14, s6
	s_waitcnt lgkmcnt(0)
	s_mul_i32 s0, s4, s0
	s_cselect_b32 s1, s12, s5
	s_mul_hi_i32 s5, s0, 0x54
	s_mulk_i32 s0, 0x54
	v_and_b32_e32 v6, 15, v11
	s_add_u32 s4, s16, s0
	s_mul_i32 s0, s1, s7
	s_mov_b32 s1, s9
	v_cmp_lt_u32_e32 vcc, 7, v6
	s_addc_u32 s5, s17, s5
	s_lshl_b64 s[0:1], s[0:1], 2
	v_cndmask_b32_e64 v0, 0, 1, vcc
	v_mov_b32_e32 v1, 0
	v_add_u32_e32 v2, -8, v6
	v_cmp_gt_u32_e32 vcc, 8, v6
	s_add_u32 s0, s18, s0
	v_mov_b32_e32 v5, v1
	v_cndmask_b32_e32 v4, v2, v6, vcc
	s_addc_u32 s1, s19, s1
	v_lshlrev_b32_e32 v7, 2, v0
	v_lshlrev_b64 v[2:3], 2, v[4:5]
	v_sub_u32_e32 v5, v6, v4
	v_cmp_lt_u32_e32 vcc, 3, v4
	v_lshlrev_b32_e32 v0, 2, v6
	v_mad_u64_u32 v[6:7], s[0:1], v7, 36, s[0:1]
	v_addc_co_u32_e32 v4, vcc, 0, v5, vcc
	s_movk_i32 s15, 0x54
	v_mul_lo_u32 v13, v10, s14
	v_ashrrev_i32_e32 v5, 31, v4
	v_lshlrev_b32_e32 v15, 3, v12
	s_mov_b64 s[0:1], 0
	v_mov_b64_e32 v[8:9], s[4:5]
	s_mov_b64 s[4:5], 0x48
	s_mov_b64 s[12:13], 0x6c
	s_mov_b32 s7, 0x1010101
	v_mov_b32_e32 v14, v1
.LBB280_3:                              ; =>This Inner Loop Header: Depth=1
	v_mad_i64_i32 v[16:17], s[16:17], v15, 36, v[6:7]
	v_add_u32_e32 v18, v13, v12
	global_load_dword v32, v[16:17], off
	global_load_dword v33, v[16:17], off offset:36
	global_load_dword v34, v[16:17], off offset:72
	v_mad_i64_i32 v[18:19], s[16:17], v18, s15, v[8:9]
	v_lshl_add_u64 v[20:21], v[16:17], 0, v[2:3]
	v_lshl_add_u64 v[22:23], v[16:17], 0, 36
	;; [unrolled: 1-line block ×9, first 2 shown]
	global_load_dword v35, v[20:21], off offset:4
	global_load_dword v36, v[22:23], off offset:4
	;; [unrolled: 1-line block ×6, first 2 shown]
	global_load_ubyte v41, v[30:31], off
	global_load_ubyte v42, v[30:31], off offset:2
	global_load_ubyte v43, v[30:31], off offset:4
	;; [unrolled: 1-line block ×3, first 2 shown]
	global_load_dword v45, v[18:19], off offset:80
	v_mov_b32_e32 v17, 0
	v_mov_b32_e32 v19, 0
	;; [unrolled: 1-line block ×8, first 2 shown]
	v_add_u32_e32 v12, 4, v12
	v_cmp_le_u32_e32 vcc, s14, v12
	v_add_u32_e32 v15, 32, v15
	s_or_b64 s[0:1], vcc, s[0:1]
	s_waitcnt vmcnt(13)
	v_cvt_f32_f16_e32 v16, v32
	s_waitcnt vmcnt(12)
	v_cvt_f32_f16_e32 v18, v33
	;; [unrolled: 2-line block ×4, first 2 shown]
	s_waitcnt vmcnt(5)
	v_and_b32_e32 v29, 0x3030303, v40
	s_waitcnt vmcnt(4)
	v_and_b32_e32 v31, 15, v41
	v_lshrrev_b32_e32 v32, 4, v41
	v_lshrrev_b32_e32 v33, 2, v40
	s_waitcnt vmcnt(3)
	v_lshrrev_b32_e32 v39, 4, v42
	v_lshrrev_b32_e32 v41, 4, v40
	v_lshrrev_b32_e32 v40, 6, v40
	v_and_b32_e32 v34, 15, v42
	s_waitcnt vmcnt(2)
	v_and_b32_e32 v42, 15, v43
	v_lshrrev_b32_e32 v43, 4, v43
	v_dot4c_i32_i8_e32 v17, v29, v35
	v_mul_lo_u32 v29, v32, s7
	v_and_b32_e32 v32, 0x3030303, v33
	v_mul_lo_u32 v33, v39, s7
	v_and_b32_e32 v39, 0x3030303, v41
	v_and_b32_e32 v40, 0x3030303, v40
	s_waitcnt vmcnt(1)
	v_and_b32_e32 v46, 15, v44
	v_lshrrev_b32_e32 v44, 4, v44
	v_mul_lo_u32 v41, v43, s7
	v_mul_lo_u32 v17, v31, v17
	v_dot4c_i32_i8_e32 v19, v29, v35
	v_dot4c_i32_i8_e32 v21, v32, v36
	v_dot4c_i32_i8_e32 v26, v39, v37
	v_dot4c_i32_i8_e32 v27, v40, v38
	v_mul_lo_u32 v43, v44, s7
	v_dot4c_i32_i8_e32 v23, v33, v36
	v_dot4c_i32_i8_e32 v28, v41, v37
	v_mul_lo_u32 v21, v34, v21
	v_mul_lo_u32 v32, v42, v26
	;; [unrolled: 1-line block ×3, first 2 shown]
	v_cvt_f32_i32_e32 v27, v19
	v_cvt_f32_i32_e32 v26, v17
	v_dot4c_i32_i8_e32 v30, v43, v38
	v_cvt_f32_i32_e32 v29, v23
	v_cvt_f32_i32_e32 v31, v28
	;; [unrolled: 1-line block ×6, first 2 shown]
	s_waitcnt vmcnt(0)
	v_cvt_f32_f16_e32 v24, v45
	v_cvt_f32_f16_sdwa v25, v45 dst_sel:DWORD dst_unused:UNUSED_PAD src0_sel:WORD_1
	v_pk_fma_f32 v[16:17], v[16:17], v[26:27], 0 op_sel_hi:[0,1,0]
	v_pk_fma_f32 v[16:17], v[18:19], v[28:29], v[16:17] op_sel_hi:[0,1,1]
	;; [unrolled: 1-line block ×4, first 2 shown]
	v_pk_mul_f32 v[16:17], v[16:17], v[24:25]
	s_nop 0
	v_sub_f32_e32 v16, v16, v17
	v_add_f32_e32 v14, v14, v16
	s_andn2_b64 exec, exec, s[0:1]
	s_cbranch_execnz .LBB280_3
; %bb.4:
	s_or_b64 exec, exec, s[0:1]
.LBB280_5:
	s_or_b64 exec, exec, s[10:11]
	v_mbcnt_lo_u32_b32 v0, -1, 0
	v_mbcnt_hi_u32_b32 v1, -1, v0
	v_and_b32_e32 v0, 64, v1
	v_add_u32_e32 v2, 64, v0
	v_xor_b32_e32 v0, 32, v1
	v_cmp_lt_i32_e32 vcc, v0, v2
	v_xor_b32_e32 v3, 16, v1
	v_xor_b32_e32 v4, 8, v1
	v_cndmask_b32_e32 v0, v1, v0, vcc
	v_lshlrev_b32_e32 v0, 2, v0
	ds_bpermute_b32 v0, v0, v14
	v_cmp_lt_i32_e32 vcc, v3, v2
	s_waitcnt lgkmcnt(0)
	v_add_f32_e32 v0, v14, v0
	v_cndmask_b32_e32 v3, v1, v3, vcc
	v_lshlrev_b32_e32 v3, 2, v3
	ds_bpermute_b32 v3, v3, v0
	v_cmp_lt_i32_e32 vcc, v4, v2
	s_waitcnt lgkmcnt(0)
	v_add_f32_e32 v0, v0, v3
	v_cndmask_b32_e32 v3, v1, v4, vcc
	v_lshlrev_b32_e32 v3, 2, v3
	ds_bpermute_b32 v3, v3, v0
	v_xor_b32_e32 v4, 4, v1
	v_cmp_lt_i32_e32 vcc, v4, v2
	s_waitcnt lgkmcnt(0)
	v_add_f32_e32 v0, v0, v3
	v_cndmask_b32_e32 v3, v1, v4, vcc
	v_lshlrev_b32_e32 v3, 2, v3
	ds_bpermute_b32 v3, v3, v0
	v_xor_b32_e32 v4, 2, v1
	;; [unrolled: 7-line block ×3, first 2 shown]
	v_cmp_lt_i32_e32 vcc, v4, v2
	s_waitcnt lgkmcnt(0)
	v_add_f32_e32 v0, v0, v3
	v_cndmask_b32_e32 v1, v1, v4, vcc
	v_lshlrev_b32_e32 v1, 2, v1
	ds_bpermute_b32 v1, v1, v0
	v_cmp_eq_u32_e32 vcc, 0, v11
	s_and_b64 exec, exec, vcc
	s_cbranch_execz .LBB280_7
; %bb.6:
	s_waitcnt lgkmcnt(0)
	v_add_f32_e32 v0, v0, v1
	v_bfe_u32 v1, v0, 16, 1
	s_movk_i32 s0, 0x7fff
	v_add3_u32 v1, v0, v1, s0
	v_lshrrev_b32_e32 v1, 16, v1
	v_mov_b32_e32 v2, 0x7fc0
	v_cmp_o_f32_e32 vcc, v0, v0
	s_mul_i32 s0, s8, s6
	v_add_u32_e32 v0, s0, v10
	v_cndmask_b32_e32 v2, v2, v1, vcc
	v_mov_b32_e32 v1, 0
	v_lshl_add_u64 v[0:1], v[0:1], 1, s[2:3]
	global_store_short v[0:1], v2, off
.LBB280_7:
	s_endpgm
	.section	.rodata,"a",@progbits
	.p2align	6, 0x0
	.amdhsa_kernel _ZL9moe_vec_qIN3c108BFloat16ELi256ELi16E10block_q2_KLi1EXadL_ZL17vec_dot_q2_K_q8_1PKvPK10block_q8_1RKiEEEvS4_S4_PT_PS8_iiii
		.amdhsa_group_segment_fixed_size 0
		.amdhsa_private_segment_fixed_size 0
		.amdhsa_kernarg_size 304
		.amdhsa_user_sgpr_count 2
		.amdhsa_user_sgpr_dispatch_ptr 0
		.amdhsa_user_sgpr_queue_ptr 0
		.amdhsa_user_sgpr_kernarg_segment_ptr 1
		.amdhsa_user_sgpr_dispatch_id 0
		.amdhsa_user_sgpr_kernarg_preload_length 0
		.amdhsa_user_sgpr_kernarg_preload_offset 0
		.amdhsa_user_sgpr_private_segment_size 0
		.amdhsa_uses_dynamic_stack 0
		.amdhsa_enable_private_segment 0
		.amdhsa_system_sgpr_workgroup_id_x 1
		.amdhsa_system_sgpr_workgroup_id_y 0
		.amdhsa_system_sgpr_workgroup_id_z 1
		.amdhsa_system_sgpr_workgroup_info 0
		.amdhsa_system_vgpr_workitem_id 1
		.amdhsa_next_free_vgpr 47
		.amdhsa_next_free_sgpr 20
		.amdhsa_accum_offset 48
		.amdhsa_reserve_vcc 1
		.amdhsa_float_round_mode_32 0
		.amdhsa_float_round_mode_16_64 0
		.amdhsa_float_denorm_mode_32 3
		.amdhsa_float_denorm_mode_16_64 3
		.amdhsa_dx10_clamp 1
		.amdhsa_ieee_mode 1
		.amdhsa_fp16_overflow 0
		.amdhsa_tg_split 0
		.amdhsa_exception_fp_ieee_invalid_op 0
		.amdhsa_exception_fp_denorm_src 0
		.amdhsa_exception_fp_ieee_div_zero 0
		.amdhsa_exception_fp_ieee_overflow 0
		.amdhsa_exception_fp_ieee_underflow 0
		.amdhsa_exception_fp_ieee_inexact 0
		.amdhsa_exception_int_div_zero 0
	.end_amdhsa_kernel
	.section	.text._ZL9moe_vec_qIN3c108BFloat16ELi256ELi16E10block_q2_KLi1EXadL_ZL17vec_dot_q2_K_q8_1PKvPK10block_q8_1RKiEEEvS4_S4_PT_PS8_iiii,"axG",@progbits,_ZL9moe_vec_qIN3c108BFloat16ELi256ELi16E10block_q2_KLi1EXadL_ZL17vec_dot_q2_K_q8_1PKvPK10block_q8_1RKiEEEvS4_S4_PT_PS8_iiii,comdat
.Lfunc_end280:
	.size	_ZL9moe_vec_qIN3c108BFloat16ELi256ELi16E10block_q2_KLi1EXadL_ZL17vec_dot_q2_K_q8_1PKvPK10block_q8_1RKiEEEvS4_S4_PT_PS8_iiii, .Lfunc_end280-_ZL9moe_vec_qIN3c108BFloat16ELi256ELi16E10block_q2_KLi1EXadL_ZL17vec_dot_q2_K_q8_1PKvPK10block_q8_1RKiEEEvS4_S4_PT_PS8_iiii
                                        ; -- End function
	.section	.AMDGPU.csdata,"",@progbits
; Kernel info:
; codeLenInByte = 1308
; NumSgprs: 26
; NumVgprs: 47
; NumAgprs: 0
; TotalNumVgprs: 47
; ScratchSize: 0
; MemoryBound: 0
; FloatMode: 240
; IeeeMode: 1
; LDSByteSize: 0 bytes/workgroup (compile time only)
; SGPRBlocks: 3
; VGPRBlocks: 5
; NumSGPRsForWavesPerEU: 26
; NumVGPRsForWavesPerEU: 47
; AccumOffset: 48
; Occupancy: 8
; WaveLimiterHint : 1
; COMPUTE_PGM_RSRC2:SCRATCH_EN: 0
; COMPUTE_PGM_RSRC2:USER_SGPR: 2
; COMPUTE_PGM_RSRC2:TRAP_HANDLER: 0
; COMPUTE_PGM_RSRC2:TGID_X_EN: 1
; COMPUTE_PGM_RSRC2:TGID_Y_EN: 0
; COMPUTE_PGM_RSRC2:TGID_Z_EN: 1
; COMPUTE_PGM_RSRC2:TIDIG_COMP_CNT: 1
; COMPUTE_PGM_RSRC3_GFX90A:ACCUM_OFFSET: 11
; COMPUTE_PGM_RSRC3_GFX90A:TG_SPLIT: 0
	.section	.text._ZL9moe_vec_qIN3c108BFloat16ELi256ELi16E10block_q3_KLi1EXadL_ZL17vec_dot_q3_K_q8_1PKvPK10block_q8_1RKiEEEvS4_S4_PT_PS8_iiii,"axG",@progbits,_ZL9moe_vec_qIN3c108BFloat16ELi256ELi16E10block_q3_KLi1EXadL_ZL17vec_dot_q3_K_q8_1PKvPK10block_q8_1RKiEEEvS4_S4_PT_PS8_iiii,comdat
	.globl	_ZL9moe_vec_qIN3c108BFloat16ELi256ELi16E10block_q3_KLi1EXadL_ZL17vec_dot_q3_K_q8_1PKvPK10block_q8_1RKiEEEvS4_S4_PT_PS8_iiii ; -- Begin function _ZL9moe_vec_qIN3c108BFloat16ELi256ELi16E10block_q3_KLi1EXadL_ZL17vec_dot_q3_K_q8_1PKvPK10block_q8_1RKiEEEvS4_S4_PT_PS8_iiii
	.p2align	8
	.type	_ZL9moe_vec_qIN3c108BFloat16ELi256ELi16E10block_q3_KLi1EXadL_ZL17vec_dot_q3_K_q8_1PKvPK10block_q8_1RKiEEEvS4_S4_PT_PS8_iiii,@function
_ZL9moe_vec_qIN3c108BFloat16ELi256ELi16E10block_q3_KLi1EXadL_ZL17vec_dot_q3_K_q8_1PKvPK10block_q8_1RKiEEEvS4_S4_PT_PS8_iiii: ; @_ZL9moe_vec_qIN3c108BFloat16ELi256ELi16E10block_q3_KLi1EXadL_ZL17vec_dot_q3_K_q8_1PKvPK10block_q8_1RKiEEEvS4_S4_PT_PS8_iiii
; %bb.0:
	s_mov_b32 s8, s3
	s_load_dword s3, s[0:1], 0x3c
	s_load_dwordx4 s[4:7], s[0:1], 0x20
	v_bfe_u32 v1, v0, 10, 10
	s_waitcnt lgkmcnt(0)
	s_lshr_b32 s3, s3, 16
	s_mul_i32 s2, s2, s3
	v_add_u32_e32 v26, s2, v1
	v_cmp_gt_u32_e32 vcc, s6, v26
	s_and_saveexec_b64 s[2:3], vcc
	s_cbranch_execz .LBB281_7
; %bb.1:
	v_cvt_f32_u32_e32 v1, s4
	v_and_b32_e32 v27, 0x3ff, v0
	s_load_dwordx2 s[2:3], s[0:1], 0x10
	s_ashr_i32 s9, s5, 31
	v_rcp_iflag_f32_e32 v1, v1
	s_lshr_b32 s9, s9, 24
	s_add_i32 s5, s5, s9
	v_lshrrev_b32_e32 v28, 4, v27
	v_mul_f32_e32 v0, 0x4f7ffffe, v1
	v_cvt_u32_f32_e32 v0, v0
	s_ashr_i32 s16, s5, 8
	v_cmp_gt_u32_e32 vcc, s16, v28
	v_mov_b32_e32 v37, 0
	v_readfirstlane_b32 s5, v0
	s_and_saveexec_b64 s[10:11], vcc
	s_cbranch_execz .LBB281_5
; %bb.2:
	s_sub_i32 s12, 0, s4
	v_and_b32_e32 v6, 15, v27
	s_mul_i32 s17, s12, s5
	s_load_dwordx4 s[12:15], s[0:1], 0x0
	s_load_dwordx2 s[18:19], s[0:1], 0x18
	v_cmp_lt_u32_e32 vcc, 7, v6
	v_mov_b32_e32 v1, 0
	s_mov_b32 s9, 0
	v_cndmask_b32_e64 v0, 0, 1, vcc
	v_lshlrev_b32_e32 v30, 2, v0
	v_add_u32_e32 v0, -8, v6
	v_cmp_gt_u32_e32 vcc, 8, v6
	s_mul_hi_u32 s0, s5, s17
	v_mov_b32_e32 v5, v1
	v_cndmask_b32_e32 v4, v0, v6, vcc
	s_add_i32 s5, s5, s0
	s_lshl_b64 s[0:1], s[8:9], 2
	v_lshlrev_b64 v[2:3], 2, v[4:5]
	v_sub_u32_e32 v5, v6, v4
	v_cmp_lt_u32_e32 vcc, 3, v4
	s_waitcnt lgkmcnt(0)
	s_add_u32 s0, s18, s0
	s_mul_hi_u32 s5, s8, s5
	v_addc_co_u32_e32 v16, vcc, 0, v5, vcc
	s_addc_u32 s1, s19, s1
	v_mov_b32_e32 v17, 7
	v_add_u16_e32 v10, 2, v16
	s_load_dword s0, s[0:1], 0x0
	s_mul_i32 s1, s5, s4
	v_mov_b32_e32 v18, 5
	v_mov_b32_e32 v21, 6
	v_lshrrev_b16_sdwa v11, v17, sext(v10) dst_sel:DWORD dst_unused:UNUSED_PAD src0_sel:DWORD src1_sel:BYTE_0
	s_sub_i32 s1, s8, s1
	v_lshrrev_b16_sdwa v8, v18, v11 dst_sel:DWORD dst_unused:UNUSED_PAD src0_sel:DWORD src1_sel:BYTE_0
	v_lshrrev_b16_sdwa v11, v21, v11 dst_sel:DWORD dst_unused:UNUSED_PAD src0_sel:DWORD src1_sel:BYTE_0
	s_add_i32 s17, s5, 1
	s_sub_i32 s18, s1, s4
	v_mov_b32_e32 v20, 2
	v_add_u16_e32 v11, v10, v11
	v_add_u16_e32 v14, 4, v16
	s_cmp_ge_u32 s1, s4
	v_mov_b32_e32 v22, 1
	v_ashrrev_i16_sdwa v12, v20, sext(v11) dst_sel:DWORD dst_unused:UNUSED_PAD src0_sel:DWORD src1_sel:BYTE_0
	v_lshrrev_b16_sdwa v15, v17, sext(v14) dst_sel:DWORD dst_unused:UNUSED_PAD src0_sel:DWORD src1_sel:BYTE_0
	s_cselect_b32 s5, s17, s5
	v_lshlrev_b32_sdwa v34, v22, sext(v12) dst_sel:DWORD dst_unused:UNUSED_PAD src0_sel:DWORD src1_sel:WORD_0
	v_lshrrev_b16_sdwa v12, v18, v15 dst_sel:DWORD dst_unused:UNUSED_PAD src0_sel:DWORD src1_sel:BYTE_0
	v_lshrrev_b16_sdwa v15, v21, v15 dst_sel:DWORD dst_unused:UNUSED_PAD src0_sel:DWORD src1_sel:BYTE_0
	s_cselect_b32 s1, s18, s1
	s_add_i32 s17, s5, 1
	v_lshlrev_b32_e32 v0, 2, v6
	v_lshrrev_b16_sdwa v6, v17, sext(v16) dst_sel:DWORD dst_unused:UNUSED_PAD src0_sel:DWORD src1_sel:BYTE_0
	v_add_u16_e32 v15, v14, v15
	s_cmp_ge_u32 s1, s4
	s_mul_i32 s1, s16, s6
	v_lshrrev_b16_sdwa v4, v18, v6 dst_sel:DWORD dst_unused:UNUSED_PAD src0_sel:DWORD src1_sel:BYTE_0
	v_lshrrev_b16_sdwa v6, v21, v6 dst_sel:DWORD dst_unused:UNUSED_PAD src0_sel:DWORD src1_sel:BYTE_0
	v_lshrrev_b16_sdwa v23, v20, sext(v15) dst_sel:DWORD dst_unused:UNUSED_PAD src0_sel:DWORD src1_sel:BYTE_0
	s_waitcnt lgkmcnt(0)
	s_mul_i32 s0, s1, s0
	v_add_u16_e32 v4, v16, v4
	v_mov_b32_e32 v19, 3
	v_add_u16_e32 v6, v16, v6
	v_lshlrev_b32_sdwa v36, v22, v23 dst_sel:DWORD dst_unused:UNUSED_PAD src0_sel:DWORD src1_sel:BYTE_0
	v_add_u16_e32 v23, 6, v16
	s_cselect_b32 s4, s17, s5
	s_mul_hi_i32 s1, s0, 0x6e
	s_mulk_i32 s0, 0x6e
	v_lshrrev_b16_sdwa v5, v19, sext(v4) dst_sel:DWORD dst_unused:UNUSED_PAD src0_sel:DWORD src1_sel:BYTE_0
	v_and_b32_e32 v4, 0xf8, v4
	v_ashrrev_i16_sdwa v7, v20, sext(v6) dst_sel:DWORD dst_unused:UNUSED_PAD src0_sel:DWORD src1_sel:BYTE_0
	v_and_b32_e32 v6, 0xfc, v6
	v_lshrrev_b16_sdwa v24, v17, sext(v23) dst_sel:DWORD dst_unused:UNUSED_PAD src0_sel:DWORD src1_sel:BYTE_0
	s_add_u32 s0, s12, s0
	s_mul_i32 s4, s4, s7
	s_mov_b32 s5, s9
	v_sub_u16_e32 v4, v16, v4
	v_sub_u16_e32 v6, v16, v6
	v_lshrrev_b16_sdwa v16, v18, v24 dst_sel:DWORD dst_unused:UNUSED_PAD src0_sel:DWORD src1_sel:BYTE_0
	v_lshrrev_b16_sdwa v18, v21, v24 dst_sel:DWORD dst_unused:UNUSED_PAD src0_sel:DWORD src1_sel:BYTE_0
	s_addc_u32 s1, s13, s1
	s_lshl_b64 s[4:5], s[4:5], 2
	v_add_u16_e32 v8, v10, v8
	v_add_u16_e32 v12, v14, v12
	v_add_u16_e32 v16, v23, v16
	v_add_u16_e32 v18, v23, v18
	s_add_u32 s4, s14, s4
	v_lshrrev_b16_sdwa v9, v19, sext(v8) dst_sel:DWORD dst_unused:UNUSED_PAD src0_sel:DWORD src1_sel:BYTE_0
	v_and_b32_e32 v8, 0xf8, v8
	v_and_b32_e32 v11, 0xfc, v11
	v_lshrrev_b16_sdwa v13, v19, sext(v12) dst_sel:DWORD dst_unused:UNUSED_PAD src0_sel:DWORD src1_sel:BYTE_0
	v_and_b32_e32 v12, 0xf8, v12
	v_and_b32_e32 v15, 0xfc, v15
	v_lshrrev_b16_sdwa v17, v19, sext(v16) dst_sel:DWORD dst_unused:UNUSED_PAD src0_sel:DWORD src1_sel:BYTE_0
	v_and_b32_e32 v16, 0xf8, v16
	v_lshrrev_b16_sdwa v19, v20, sext(v18) dst_sel:DWORD dst_unused:UNUSED_PAD src0_sel:DWORD src1_sel:BYTE_0
	v_and_b32_e32 v18, 0xfc, v18
	s_addc_u32 s5, s15, s5
	v_sub_u16_e32 v8, v10, v8
	v_sub_u16_e32 v10, v10, v11
	;; [unrolled: 1-line block ×6, first 2 shown]
	v_lshlrev_b32_sdwa v31, v20, v5 dst_sel:DWORD dst_unused:UNUSED_PAD src0_sel:DWORD src1_sel:BYTE_0
	v_bfe_i32 v4, v4, 0, 8
	v_bfe_i32 v6, v6, 0, 8
	v_lshlrev_b32_sdwa v33, v20, v9 dst_sel:DWORD dst_unused:UNUSED_PAD src0_sel:DWORD src1_sel:BYTE_0
	v_bfe_i32 v8, v8, 0, 8
	v_bfe_i32 v10, v10, 0, 8
	;; [unrolled: 3-line block ×4, first 2 shown]
	v_mad_u64_u32 v[20:21], s[4:5], v30, 36, s[4:5]
	s_movk_i32 s17, 0x6e
	v_mul_lo_u32 v29, v26, s16
	v_ashrrev_i32_e32 v5, 31, v4
	v_lshlrev_b32_sdwa v32, v22, sext(v7) dst_sel:DWORD dst_unused:UNUSED_PAD src0_sel:DWORD src1_sel:WORD_0
	v_ashrrev_i32_e32 v7, 31, v6
	v_ashrrev_i32_e32 v9, 31, v8
	;; [unrolled: 1-line block ×6, first 2 shown]
	v_lshlrev_b32_sdwa v39, v22, v19 dst_sel:DWORD dst_unused:UNUSED_PAD src0_sel:DWORD src1_sel:BYTE_0
	v_ashrrev_i32_e32 v19, 31, v18
	v_lshlrev_b32_e32 v40, 3, v28
	s_mov_b64 s[4:5], 0
	s_mov_b64 s[12:13], 0x48
	;; [unrolled: 1-line block ×3, first 2 shown]
	v_mov_b32_e32 v37, v1
.LBB281_3:                              ; =>This Inner Loop Header: Depth=1
	v_add_u32_e32 v41, v29, v28
	v_mov_b64_e32 v[24:25], s[0:1]
	v_mad_i64_i32 v[24:25], s[18:19], v41, s17, v[24:25]
	v_lshl_add_u64 v[48:49], v[24:25], 0, v[2:3]
	v_mad_i64_i32 v[22:23], s[18:19], v40, 36, v[20:21]
	global_load_dword v54, v[48:49], off
	v_lshl_add_u64 v[42:43], v[22:23], 0, v[2:3]
	v_lshl_add_u64 v[44:45], v[22:23], 0, s[12:13]
	;; [unrolled: 1-line block ×3, first 2 shown]
	global_load_dword v41, v[42:43], off offset:4
	v_lshl_add_u64 v[42:43], v[44:45], 0, v[2:3]
	global_load_dword v55, v[46:47], off offset:32
	global_load_dword v56, v[42:43], off offset:4
	v_lshl_add_u64 v[44:45], v[24:25], 0, v[4:5]
	v_lshl_add_u64 v[50:51], v[24:25], 0, v[6:7]
	;; [unrolled: 1-line block ×5, first 2 shown]
	global_load_ubyte v57, v[44:45], off offset:96
	global_load_ubyte v58, v[50:51], off offset:104
	v_lshl_add_u64 v[44:45], v[24:25], 0, v[14:15]
	global_load_ubyte v50, v[52:53], off offset:96
	global_load_ubyte v51, v[48:49], off offset:104
	v_lshl_add_u64 v[46:47], v[24:25], 0, v[16:17]
	global_load_ubyte v48, v[42:43], off offset:96
	global_load_ubyte v49, v[44:45], off offset:104
	v_lshl_add_u64 v[42:43], v[24:25], 0, v[18:19]
	global_load_ubyte v44, v[46:47], off offset:96
	global_load_ubyte v45, v[42:43], off offset:104
	v_add_u32_e32 v28, 4, v28
	v_cmp_le_u32_e32 vcc, s16, v28
	v_add_u32_e32 v40, 32, v40
	s_or_b64 s[4:5], vcc, s[4:5]
	s_waitcnt vmcnt(11)
	v_ashrrev_i32_e32 v42, v30, v54
	v_not_b32_e32 v46, v42
	v_and_b32_e32 v47, 0x4040404, v46
	s_waitcnt vmcnt(9)
	v_lshrrev_b32_e32 v43, 4, v55
	v_and_b32_e32 v42, 0x3030303, v43
	v_bfe_u32 v43, v43, 24, 2
	v_sub_u16_sdwa v43, v43, v47 dst_sel:BYTE_1 dst_unused:UNUSED_PAD src0_sel:DWORD src1_sel:BYTE_3
	v_sub_u16_e32 v52, v42, v47
	v_sub_u16_sdwa v53, v42, v47 dst_sel:BYTE_1 dst_unused:UNUSED_PAD src0_sel:BYTE_1 src1_sel:BYTE_1
	v_sub_u16_sdwa v42, v42, v47 dst_sel:DWORD dst_unused:UNUSED_PAD src0_sel:WORD_1 src1_sel:WORD_1
	v_or_b32_sdwa v47, v52, v53 dst_sel:DWORD dst_unused:UNUSED_PAD src0_sel:BYTE_0 src1_sel:DWORD
	v_or_b32_sdwa v42, v42, v43 dst_sel:WORD_1 dst_unused:UNUSED_PAD src0_sel:BYTE_0 src1_sel:DWORD
	v_lshlrev_b32_e32 v43, 2, v46
	v_or_b32_sdwa v42, v47, v42 dst_sel:DWORD dst_unused:UNUSED_PAD src0_sel:WORD_0 src1_sel:DWORD
	v_mov_b32_e32 v47, 0
	s_waitcnt vmcnt(8)
	v_dot4c_i32_i8_e32 v47, v42, v56
	v_bfe_u32 v42, v55, 24, 2
	v_and_b32_e32 v43, 0x4040404, v43
	v_and_b32_e32 v52, 0x3030303, v55
	v_sub_u16_sdwa v42, v42, v43 dst_sel:BYTE_1 dst_unused:UNUSED_PAD src0_sel:DWORD src1_sel:BYTE_3
	v_sub_u16_e32 v53, v52, v43
	v_sub_u16_sdwa v54, v52, v43 dst_sel:BYTE_1 dst_unused:UNUSED_PAD src0_sel:BYTE_1 src1_sel:BYTE_1
	v_sub_u16_sdwa v43, v52, v43 dst_sel:DWORD dst_unused:UNUSED_PAD src0_sel:WORD_1 src1_sel:WORD_1
	v_or_b32_sdwa v52, v53, v54 dst_sel:DWORD dst_unused:UNUSED_PAD src0_sel:BYTE_0 src1_sel:DWORD
	v_or_b32_sdwa v42, v43, v42 dst_sel:WORD_1 dst_unused:UNUSED_PAD src0_sel:BYTE_0 src1_sel:DWORD
	s_nop 0
	v_or_b32_sdwa v42, v52, v42 dst_sel:DWORD dst_unused:UNUSED_PAD src0_sel:WORD_0 src1_sel:DWORD
	v_mov_b32_e32 v52, 0
	v_dot4c_i32_i8_e32 v52, v42, v41
	v_lshl_add_u64 v[42:43], v[22:23], 0, 36
	v_lshl_add_u64 v[42:43], v[42:43], 0, v[2:3]
	global_load_dword v41, v[42:43], off offset:4
	v_lshl_add_u64 v[42:43], v[22:23], 0, s[14:15]
	v_lshl_add_u64 v[42:43], v[42:43], 0, v[2:3]
	global_load_dword v53, v[42:43], off offset:4
	global_load_dword v54, v[22:23], off
	global_load_dword v56, v[22:23], off offset:36
	global_load_dword v59, v[22:23], off offset:72
	;; [unrolled: 1-line block ×3, first 2 shown]
	global_load_ushort v61, v[24:25], off offset:108
	s_waitcnt vmcnt(13)
	v_lshrrev_b32_e32 v23, v32, v58
	v_bfe_u32 v22, v57, v31, 4
	v_lshlrev_b32_e32 v23, 4, v23
	s_waitcnt vmcnt(11)
	v_lshrrev_b32_e32 v24, v34, v51
	s_waitcnt vmcnt(8)
	v_bfe_u32 v43, v44, v38, 4
	s_waitcnt vmcnt(7)
	v_lshrrev_b32_e32 v44, v39, v45
	v_and_or_b32 v22, v23, 48, v22
	v_bfe_u32 v23, v50, v33, 4
	v_lshlrev_b32_e32 v24, 4, v24
	v_lshrrev_b32_e32 v42, v36, v49
	v_lshlrev_b32_e32 v44, 4, v44
	v_and_or_b32 v23, v24, 48, v23
	v_lshrrev_b32_e32 v24, 2, v55
	v_bfe_u32 v25, v48, v35, 4
	v_lshlrev_b32_e32 v42, 4, v42
	v_and_or_b32 v43, v44, 48, v43
	v_lshlrev_b32_e32 v44, 1, v46
	v_and_or_b32 v25, v42, 48, v25
	v_and_b32_e32 v42, 0x3030303, v24
	v_bfe_u32 v24, v24, 24, 2
	v_and_b32_e32 v44, 0x4040404, v44
	v_sub_u16_sdwa v24, v24, v44 dst_sel:BYTE_1 dst_unused:UNUSED_PAD src0_sel:DWORD src1_sel:BYTE_3
	v_sub_u16_e32 v45, v42, v44
	v_sub_u16_sdwa v48, v42, v44 dst_sel:BYTE_1 dst_unused:UNUSED_PAD src0_sel:BYTE_1 src1_sel:BYTE_1
	v_sub_u16_sdwa v42, v42, v44 dst_sel:DWORD dst_unused:UNUSED_PAD src0_sel:WORD_1 src1_sel:WORD_1
	v_lshrrev_b32_e32 v44, 6, v55
	v_lshrrev_b32_e32 v46, 1, v46
	;; [unrolled: 1-line block ×3, first 2 shown]
	v_and_b32_e32 v44, 0x3030303, v44
	v_and_b32_e32 v46, 0x4040404, v46
	v_or_b32_sdwa v45, v45, v48 dst_sel:DWORD dst_unused:UNUSED_PAD src0_sel:BYTE_0 src1_sel:DWORD
	v_or_b32_sdwa v24, v42, v24 dst_sel:WORD_1 dst_unused:UNUSED_PAD src0_sel:BYTE_0 src1_sel:DWORD
	v_sub_u16_sdwa v49, v49, v46 dst_sel:BYTE_1 dst_unused:UNUSED_PAD src0_sel:DWORD src1_sel:BYTE_3
	v_sub_u16_e32 v50, v44, v46
	v_sub_u16_sdwa v51, v44, v46 dst_sel:BYTE_1 dst_unused:UNUSED_PAD src0_sel:BYTE_1 src1_sel:BYTE_1
	v_sub_u16_sdwa v44, v44, v46 dst_sel:DWORD dst_unused:UNUSED_PAD src0_sel:WORD_1 src1_sel:WORD_1
	v_mov_b32_e32 v46, 0
	v_or_b32_sdwa v24, v45, v24 dst_sel:DWORD dst_unused:UNUSED_PAD src0_sel:WORD_0 src1_sel:DWORD
	v_subrev_u32_e32 v22, 32, v22
	v_or_b32_sdwa v42, v50, v51 dst_sel:DWORD dst_unused:UNUSED_PAD src0_sel:BYTE_0 src1_sel:DWORD
	v_or_b32_sdwa v44, v44, v49 dst_sel:WORD_1 dst_unused:UNUSED_PAD src0_sel:BYTE_0 src1_sel:DWORD
	v_subrev_u32_e32 v23, 32, v23
	v_mul_lo_u32 v22, v22, v52
	v_mov_b32_e32 v45, 0
	v_subrev_u32_e32 v25, 32, v25
	v_or_b32_sdwa v42, v42, v44 dst_sel:DWORD dst_unused:UNUSED_PAD src0_sel:WORD_0 src1_sel:DWORD
	v_cvt_f32_i32_e32 v22, v22
	v_subrev_u32_e32 v43, 32, v43
	s_waitcnt vmcnt(5)
	v_dot4c_i32_i8_e32 v45, v42, v53
	s_waitcnt vmcnt(4)
	v_fma_mix_f32 v22, v54, v22, 0 op_sel_hi:[1,0,0]
	v_dot4c_i32_i8_e32 v46, v24, v41
	v_mul_lo_u32 v24, v25, v47
	v_cvt_f32_i32_e32 v24, v24
	v_mul_lo_u32 v25, v43, v45
	v_mul_lo_u32 v23, v23, v46
	v_cvt_f32_i32_e32 v23, v23
	v_cvt_f32_i32_e32 v25, v25
	s_waitcnt vmcnt(3)
	v_fma_mix_f32 v22, v56, v23, v22 op_sel_hi:[1,0,0]
	s_waitcnt vmcnt(2)
	v_fma_mix_f32 v22, v59, v24, v22 op_sel_hi:[1,0,0]
	;; [unrolled: 2-line block ×4, first 2 shown]
	s_andn2_b64 exec, exec, s[4:5]
	s_cbranch_execnz .LBB281_3
; %bb.4:
	s_or_b64 exec, exec, s[4:5]
.LBB281_5:
	s_or_b64 exec, exec, s[10:11]
	v_mbcnt_lo_u32_b32 v0, -1, 0
	v_mbcnt_hi_u32_b32 v1, -1, v0
	v_and_b32_e32 v0, 64, v1
	v_add_u32_e32 v2, 64, v0
	v_xor_b32_e32 v0, 32, v1
	v_cmp_lt_i32_e32 vcc, v0, v2
	v_xor_b32_e32 v3, 16, v1
	v_xor_b32_e32 v4, 8, v1
	v_cndmask_b32_e32 v0, v1, v0, vcc
	v_lshlrev_b32_e32 v0, 2, v0
	ds_bpermute_b32 v0, v0, v37
	v_cmp_lt_i32_e32 vcc, v3, v2
	s_waitcnt lgkmcnt(0)
	v_add_f32_e32 v0, v37, v0
	v_cndmask_b32_e32 v3, v1, v3, vcc
	v_lshlrev_b32_e32 v3, 2, v3
	ds_bpermute_b32 v3, v3, v0
	v_cmp_lt_i32_e32 vcc, v4, v2
	s_waitcnt lgkmcnt(0)
	v_add_f32_e32 v0, v0, v3
	v_cndmask_b32_e32 v3, v1, v4, vcc
	v_lshlrev_b32_e32 v3, 2, v3
	ds_bpermute_b32 v3, v3, v0
	v_xor_b32_e32 v4, 4, v1
	v_cmp_lt_i32_e32 vcc, v4, v2
	s_waitcnt lgkmcnt(0)
	v_add_f32_e32 v0, v0, v3
	v_cndmask_b32_e32 v3, v1, v4, vcc
	v_lshlrev_b32_e32 v3, 2, v3
	ds_bpermute_b32 v3, v3, v0
	v_xor_b32_e32 v4, 2, v1
	;; [unrolled: 7-line block ×3, first 2 shown]
	v_cmp_lt_i32_e32 vcc, v4, v2
	s_waitcnt lgkmcnt(0)
	v_add_f32_e32 v0, v0, v3
	v_cndmask_b32_e32 v1, v1, v4, vcc
	v_lshlrev_b32_e32 v1, 2, v1
	ds_bpermute_b32 v1, v1, v0
	v_cmp_eq_u32_e32 vcc, 0, v27
	s_and_b64 exec, exec, vcc
	s_cbranch_execz .LBB281_7
; %bb.6:
	s_waitcnt lgkmcnt(0)
	v_add_f32_e32 v0, v0, v1
	v_bfe_u32 v1, v0, 16, 1
	s_movk_i32 s0, 0x7fff
	v_add3_u32 v1, v0, v1, s0
	v_lshrrev_b32_e32 v1, 16, v1
	v_mov_b32_e32 v2, 0x7fc0
	v_cmp_o_f32_e32 vcc, v0, v0
	s_mul_i32 s0, s8, s6
	v_add_u32_e32 v0, s0, v26
	v_cndmask_b32_e32 v2, v2, v1, vcc
	v_mov_b32_e32 v1, 0
	v_lshl_add_u64 v[0:1], v[0:1], 1, s[2:3]
	global_store_short v[0:1], v2, off
.LBB281_7:
	s_endpgm
	.section	.rodata,"a",@progbits
	.p2align	6, 0x0
	.amdhsa_kernel _ZL9moe_vec_qIN3c108BFloat16ELi256ELi16E10block_q3_KLi1EXadL_ZL17vec_dot_q3_K_q8_1PKvPK10block_q8_1RKiEEEvS4_S4_PT_PS8_iiii
		.amdhsa_group_segment_fixed_size 0
		.amdhsa_private_segment_fixed_size 0
		.amdhsa_kernarg_size 304
		.amdhsa_user_sgpr_count 2
		.amdhsa_user_sgpr_dispatch_ptr 0
		.amdhsa_user_sgpr_queue_ptr 0
		.amdhsa_user_sgpr_kernarg_segment_ptr 1
		.amdhsa_user_sgpr_dispatch_id 0
		.amdhsa_user_sgpr_kernarg_preload_length 0
		.amdhsa_user_sgpr_kernarg_preload_offset 0
		.amdhsa_user_sgpr_private_segment_size 0
		.amdhsa_uses_dynamic_stack 0
		.amdhsa_enable_private_segment 0
		.amdhsa_system_sgpr_workgroup_id_x 1
		.amdhsa_system_sgpr_workgroup_id_y 0
		.amdhsa_system_sgpr_workgroup_id_z 1
		.amdhsa_system_sgpr_workgroup_info 0
		.amdhsa_system_vgpr_workitem_id 1
		.amdhsa_next_free_vgpr 62
		.amdhsa_next_free_sgpr 20
		.amdhsa_accum_offset 64
		.amdhsa_reserve_vcc 1
		.amdhsa_float_round_mode_32 0
		.amdhsa_float_round_mode_16_64 0
		.amdhsa_float_denorm_mode_32 3
		.amdhsa_float_denorm_mode_16_64 3
		.amdhsa_dx10_clamp 1
		.amdhsa_ieee_mode 1
		.amdhsa_fp16_overflow 0
		.amdhsa_tg_split 0
		.amdhsa_exception_fp_ieee_invalid_op 0
		.amdhsa_exception_fp_denorm_src 0
		.amdhsa_exception_fp_ieee_div_zero 0
		.amdhsa_exception_fp_ieee_overflow 0
		.amdhsa_exception_fp_ieee_underflow 0
		.amdhsa_exception_fp_ieee_inexact 0
		.amdhsa_exception_int_div_zero 0
	.end_amdhsa_kernel
	.section	.text._ZL9moe_vec_qIN3c108BFloat16ELi256ELi16E10block_q3_KLi1EXadL_ZL17vec_dot_q3_K_q8_1PKvPK10block_q8_1RKiEEEvS4_S4_PT_PS8_iiii,"axG",@progbits,_ZL9moe_vec_qIN3c108BFloat16ELi256ELi16E10block_q3_KLi1EXadL_ZL17vec_dot_q3_K_q8_1PKvPK10block_q8_1RKiEEEvS4_S4_PT_PS8_iiii,comdat
.Lfunc_end281:
	.size	_ZL9moe_vec_qIN3c108BFloat16ELi256ELi16E10block_q3_KLi1EXadL_ZL17vec_dot_q3_K_q8_1PKvPK10block_q8_1RKiEEEvS4_S4_PT_PS8_iiii, .Lfunc_end281-_ZL9moe_vec_qIN3c108BFloat16ELi256ELi16E10block_q3_KLi1EXadL_ZL17vec_dot_q3_K_q8_1PKvPK10block_q8_1RKiEEEvS4_S4_PT_PS8_iiii
                                        ; -- End function
	.section	.AMDGPU.csdata,"",@progbits
; Kernel info:
; codeLenInByte = 2148
; NumSgprs: 26
; NumVgprs: 62
; NumAgprs: 0
; TotalNumVgprs: 62
; ScratchSize: 0
; MemoryBound: 0
; FloatMode: 240
; IeeeMode: 1
; LDSByteSize: 0 bytes/workgroup (compile time only)
; SGPRBlocks: 3
; VGPRBlocks: 7
; NumSGPRsForWavesPerEU: 26
; NumVGPRsForWavesPerEU: 62
; AccumOffset: 64
; Occupancy: 8
; WaveLimiterHint : 1
; COMPUTE_PGM_RSRC2:SCRATCH_EN: 0
; COMPUTE_PGM_RSRC2:USER_SGPR: 2
; COMPUTE_PGM_RSRC2:TRAP_HANDLER: 0
; COMPUTE_PGM_RSRC2:TGID_X_EN: 1
; COMPUTE_PGM_RSRC2:TGID_Y_EN: 0
; COMPUTE_PGM_RSRC2:TGID_Z_EN: 1
; COMPUTE_PGM_RSRC2:TIDIG_COMP_CNT: 1
; COMPUTE_PGM_RSRC3_GFX90A:ACCUM_OFFSET: 15
; COMPUTE_PGM_RSRC3_GFX90A:TG_SPLIT: 0
	.section	.text._ZL9moe_vec_qIN3c108BFloat16ELi256ELi32E10block_q4_KLi2EXadL_ZL17vec_dot_q4_K_q8_1PKvPK10block_q8_1RKiEEEvS4_S4_PT_PS8_iiii,"axG",@progbits,_ZL9moe_vec_qIN3c108BFloat16ELi256ELi32E10block_q4_KLi2EXadL_ZL17vec_dot_q4_K_q8_1PKvPK10block_q8_1RKiEEEvS4_S4_PT_PS8_iiii,comdat
	.globl	_ZL9moe_vec_qIN3c108BFloat16ELi256ELi32E10block_q4_KLi2EXadL_ZL17vec_dot_q4_K_q8_1PKvPK10block_q8_1RKiEEEvS4_S4_PT_PS8_iiii ; -- Begin function _ZL9moe_vec_qIN3c108BFloat16ELi256ELi32E10block_q4_KLi2EXadL_ZL17vec_dot_q4_K_q8_1PKvPK10block_q8_1RKiEEEvS4_S4_PT_PS8_iiii
	.p2align	8
	.type	_ZL9moe_vec_qIN3c108BFloat16ELi256ELi32E10block_q4_KLi2EXadL_ZL17vec_dot_q4_K_q8_1PKvPK10block_q8_1RKiEEEvS4_S4_PT_PS8_iiii,@function
_ZL9moe_vec_qIN3c108BFloat16ELi256ELi32E10block_q4_KLi2EXadL_ZL17vec_dot_q4_K_q8_1PKvPK10block_q8_1RKiEEEvS4_S4_PT_PS8_iiii: ; @_ZL9moe_vec_qIN3c108BFloat16ELi256ELi32E10block_q4_KLi2EXadL_ZL17vec_dot_q4_K_q8_1PKvPK10block_q8_1RKiEEEvS4_S4_PT_PS8_iiii
; %bb.0:
	s_mov_b32 s8, s3
	s_load_dword s3, s[0:1], 0x3c
	s_load_dwordx4 s[4:7], s[0:1], 0x20
	v_bfe_u32 v1, v0, 10, 10
	s_waitcnt lgkmcnt(0)
	s_lshr_b32 s3, s3, 16
	s_mul_i32 s2, s2, s3
	v_add_u32_e32 v16, s2, v1
	v_cmp_gt_u32_e32 vcc, s6, v16
	s_and_saveexec_b64 s[2:3], vcc
	s_cbranch_execz .LBB282_11
; %bb.1:
	s_load_dwordx2 s[2:3], s[0:1], 0x10
	s_ashr_i32 s9, s5, 31
	s_lshr_b32 s9, s9, 24
	s_add_i32 s5, s5, s9
	v_and_b32_e32 v17, 0x3ff, v0
	s_ashr_i32 s12, s5, 8
	v_lshrrev_b32_e32 v18, 4, v17
	v_cmp_gt_u32_e32 vcc, s12, v18
	v_mov_b32_e32 v20, 0
	s_and_saveexec_b64 s[10:11], vcc
	s_cbranch_execz .LBB282_9
; %bb.2:
	s_load_dwordx2 s[14:15], s[0:1], 0x18
	v_cvt_f32_u32_e32 v0, s4
	s_mov_b32 s9, 0
	s_lshl_b64 s[16:17], s[8:9], 2
	v_mov_b32_e32 v1, 0
	s_waitcnt lgkmcnt(0)
	s_add_u32 s14, s14, s16
	v_rcp_iflag_f32_e32 v0, v0
	s_addc_u32 s15, s15, s17
	s_load_dword s5, s[14:15], 0x0
	s_load_dwordx4 s[16:19], s[0:1], 0x0
	s_mul_i32 s0, s12, s6
	v_mul_f32_e32 v0, 0x4f7ffffe, v0
	v_cvt_u32_f32_e32 v0, v0
	s_waitcnt lgkmcnt(0)
	s_mul_i32 s0, s0, s5
	s_mul_hi_i32 s1, s0, 0x90
	s_mulk_i32 s0, 0x90
	s_add_u32 s0, s16, s0
	s_addc_u32 s1, s17, s1
	s_sub_i32 s5, 0, s4
	v_readfirstlane_b32 s14, v0
	s_mul_i32 s5, s5, s14
	s_mul_hi_u32 s5, s14, s5
	s_add_i32 s14, s14, s5
	s_mul_hi_u32 s5, s8, s14
	s_mul_i32 s14, s5, s4
	s_sub_i32 s14, s8, s14
	s_add_i32 s15, s5, 1
	s_sub_i32 s16, s14, s4
	s_cmp_ge_u32 s14, s4
	s_cselect_b32 s5, s15, s5
	s_cselect_b32 s14, s16, s14
	s_add_i32 s15, s5, 1
	s_cmp_ge_u32 s14, s4
	s_cselect_b32 s4, s15, s5
	s_mul_i32 s4, s4, s7
	s_mov_b32 s5, s9
	s_lshl_b64 s[4:5], s[4:5], 2
	v_lshlrev_b32_e32 v0, 1, v17
	s_add_u32 s4, s18, s4
	v_and_b32_e32 v4, 30, v0
	v_bfe_u32 v8, v0, 3, 2
	s_addc_u32 s5, s19, s5
	v_cmp_lt_u32_e32 vcc, 15, v4
	v_lshlrev_b32_e32 v4, 1, v8
	v_and_b32_e32 v10, 3, v17
	v_mad_u64_u32 v[4:5], s[4:5], v4, 36, s[4:5]
	s_movk_i32 s13, 0x90
	v_mul_lo_u32 v19, v16, s12
	v_lshlrev_b32_e32 v0, 5, v8
	v_lshlrev_b32_e32 v2, 2, v10
	v_mov_b32_e32 v3, v1
	v_lshlrev_b32_e32 v21, 3, v18
	s_mov_b64 s[4:5], 0
	v_mov_b64_e32 v[6:7], s[0:1]
	v_lshlrev_b32_e32 v8, 1, v8
	v_mov_b32_e32 v9, v1
	s_mov_b32 s7, 0x5040100
	s_mov_b32 s9, 0x30303030
	v_lshlrev_b32_e32 v10, 2, v10
	v_mov_b32_e32 v11, v1
	v_mov_b32_e32 v20, v1
	s_branch .LBB282_4
.LBB282_3:                              ;   in Loop: Header=BB282_4 Depth=1
	s_or_b64 exec, exec, s[0:1]
	v_mad_i64_i32 v[14:15], s[0:1], v21, 36, v[4:5]
	global_load_dword v25, v[14:15], off
	v_lshl_add_u64 v[26:27], v[14:15], 0, v[10:11]
	global_load_dword v28, v[12:13], off
	global_load_dword v29, v[26:27], off offset:20
	global_load_dword v30, v[26:27], off offset:40
	;; [unrolled: 1-line block ×5, first 2 shown]
	s_waitcnt vmcnt(8)
	v_and_b32_e32 v15, 0xf0f0f0f, v23
	v_mov_b32_e32 v27, 0
	v_mov_b32_e32 v34, 0
	v_lshrrev_b32_e32 v14, 4, v23
	v_pk_lshrrev_b16 v12, 8, v24 op_sel_hi:[0,1]
	s_waitcnt vmcnt(7)
	v_and_b32_e32 v26, 0xf0f0f0f, v22
	v_and_b32_e32 v13, 0xff00ff, v24
	v_lshrrev_b32_e32 v22, 4, v22
	v_mov_b32_e32 v23, 0
	v_mov_b32_e32 v24, 0
	v_and_b32_e32 v35, 0xf0f0f0f, v14
	v_and_b32_e32 v36, 0xf0f0f0f, v22
	v_lshrrev_b32_e32 v38, 16, v13
	v_and_b32_e32 v39, 0xff, v13
	v_lshrrev_b32_e32 v37, 16, v12
	v_and_b32_e32 v12, 0xff, v12
	v_add_u32_e32 v18, 4, v18
	v_cmp_le_u32_e64 s[0:1], s12, v18
	s_or_b64 s[4:5], s[0:1], s[4:5]
	v_add_u32_e32 v21, 32, v21
	s_waitcnt vmcnt(5)
	v_cvt_f32_f16_sdwa v13, v28 dst_sel:DWORD dst_unused:UNUSED_PAD src0_sel:WORD_1
	s_waitcnt vmcnt(3)
	v_dot4c_i32_i8_e32 v23, v35, v30
	v_dot4c_i32_i8_e32 v24, 0x1010101, v30
	v_cvt_f32_f16_e32 v14, v25
	s_waitcnt vmcnt(0)
	v_dot4c_i32_i8_e32 v27, v15, v33
	v_dot4c_i32_i8_e32 v34, 0x1010101, v33
	;; [unrolled: 1-line block ×6, first 2 shown]
	v_mul_lo_u32 v15, v27, v39
	v_mul_lo_u32 v25, v34, v38
	;; [unrolled: 1-line block ×4, first 2 shown]
	v_cvt_f32_i32_e32 v25, v25
	v_cvt_f32_i32_e32 v24, v15
	v_cvt_f32_f16_e32 v22, v32
	v_cvt_f32_i32_e32 v27, v23
	v_cvt_f32_i32_e32 v26, v12
	v_cvt_f32_f16_e32 v12, v28
	v_pk_fma_f32 v[14:15], v[14:15], v[24:25], 0 op_sel_hi:[0,1,0]
	v_pk_fma_f32 v[14:15], v[22:23], v[26:27], v[14:15] op_sel_hi:[0,1,1]
	v_pk_mul_f32 v[12:13], v[14:15], v[12:13]
	s_nop 0
	v_sub_f32_e32 v12, v12, v13
	v_add_f32_e32 v20, v20, v12
	s_andn2_b64 exec, exec, s[4:5]
	s_cbranch_execz .LBB282_8
.LBB282_4:                              ; =>This Inner Loop Header: Depth=1
	v_add_u32_e32 v12, v19, v18
	v_mad_i64_i32 v[12:13], s[0:1], v12, s13, v[6:7]
	v_lshl_add_u64 v[14:15], v[12:13], 0, v[0:1]
	v_lshl_add_u64 v[14:15], v[14:15], 0, v[2:3]
	global_load_dword v23, v[14:15], off offset:16
	global_load_dword v22, v[14:15], off offset:32
	v_lshl_add_u64 v[14:15], v[12:13], 0, v[8:9]
                                        ; implicit-def: $vgpr24
	s_and_saveexec_b64 s[0:1], vcc
	s_xor_b64 s[0:1], exec, s[0:1]
	s_cbranch_execz .LBB282_6
; %bb.5:                                ;   in Loop: Header=BB282_4 Depth=1
	global_load_ushort v24, v[14:15], off
	global_load_ushort v25, v[14:15], off offset:8
	global_load_ushort v26, v[14:15], off offset:4
	s_waitcnt vmcnt(1)
	v_lshrrev_b16_e32 v14, 4, v25
	s_waitcnt vmcnt(0)
	v_perm_b32 v15, v26, v24, s7
	v_perm_b32 v14, v14, v25, s7
	v_and_b32_e32 v14, 0xf0f0f0f, v14
	v_pk_lshrrev_b16 v15, 2, v15 op_sel_hi:[0,1]
	v_and_or_b32 v24, v15, s9, v14
                                        ; implicit-def: $vgpr14_vgpr15
.LBB282_6:                              ;   in Loop: Header=BB282_4 Depth=1
	s_andn2_saveexec_b64 s[0:1], s[0:1]
	s_cbranch_execz .LBB282_3
; %bb.7:                                ;   in Loop: Header=BB282_4 Depth=1
	global_load_ushort v24, v[14:15], off offset:4
	global_load_ushort v25, v[14:15], off offset:8
	s_waitcnt vmcnt(0)
	v_perm_b32 v14, v25, v24, s7
	v_and_b32_e32 v24, 0x3f3f3f3f, v14
	s_branch .LBB282_3
.LBB282_8:
	s_or_b64 exec, exec, s[4:5]
.LBB282_9:
	s_or_b64 exec, exec, s[10:11]
	v_mbcnt_lo_u32_b32 v0, -1, 0
	v_mbcnt_hi_u32_b32 v1, -1, v0
	v_and_b32_e32 v0, 64, v1
	v_add_u32_e32 v2, 64, v0
	v_xor_b32_e32 v0, 32, v1
	v_cmp_lt_i32_e32 vcc, v0, v2
	v_xor_b32_e32 v3, 16, v1
	v_xor_b32_e32 v4, 8, v1
	v_cndmask_b32_e32 v0, v1, v0, vcc
	v_lshlrev_b32_e32 v0, 2, v0
	ds_bpermute_b32 v0, v0, v20
	v_cmp_lt_i32_e32 vcc, v3, v2
	s_waitcnt lgkmcnt(0)
	v_add_f32_e32 v0, v20, v0
	v_cndmask_b32_e32 v3, v1, v3, vcc
	v_lshlrev_b32_e32 v3, 2, v3
	ds_bpermute_b32 v3, v3, v0
	v_cmp_lt_i32_e32 vcc, v4, v2
	s_waitcnt lgkmcnt(0)
	v_add_f32_e32 v0, v0, v3
	v_cndmask_b32_e32 v3, v1, v4, vcc
	v_lshlrev_b32_e32 v3, 2, v3
	ds_bpermute_b32 v3, v3, v0
	v_xor_b32_e32 v4, 4, v1
	v_cmp_lt_i32_e32 vcc, v4, v2
	s_waitcnt lgkmcnt(0)
	v_add_f32_e32 v0, v0, v3
	v_cndmask_b32_e32 v3, v1, v4, vcc
	v_lshlrev_b32_e32 v3, 2, v3
	ds_bpermute_b32 v3, v3, v0
	v_xor_b32_e32 v4, 2, v1
	;; [unrolled: 7-line block ×3, first 2 shown]
	v_cmp_lt_i32_e32 vcc, v4, v2
	s_waitcnt lgkmcnt(0)
	v_add_f32_e32 v0, v0, v3
	v_cndmask_b32_e32 v1, v1, v4, vcc
	v_lshlrev_b32_e32 v1, 2, v1
	ds_bpermute_b32 v1, v1, v0
	v_cmp_eq_u32_e32 vcc, 0, v17
	s_and_b64 exec, exec, vcc
	s_cbranch_execz .LBB282_11
; %bb.10:
	s_waitcnt lgkmcnt(0)
	v_add_f32_e32 v0, v0, v1
	v_bfe_u32 v1, v0, 16, 1
	s_movk_i32 s0, 0x7fff
	v_add3_u32 v1, v0, v1, s0
	v_lshrrev_b32_e32 v1, 16, v1
	v_mov_b32_e32 v2, 0x7fc0
	v_cmp_o_f32_e32 vcc, v0, v0
	s_mul_i32 s0, s8, s6
	v_add_u32_e32 v0, s0, v16
	v_cndmask_b32_e32 v2, v2, v1, vcc
	v_mov_b32_e32 v1, 0
	v_lshl_add_u64 v[0:1], v[0:1], 1, s[2:3]
	global_store_short v[0:1], v2, off
.LBB282_11:
	s_endpgm
	.section	.rodata,"a",@progbits
	.p2align	6, 0x0
	.amdhsa_kernel _ZL9moe_vec_qIN3c108BFloat16ELi256ELi32E10block_q4_KLi2EXadL_ZL17vec_dot_q4_K_q8_1PKvPK10block_q8_1RKiEEEvS4_S4_PT_PS8_iiii
		.amdhsa_group_segment_fixed_size 0
		.amdhsa_private_segment_fixed_size 0
		.amdhsa_kernarg_size 304
		.amdhsa_user_sgpr_count 2
		.amdhsa_user_sgpr_dispatch_ptr 0
		.amdhsa_user_sgpr_queue_ptr 0
		.amdhsa_user_sgpr_kernarg_segment_ptr 1
		.amdhsa_user_sgpr_dispatch_id 0
		.amdhsa_user_sgpr_kernarg_preload_length 0
		.amdhsa_user_sgpr_kernarg_preload_offset 0
		.amdhsa_user_sgpr_private_segment_size 0
		.amdhsa_uses_dynamic_stack 0
		.amdhsa_enable_private_segment 0
		.amdhsa_system_sgpr_workgroup_id_x 1
		.amdhsa_system_sgpr_workgroup_id_y 0
		.amdhsa_system_sgpr_workgroup_id_z 1
		.amdhsa_system_sgpr_workgroup_info 0
		.amdhsa_system_vgpr_workitem_id 1
		.amdhsa_next_free_vgpr 40
		.amdhsa_next_free_sgpr 20
		.amdhsa_accum_offset 40
		.amdhsa_reserve_vcc 1
		.amdhsa_float_round_mode_32 0
		.amdhsa_float_round_mode_16_64 0
		.amdhsa_float_denorm_mode_32 3
		.amdhsa_float_denorm_mode_16_64 3
		.amdhsa_dx10_clamp 1
		.amdhsa_ieee_mode 1
		.amdhsa_fp16_overflow 0
		.amdhsa_tg_split 0
		.amdhsa_exception_fp_ieee_invalid_op 0
		.amdhsa_exception_fp_denorm_src 0
		.amdhsa_exception_fp_ieee_div_zero 0
		.amdhsa_exception_fp_ieee_overflow 0
		.amdhsa_exception_fp_ieee_underflow 0
		.amdhsa_exception_fp_ieee_inexact 0
		.amdhsa_exception_int_div_zero 0
	.end_amdhsa_kernel
	.section	.text._ZL9moe_vec_qIN3c108BFloat16ELi256ELi32E10block_q4_KLi2EXadL_ZL17vec_dot_q4_K_q8_1PKvPK10block_q8_1RKiEEEvS4_S4_PT_PS8_iiii,"axG",@progbits,_ZL9moe_vec_qIN3c108BFloat16ELi256ELi32E10block_q4_KLi2EXadL_ZL17vec_dot_q4_K_q8_1PKvPK10block_q8_1RKiEEEvS4_S4_PT_PS8_iiii,comdat
.Lfunc_end282:
	.size	_ZL9moe_vec_qIN3c108BFloat16ELi256ELi32E10block_q4_KLi2EXadL_ZL17vec_dot_q4_K_q8_1PKvPK10block_q8_1RKiEEEvS4_S4_PT_PS8_iiii, .Lfunc_end282-_ZL9moe_vec_qIN3c108BFloat16ELi256ELi32E10block_q4_KLi2EXadL_ZL17vec_dot_q4_K_q8_1PKvPK10block_q8_1RKiEEEvS4_S4_PT_PS8_iiii
                                        ; -- End function
	.section	.AMDGPU.csdata,"",@progbits
; Kernel info:
; codeLenInByte = 1272
; NumSgprs: 26
; NumVgprs: 40
; NumAgprs: 0
; TotalNumVgprs: 40
; ScratchSize: 0
; MemoryBound: 0
; FloatMode: 240
; IeeeMode: 1
; LDSByteSize: 0 bytes/workgroup (compile time only)
; SGPRBlocks: 3
; VGPRBlocks: 4
; NumSGPRsForWavesPerEU: 26
; NumVGPRsForWavesPerEU: 40
; AccumOffset: 40
; Occupancy: 8
; WaveLimiterHint : 1
; COMPUTE_PGM_RSRC2:SCRATCH_EN: 0
; COMPUTE_PGM_RSRC2:USER_SGPR: 2
; COMPUTE_PGM_RSRC2:TRAP_HANDLER: 0
; COMPUTE_PGM_RSRC2:TGID_X_EN: 1
; COMPUTE_PGM_RSRC2:TGID_Y_EN: 0
; COMPUTE_PGM_RSRC2:TGID_Z_EN: 1
; COMPUTE_PGM_RSRC2:TIDIG_COMP_CNT: 1
; COMPUTE_PGM_RSRC3_GFX90A:ACCUM_OFFSET: 9
; COMPUTE_PGM_RSRC3_GFX90A:TG_SPLIT: 0
	.section	.text._ZL9moe_vec_qIN3c108BFloat16ELi256ELi32E10block_q5_KLi2EXadL_ZL17vec_dot_q5_K_q8_1PKvPK10block_q8_1RKiEEEvS4_S4_PT_PS8_iiii,"axG",@progbits,_ZL9moe_vec_qIN3c108BFloat16ELi256ELi32E10block_q5_KLi2EXadL_ZL17vec_dot_q5_K_q8_1PKvPK10block_q8_1RKiEEEvS4_S4_PT_PS8_iiii,comdat
	.globl	_ZL9moe_vec_qIN3c108BFloat16ELi256ELi32E10block_q5_KLi2EXadL_ZL17vec_dot_q5_K_q8_1PKvPK10block_q8_1RKiEEEvS4_S4_PT_PS8_iiii ; -- Begin function _ZL9moe_vec_qIN3c108BFloat16ELi256ELi32E10block_q5_KLi2EXadL_ZL17vec_dot_q5_K_q8_1PKvPK10block_q8_1RKiEEEvS4_S4_PT_PS8_iiii
	.p2align	8
	.type	_ZL9moe_vec_qIN3c108BFloat16ELi256ELi32E10block_q5_KLi2EXadL_ZL17vec_dot_q5_K_q8_1PKvPK10block_q8_1RKiEEEvS4_S4_PT_PS8_iiii,@function
_ZL9moe_vec_qIN3c108BFloat16ELi256ELi32E10block_q5_KLi2EXadL_ZL17vec_dot_q5_K_q8_1PKvPK10block_q8_1RKiEEEvS4_S4_PT_PS8_iiii: ; @_ZL9moe_vec_qIN3c108BFloat16ELi256ELi32E10block_q5_KLi2EXadL_ZL17vec_dot_q5_K_q8_1PKvPK10block_q8_1RKiEEEvS4_S4_PT_PS8_iiii
; %bb.0:
	s_mov_b32 s8, s3
	s_load_dword s3, s[0:1], 0x3c
	s_load_dwordx4 s[4:7], s[0:1], 0x20
	v_bfe_u32 v1, v0, 10, 10
	s_waitcnt lgkmcnt(0)
	s_lshr_b32 s3, s3, 16
	s_mul_i32 s2, s2, s3
	v_add_u32_e32 v16, s2, v1
	v_cmp_gt_u32_e32 vcc, s6, v16
	s_and_saveexec_b64 s[2:3], vcc
	s_cbranch_execz .LBB283_11
; %bb.1:
	s_load_dwordx2 s[2:3], s[0:1], 0x10
	s_ashr_i32 s9, s5, 31
	s_lshr_b32 s9, s9, 24
	s_add_i32 s5, s5, s9
	v_and_b32_e32 v17, 0x3ff, v0
	s_ashr_i32 s12, s5, 8
	v_lshrrev_b32_e32 v18, 4, v17
	v_cmp_gt_u32_e32 vcc, s12, v18
	v_mov_b32_e32 v20, 0
	s_and_saveexec_b64 s[10:11], vcc
	s_cbranch_execz .LBB283_9
; %bb.2:
	s_load_dwordx2 s[14:15], s[0:1], 0x18
	v_cvt_f32_u32_e32 v0, s4
	s_mov_b32 s9, 0
	s_lshl_b64 s[16:17], s[8:9], 2
	v_mov_b32_e32 v1, 0
	s_waitcnt lgkmcnt(0)
	s_add_u32 s14, s14, s16
	v_rcp_iflag_f32_e32 v0, v0
	s_addc_u32 s15, s15, s17
	s_load_dword s5, s[14:15], 0x0
	s_load_dwordx4 s[16:19], s[0:1], 0x0
	s_mul_i32 s0, s12, s6
	v_mul_f32_e32 v0, 0x4f7ffffe, v0
	v_cvt_u32_f32_e32 v0, v0
	s_waitcnt lgkmcnt(0)
	s_mul_i32 s0, s0, s5
	s_mul_hi_i32 s1, s0, 0xb0
	s_mulk_i32 s0, 0xb0
	s_add_u32 s0, s16, s0
	s_addc_u32 s1, s17, s1
	s_sub_i32 s5, 0, s4
	v_readfirstlane_b32 s14, v0
	s_mul_i32 s5, s5, s14
	s_mul_hi_u32 s5, s14, s5
	s_add_i32 s14, s14, s5
	s_mul_hi_u32 s5, s8, s14
	s_mul_i32 s14, s5, s4
	s_sub_i32 s14, s8, s14
	s_add_i32 s15, s5, 1
	s_sub_i32 s16, s14, s4
	s_cmp_ge_u32 s14, s4
	s_cselect_b32 s5, s15, s5
	s_cselect_b32 s14, s16, s14
	s_add_i32 s15, s5, 1
	s_cmp_ge_u32 s14, s4
	s_cselect_b32 s4, s15, s5
	s_mul_i32 s4, s4, s7
	s_mov_b32 s5, s9
	s_lshl_b64 s[4:5], s[4:5], 2
	v_lshlrev_b32_e32 v0, 1, v17
	s_add_u32 s4, s18, s4
	v_bfe_u32 v8, v0, 3, 2
	s_addc_u32 s5, s19, s5
	v_and_b32_e32 v4, 30, v0
	v_lshlrev_b32_e32 v21, 1, v8
	v_and_b32_e32 v10, 3, v17
	v_cmp_lt_u32_e32 vcc, 15, v4
	v_mad_u64_u32 v[4:5], s[4:5], v21, 36, s[4:5]
	s_movk_i32 s13, 0xb0
	v_mul_lo_u32 v19, v16, s12
	v_lshlrev_b32_e32 v0, 5, v8
	v_lshlrev_b32_e32 v2, 2, v10
	v_mov_b32_e32 v3, v1
	v_lshlrev_b32_e32 v22, 3, v18
	s_mov_b64 s[4:5], 0
	v_mov_b64_e32 v[6:7], s[0:1]
	v_lshlrev_b32_e32 v8, 1, v8
	v_mov_b32_e32 v9, v1
	s_mov_b32 s7, 0x5040100
	s_mov_b32 s9, 0x30303030
	v_lshlrev_b32_e32 v10, 2, v10
	v_mov_b32_e32 v11, v1
	s_mov_b32 s14, 0x10101010
	v_mov_b32_e32 v20, v1
	s_branch .LBB283_4
.LBB283_3:                              ;   in Loop: Header=BB283_4 Depth=1
	s_or_b64 exec, exec, s[0:1]
	v_mad_i64_i32 v[14:15], s[0:1], v22, 36, v[4:5]
	global_load_dword v30, v[14:15], off
	v_lshl_add_u64 v[28:29], v[14:15], 0, v[10:11]
	global_load_dword v31, v[12:13], off
	global_load_dword v32, v[28:29], off offset:20
	global_load_dword v33, v[28:29], off offset:40
	;; [unrolled: 1-line block ×5, first 2 shown]
	s_waitcnt vmcnt(7)
	v_ashrrev_i32_e32 v13, v21, v26
	v_ashrrev_i32_e32 v14, v21, v25
	v_and_b32_e32 v25, 0xf0f0f0f, v23
	v_lshrrev_b32_e32 v23, 4, v23
	v_lshlrev_b32_e32 v39, 4, v13
	v_and_b32_e32 v15, 0xf0f0f0f, v24
	v_mov_b32_e32 v26, 0
	v_mov_b32_e32 v28, 0
	v_lshrrev_b32_e32 v24, 4, v24
	v_lshlrev_b32_e32 v38, 4, v14
	v_and_b32_e32 v23, 0xf0f0f0f, v23
	v_lshlrev_b32_e32 v13, 3, v13
	v_and_or_b32 v25, v39, s14, v25
	v_pk_lshrrev_b16 v12, 8, v27 op_sel_hi:[0,1]
	v_and_b32_e32 v27, 0xff00ff, v27
	v_mov_b32_e32 v29, 0
	v_mov_b32_e32 v37, 0
	v_and_b32_e32 v24, 0xf0f0f0f, v24
	v_lshlrev_b32_e32 v14, 3, v14
	v_and_or_b32 v15, v38, s14, v15
	v_and_or_b32 v23, v13, s14, v23
	v_lshrrev_b32_e32 v41, 16, v27
	v_and_b32_e32 v27, 0xff, v27
	v_and_or_b32 v38, v14, s14, v24
	v_lshrrev_b32_e32 v40, 16, v12
	v_and_b32_e32 v12, 0xff, v12
	v_add_u32_e32 v18, 4, v18
	v_cmp_le_u32_e64 s[0:1], s12, v18
	s_or_b64 s[4:5], s[0:1], s[4:5]
	v_add_u32_e32 v22, 32, v22
	s_waitcnt vmcnt(5)
	v_cvt_f32_f16_sdwa v13, v31 dst_sel:DWORD dst_unused:UNUSED_PAD src0_sel:WORD_1
	s_waitcnt vmcnt(4)
	v_dot4c_i32_i8_e32 v26, v25, v32
	v_dot4c_i32_i8_e32 v28, 0x1010101, v32
	s_waitcnt vmcnt(2)
	v_dot4c_i32_i8_e32 v29, v23, v34
	v_dot4c_i32_i8_e32 v37, 0x1010101, v34
	;; [unrolled: 3-line block ×3, first 2 shown]
	v_dot4c_i32_i8_e32 v29, v38, v33
	v_dot4c_i32_i8_e32 v37, 0x1010101, v33
	v_mul_lo_u32 v15, v26, v27
	v_mul_lo_u32 v23, v28, v41
	v_cvt_f32_f16_e32 v14, v30
	v_mul_lo_u32 v12, v29, v12
	v_mul_lo_u32 v25, v37, v40
	v_cvt_f32_i32_e32 v27, v23
	v_cvt_f32_i32_e32 v26, v15
	v_cvt_f32_f16_e32 v24, v35
	v_cvt_f32_i32_e32 v29, v25
	v_cvt_f32_i32_e32 v28, v12
	v_cvt_f32_f16_e32 v12, v31
	v_pk_fma_f32 v[14:15], v[14:15], v[26:27], 0 op_sel_hi:[0,1,0]
	v_pk_fma_f32 v[14:15], v[24:25], v[28:29], v[14:15] op_sel_hi:[0,1,1]
	v_pk_mul_f32 v[12:13], v[14:15], v[12:13]
	s_nop 0
	v_sub_f32_e32 v12, v12, v13
	v_add_f32_e32 v20, v20, v12
	s_andn2_b64 exec, exec, s[4:5]
	s_cbranch_execz .LBB283_8
.LBB283_4:                              ; =>This Inner Loop Header: Depth=1
	v_add_u32_e32 v12, v19, v18
	v_mad_i64_i32 v[12:13], s[0:1], v12, s13, v[6:7]
	v_lshl_add_u64 v[14:15], v[12:13], 0, v[2:3]
	v_lshl_add_u64 v[28:29], v[14:15], 0, v[0:1]
	global_load_dword v23, v[28:29], off offset:64
	global_load_dword v25, v[14:15], off offset:16
	;; [unrolled: 1-line block ×4, first 2 shown]
	v_lshl_add_u64 v[14:15], v[12:13], 0, v[8:9]
                                        ; implicit-def: $vgpr27
	s_and_saveexec_b64 s[0:1], vcc
	s_xor_b64 s[0:1], exec, s[0:1]
	s_cbranch_execz .LBB283_6
; %bb.5:                                ;   in Loop: Header=BB283_4 Depth=1
	global_load_ushort v27, v[14:15], off
	global_load_ushort v28, v[14:15], off offset:8
	global_load_ushort v29, v[14:15], off offset:4
	s_waitcnt vmcnt(1)
	v_lshrrev_b16_e32 v14, 4, v28
	s_waitcnt vmcnt(0)
	v_perm_b32 v15, v29, v27, s7
	v_perm_b32 v14, v14, v28, s7
	v_and_b32_e32 v14, 0xf0f0f0f, v14
	v_pk_lshrrev_b16 v15, 2, v15 op_sel_hi:[0,1]
	v_and_or_b32 v27, v15, s9, v14
                                        ; implicit-def: $vgpr14_vgpr15
.LBB283_6:                              ;   in Loop: Header=BB283_4 Depth=1
	s_andn2_saveexec_b64 s[0:1], s[0:1]
	s_cbranch_execz .LBB283_3
; %bb.7:                                ;   in Loop: Header=BB283_4 Depth=1
	global_load_ushort v27, v[14:15], off offset:4
	global_load_ushort v28, v[14:15], off offset:8
	s_waitcnt vmcnt(0)
	v_perm_b32 v14, v28, v27, s7
	v_and_b32_e32 v27, 0x3f3f3f3f, v14
	s_branch .LBB283_3
.LBB283_8:
	s_or_b64 exec, exec, s[4:5]
.LBB283_9:
	s_or_b64 exec, exec, s[10:11]
	v_mbcnt_lo_u32_b32 v0, -1, 0
	v_mbcnt_hi_u32_b32 v1, -1, v0
	v_and_b32_e32 v0, 64, v1
	v_add_u32_e32 v2, 64, v0
	v_xor_b32_e32 v0, 32, v1
	v_cmp_lt_i32_e32 vcc, v0, v2
	v_xor_b32_e32 v3, 16, v1
	v_xor_b32_e32 v4, 8, v1
	v_cndmask_b32_e32 v0, v1, v0, vcc
	v_lshlrev_b32_e32 v0, 2, v0
	ds_bpermute_b32 v0, v0, v20
	v_cmp_lt_i32_e32 vcc, v3, v2
	s_waitcnt lgkmcnt(0)
	v_add_f32_e32 v0, v20, v0
	v_cndmask_b32_e32 v3, v1, v3, vcc
	v_lshlrev_b32_e32 v3, 2, v3
	ds_bpermute_b32 v3, v3, v0
	v_cmp_lt_i32_e32 vcc, v4, v2
	s_waitcnt lgkmcnt(0)
	v_add_f32_e32 v0, v0, v3
	v_cndmask_b32_e32 v3, v1, v4, vcc
	v_lshlrev_b32_e32 v3, 2, v3
	ds_bpermute_b32 v3, v3, v0
	v_xor_b32_e32 v4, 4, v1
	v_cmp_lt_i32_e32 vcc, v4, v2
	s_waitcnt lgkmcnt(0)
	v_add_f32_e32 v0, v0, v3
	v_cndmask_b32_e32 v3, v1, v4, vcc
	v_lshlrev_b32_e32 v3, 2, v3
	ds_bpermute_b32 v3, v3, v0
	v_xor_b32_e32 v4, 2, v1
	;; [unrolled: 7-line block ×3, first 2 shown]
	v_cmp_lt_i32_e32 vcc, v4, v2
	s_waitcnt lgkmcnt(0)
	v_add_f32_e32 v0, v0, v3
	v_cndmask_b32_e32 v1, v1, v4, vcc
	v_lshlrev_b32_e32 v1, 2, v1
	ds_bpermute_b32 v1, v1, v0
	v_cmp_eq_u32_e32 vcc, 0, v17
	s_and_b64 exec, exec, vcc
	s_cbranch_execz .LBB283_11
; %bb.10:
	s_waitcnt lgkmcnt(0)
	v_add_f32_e32 v0, v0, v1
	v_bfe_u32 v1, v0, 16, 1
	s_movk_i32 s0, 0x7fff
	v_add3_u32 v1, v0, v1, s0
	v_lshrrev_b32_e32 v1, 16, v1
	v_mov_b32_e32 v2, 0x7fc0
	v_cmp_o_f32_e32 vcc, v0, v0
	s_mul_i32 s0, s8, s6
	v_add_u32_e32 v0, s0, v16
	v_cndmask_b32_e32 v2, v2, v1, vcc
	v_mov_b32_e32 v1, 0
	v_lshl_add_u64 v[0:1], v[0:1], 1, s[2:3]
	global_store_short v[0:1], v2, off
.LBB283_11:
	s_endpgm
	.section	.rodata,"a",@progbits
	.p2align	6, 0x0
	.amdhsa_kernel _ZL9moe_vec_qIN3c108BFloat16ELi256ELi32E10block_q5_KLi2EXadL_ZL17vec_dot_q5_K_q8_1PKvPK10block_q8_1RKiEEEvS4_S4_PT_PS8_iiii
		.amdhsa_group_segment_fixed_size 0
		.amdhsa_private_segment_fixed_size 0
		.amdhsa_kernarg_size 304
		.amdhsa_user_sgpr_count 2
		.amdhsa_user_sgpr_dispatch_ptr 0
		.amdhsa_user_sgpr_queue_ptr 0
		.amdhsa_user_sgpr_kernarg_segment_ptr 1
		.amdhsa_user_sgpr_dispatch_id 0
		.amdhsa_user_sgpr_kernarg_preload_length 0
		.amdhsa_user_sgpr_kernarg_preload_offset 0
		.amdhsa_user_sgpr_private_segment_size 0
		.amdhsa_uses_dynamic_stack 0
		.amdhsa_enable_private_segment 0
		.amdhsa_system_sgpr_workgroup_id_x 1
		.amdhsa_system_sgpr_workgroup_id_y 0
		.amdhsa_system_sgpr_workgroup_id_z 1
		.amdhsa_system_sgpr_workgroup_info 0
		.amdhsa_system_vgpr_workitem_id 1
		.amdhsa_next_free_vgpr 42
		.amdhsa_next_free_sgpr 20
		.amdhsa_accum_offset 44
		.amdhsa_reserve_vcc 1
		.amdhsa_float_round_mode_32 0
		.amdhsa_float_round_mode_16_64 0
		.amdhsa_float_denorm_mode_32 3
		.amdhsa_float_denorm_mode_16_64 3
		.amdhsa_dx10_clamp 1
		.amdhsa_ieee_mode 1
		.amdhsa_fp16_overflow 0
		.amdhsa_tg_split 0
		.amdhsa_exception_fp_ieee_invalid_op 0
		.amdhsa_exception_fp_denorm_src 0
		.amdhsa_exception_fp_ieee_div_zero 0
		.amdhsa_exception_fp_ieee_overflow 0
		.amdhsa_exception_fp_ieee_underflow 0
		.amdhsa_exception_fp_ieee_inexact 0
		.amdhsa_exception_int_div_zero 0
	.end_amdhsa_kernel
	.section	.text._ZL9moe_vec_qIN3c108BFloat16ELi256ELi32E10block_q5_KLi2EXadL_ZL17vec_dot_q5_K_q8_1PKvPK10block_q8_1RKiEEEvS4_S4_PT_PS8_iiii,"axG",@progbits,_ZL9moe_vec_qIN3c108BFloat16ELi256ELi32E10block_q5_KLi2EXadL_ZL17vec_dot_q5_K_q8_1PKvPK10block_q8_1RKiEEEvS4_S4_PT_PS8_iiii,comdat
.Lfunc_end283:
	.size	_ZL9moe_vec_qIN3c108BFloat16ELi256ELi32E10block_q5_KLi2EXadL_ZL17vec_dot_q5_K_q8_1PKvPK10block_q8_1RKiEEEvS4_S4_PT_PS8_iiii, .Lfunc_end283-_ZL9moe_vec_qIN3c108BFloat16ELi256ELi32E10block_q5_KLi2EXadL_ZL17vec_dot_q5_K_q8_1PKvPK10block_q8_1RKiEEEvS4_S4_PT_PS8_iiii
                                        ; -- End function
	.section	.AMDGPU.csdata,"",@progbits
; Kernel info:
; codeLenInByte = 1352
; NumSgprs: 26
; NumVgprs: 42
; NumAgprs: 0
; TotalNumVgprs: 42
; ScratchSize: 0
; MemoryBound: 0
; FloatMode: 240
; IeeeMode: 1
; LDSByteSize: 0 bytes/workgroup (compile time only)
; SGPRBlocks: 3
; VGPRBlocks: 5
; NumSGPRsForWavesPerEU: 26
; NumVGPRsForWavesPerEU: 42
; AccumOffset: 44
; Occupancy: 8
; WaveLimiterHint : 1
; COMPUTE_PGM_RSRC2:SCRATCH_EN: 0
; COMPUTE_PGM_RSRC2:USER_SGPR: 2
; COMPUTE_PGM_RSRC2:TRAP_HANDLER: 0
; COMPUTE_PGM_RSRC2:TGID_X_EN: 1
; COMPUTE_PGM_RSRC2:TGID_Y_EN: 0
; COMPUTE_PGM_RSRC2:TGID_Z_EN: 1
; COMPUTE_PGM_RSRC2:TIDIG_COMP_CNT: 1
; COMPUTE_PGM_RSRC3_GFX90A:ACCUM_OFFSET: 10
; COMPUTE_PGM_RSRC3_GFX90A:TG_SPLIT: 0
	.section	.text._ZL9moe_vec_qIN3c108BFloat16ELi256ELi32E10block_q6_KLi1EXadL_ZL17vec_dot_q6_K_q8_1PKvPK10block_q8_1RKiEEEvS4_S4_PT_PS8_iiii,"axG",@progbits,_ZL9moe_vec_qIN3c108BFloat16ELi256ELi32E10block_q6_KLi1EXadL_ZL17vec_dot_q6_K_q8_1PKvPK10block_q8_1RKiEEEvS4_S4_PT_PS8_iiii,comdat
	.globl	_ZL9moe_vec_qIN3c108BFloat16ELi256ELi32E10block_q6_KLi1EXadL_ZL17vec_dot_q6_K_q8_1PKvPK10block_q8_1RKiEEEvS4_S4_PT_PS8_iiii ; -- Begin function _ZL9moe_vec_qIN3c108BFloat16ELi256ELi32E10block_q6_KLi1EXadL_ZL17vec_dot_q6_K_q8_1PKvPK10block_q8_1RKiEEEvS4_S4_PT_PS8_iiii
	.p2align	8
	.type	_ZL9moe_vec_qIN3c108BFloat16ELi256ELi32E10block_q6_KLi1EXadL_ZL17vec_dot_q6_K_q8_1PKvPK10block_q8_1RKiEEEvS4_S4_PT_PS8_iiii,@function
_ZL9moe_vec_qIN3c108BFloat16ELi256ELi32E10block_q6_KLi1EXadL_ZL17vec_dot_q6_K_q8_1PKvPK10block_q8_1RKiEEEvS4_S4_PT_PS8_iiii: ; @_ZL9moe_vec_qIN3c108BFloat16ELi256ELi32E10block_q6_KLi1EXadL_ZL17vec_dot_q6_K_q8_1PKvPK10block_q8_1RKiEEEvS4_S4_PT_PS8_iiii
; %bb.0:
	s_mov_b32 s8, s3
	s_load_dword s3, s[0:1], 0x3c
	s_load_dwordx4 s[4:7], s[0:1], 0x20
	v_bfe_u32 v1, v0, 10, 10
	s_waitcnt lgkmcnt(0)
	s_lshr_b32 s3, s3, 16
	s_mul_i32 s2, s2, s3
	v_add_u32_e32 v12, s2, v1
	v_cmp_gt_u32_e32 vcc, s6, v12
	s_and_saveexec_b64 s[2:3], vcc
	s_cbranch_execz .LBB284_7
; %bb.1:
	s_load_dwordx2 s[2:3], s[0:1], 0x10
	s_ashr_i32 s9, s5, 31
	s_lshr_b32 s9, s9, 24
	s_add_i32 s5, s5, s9
	v_and_b32_e32 v13, 0x3ff, v0
	s_ashr_i32 s5, s5, 8
	v_lshrrev_b32_e32 v14, 5, v13
	v_cmp_gt_u32_e32 vcc, s5, v14
	v_mov_b32_e32 v16, 0
	s_and_saveexec_b64 s[10:11], vcc
	s_cbranch_execz .LBB284_5
; %bb.2:
	s_load_dwordx2 s[12:13], s[0:1], 0x18
	v_cvt_f32_u32_e32 v0, s4
	s_mov_b32 s9, 0
	s_lshl_b64 s[14:15], s[8:9], 2
	v_and_b32_e32 v4, 7, v13
	s_waitcnt lgkmcnt(0)
	s_add_u32 s12, s12, s14
	v_rcp_iflag_f32_e32 v0, v0
	s_addc_u32 s13, s13, s15
	s_load_dword s14, s[12:13], 0x0
	s_load_dwordx4 s[16:19], s[0:1], 0x0
	s_mul_i32 s0, s5, s6
	v_mul_f32_e32 v0, 0x4f7ffffe, v0
	v_cvt_u32_f32_e32 v0, v0
	s_waitcnt lgkmcnt(0)
	s_mul_i32 s0, s0, s14
	s_mul_hi_i32 s1, s0, 0xd2
	s_mulk_i32 s0, 0xd2
	s_add_u32 s14, s16, s0
	s_addc_u32 s15, s17, s1
	s_sub_i32 s0, 0, s4
	v_readfirstlane_b32 s1, v0
	s_mul_i32 s0, s0, s1
	s_mul_hi_u32 s0, s1, s0
	s_add_i32 s1, s1, s0
	s_mul_hi_u32 s0, s8, s1
	s_mul_i32 s1, s0, s4
	s_sub_i32 s1, s8, s1
	s_add_i32 s13, s0, 1
	s_sub_i32 s16, s1, s4
	s_cmp_ge_u32 s1, s4
	s_cselect_b32 s0, s13, s0
	v_and_b32_e32 v0, 31, v13
	s_cselect_b32 s1, s16, s1
	s_add_i32 s13, s0, 1
	v_add_u32_e32 v1, 0xf0, v0
	v_cmp_gt_u32_e32 vcc, 16, v0
	s_cmp_ge_u32 s1, s4
	s_cselect_b32 s0, s13, s0
	v_cndmask_b32_e32 v8, v1, v0, vcc
	v_and_b32_e32 v1, 0xf8, v8
	s_mul_i32 s0, s0, s7
	s_mov_b32 s1, s9
	v_cmp_ne_u32_e32 vcc, 0, v1
	s_lshl_b64 s[0:1], s[0:1], 2
	s_add_u32 s0, s18, s0
	v_cndmask_b32_e64 v9, 0, 1, vcc
	v_cmp_lt_u32_e32 vcc, 15, v0
	s_addc_u32 s1, s19, s1
	v_mov_b32_e32 v1, 0
	v_cndmask_b32_e64 v2, 0, 1, vcc
	v_lshl_or_b32 v6, v2, 2, v9
	v_lshlrev_b32_e32 v10, 3, v2
	v_or_b32_e32 v2, v10, v4
	v_mad_u64_u32 v[6:7], s[0:1], v6, 36, s[0:1]
	v_bfe_u32 v8, v8, 2, 6
	s_movk_i32 s12, 0xd2
	v_mul_lo_u32 v15, v12, s5
	v_lshlrev_b32_e32 v0, 2, v0
	v_lshlrev_b32_e32 v2, 2, v2
	v_mov_b32_e32 v3, v1
	v_lshlrev_b32_e32 v4, 2, v4
	v_mov_b32_e32 v5, v1
	v_lshlrev_b32_e32 v17, 1, v9
	v_add_u32_e32 v8, v8, v10
	v_mov_b32_e32 v9, v1
	v_lshlrev_b32_e32 v18, 3, v14
	s_mov_b64 s[0:1], 0
	v_mov_b64_e32 v[10:11], s[14:15]
	s_mov_b32 s4, 0xf0f0f0f
	s_mov_b32 s7, 0x30303030
	s_movk_i32 s9, 0x3f00
	s_movk_i32 s13, 0xe000
	v_mov_b32_e32 v19, 8
	v_mov_b32_e32 v16, v1
.LBB284_3:                              ; =>This Inner Loop Header: Depth=1
	v_add_u32_e32 v20, v15, v14
	v_mad_i64_i32 v[20:21], s[14:15], v20, s12, v[10:11]
	v_lshl_add_u64 v[24:25], v[20:21], 0, v[2:3]
	v_lshl_add_u64 v[22:23], v[20:21], 0, v[0:1]
	global_load_dword v26, v[24:25], off offset:128
	global_load_dword v27, v[22:23], off
	v_mad_i64_i32 v[22:23], s[14:15], v18, 36, v[6:7]
	v_lshl_add_u64 v[24:25], v[22:23], 0, v[4:5]
	global_load_dword v28, v[24:25], off offset:4
	global_load_dword v29, v[24:25], off offset:76
	v_lshl_add_u64 v[24:25], v[20:21], 0, v[8:9]
	global_load_sbyte v30, v[24:25], off offset:192
	global_load_sbyte v31, v[24:25], off offset:196
	global_load_dword v32, v[22:23], off
	global_load_dword v33, v[22:23], off offset:72
	global_load_ushort v34, v[20:21], off offset:208
	v_mov_b32_e32 v20, 0
	v_mov_b32_e32 v21, 0
	v_add_u32_e32 v14, 2, v14
	v_cmp_le_u32_e32 vcc, s5, v14
	v_add_u32_e32 v18, 16, v18
	s_or_b64 s[0:1], vcc, s[0:1]
	s_waitcnt vmcnt(8)
	v_ashrrev_i32_e32 v22, v17, v26
	s_waitcnt vmcnt(7)
	v_and_b32_e32 v23, 0xf0f0f0f, v27
	v_lshlrev_b32_e32 v25, 4, v22
	v_lshrrev_b32_e32 v24, 4, v27
	v_and_b32_e32 v22, 0x30303030, v22
	v_and_or_b32 v23, v25, s7, v23
	v_and_or_b32 v22, v24, s4, v22
	v_and_b32_e32 v24, 0x3f00, v23
	v_lshlrev_b16_e32 v25, 8, v23
	v_and_b32_sdwa v26, v23, s9 dst_sel:DWORD dst_unused:UNUSED_PAD src0_sel:WORD_1 src1_sel:DWORD
	v_lshlrev_b16_sdwa v23, v19, v23 dst_sel:DWORD dst_unused:UNUSED_PAD src0_sel:DWORD src1_sel:WORD_1
	v_and_b32_e32 v27, 0x3f00, v22
	v_lshlrev_b16_e32 v35, 8, v22
	v_and_b32_sdwa v36, v22, s9 dst_sel:DWORD dst_unused:UNUSED_PAD src0_sel:WORD_1 src1_sel:DWORD
	v_lshlrev_b16_sdwa v22, v19, v22 dst_sel:DWORD dst_unused:UNUSED_PAD src0_sel:DWORD src1_sel:WORD_1
	v_add_u16_e32 v25, 0xe000, v25
	v_add_u16_e32 v23, 0xe000, v23
	v_add_u16_e32 v35, 0xe000, v35
	v_add_u16_e32 v22, 0xe000, v22
	v_or_b32_sdwa v24, v24, v25 dst_sel:DWORD dst_unused:UNUSED_PAD src0_sel:DWORD src1_sel:BYTE_1
	v_or_b32_sdwa v23, v26, v23 dst_sel:DWORD dst_unused:UNUSED_PAD src0_sel:DWORD src1_sel:BYTE_1
	;; [unrolled: 1-line block ×4, first 2 shown]
	v_add_u16_e32 v24, 0xe000, v24
	v_add_u16_sdwa v23, v23, s13 dst_sel:WORD_1 dst_unused:UNUSED_PAD src0_sel:DWORD src1_sel:DWORD
	v_add_u16_e32 v25, 0xe000, v25
	v_add_u16_sdwa v22, v22, s13 dst_sel:WORD_1 dst_unused:UNUSED_PAD src0_sel:DWORD src1_sel:DWORD
	v_or_b32_e32 v23, v24, v23
	v_or_b32_e32 v22, v25, v22
	s_waitcnt vmcnt(6)
	v_dot4c_i32_i8_e32 v20, v23, v28
	s_waitcnt vmcnt(5)
	v_dot4c_i32_i8_e32 v21, v22, v29
	s_waitcnt vmcnt(4)
	v_mul_lo_u32 v20, v20, v30
	s_waitcnt vmcnt(3)
	v_mul_lo_u32 v21, v21, v31
	v_cvt_f32_i32_e32 v20, v20
	v_cvt_f32_i32_e32 v21, v21
	s_waitcnt vmcnt(2)
	v_fma_mix_f32 v20, v32, v20, 0 op_sel_hi:[1,0,0]
	s_waitcnt vmcnt(1)
	v_fma_mix_f32 v20, v33, v21, v20 op_sel_hi:[1,0,0]
	;; [unrolled: 2-line block ×3, first 2 shown]
	s_andn2_b64 exec, exec, s[0:1]
	s_cbranch_execnz .LBB284_3
; %bb.4:
	s_or_b64 exec, exec, s[0:1]
.LBB284_5:
	s_or_b64 exec, exec, s[10:11]
	v_mbcnt_lo_u32_b32 v0, -1, 0
	v_mbcnt_hi_u32_b32 v1, -1, v0
	v_and_b32_e32 v0, 64, v1
	v_add_u32_e32 v2, 64, v0
	v_xor_b32_e32 v0, 32, v1
	v_cmp_lt_i32_e32 vcc, v0, v2
	v_xor_b32_e32 v3, 16, v1
	v_xor_b32_e32 v4, 8, v1
	v_cndmask_b32_e32 v0, v1, v0, vcc
	v_lshlrev_b32_e32 v0, 2, v0
	ds_bpermute_b32 v0, v0, v16
	v_cmp_lt_i32_e32 vcc, v3, v2
	s_waitcnt lgkmcnt(0)
	v_add_f32_e32 v0, v16, v0
	v_cndmask_b32_e32 v3, v1, v3, vcc
	v_lshlrev_b32_e32 v3, 2, v3
	ds_bpermute_b32 v3, v3, v0
	v_cmp_lt_i32_e32 vcc, v4, v2
	s_waitcnt lgkmcnt(0)
	v_add_f32_e32 v0, v0, v3
	v_cndmask_b32_e32 v3, v1, v4, vcc
	v_lshlrev_b32_e32 v3, 2, v3
	ds_bpermute_b32 v3, v3, v0
	v_xor_b32_e32 v4, 4, v1
	v_cmp_lt_i32_e32 vcc, v4, v2
	s_waitcnt lgkmcnt(0)
	v_add_f32_e32 v0, v0, v3
	v_cndmask_b32_e32 v3, v1, v4, vcc
	v_lshlrev_b32_e32 v3, 2, v3
	ds_bpermute_b32 v3, v3, v0
	v_xor_b32_e32 v4, 2, v1
	;; [unrolled: 7-line block ×3, first 2 shown]
	v_cmp_lt_i32_e32 vcc, v4, v2
	s_waitcnt lgkmcnt(0)
	v_add_f32_e32 v0, v0, v3
	v_cndmask_b32_e32 v1, v1, v4, vcc
	v_lshlrev_b32_e32 v1, 2, v1
	ds_bpermute_b32 v1, v1, v0
	v_cmp_eq_u32_e32 vcc, 0, v13
	s_and_b64 exec, exec, vcc
	s_cbranch_execz .LBB284_7
; %bb.6:
	s_waitcnt lgkmcnt(0)
	v_add_f32_e32 v0, v0, v1
	v_bfe_u32 v1, v0, 16, 1
	s_movk_i32 s0, 0x7fff
	v_add3_u32 v1, v0, v1, s0
	v_lshrrev_b32_e32 v1, 16, v1
	v_mov_b32_e32 v2, 0x7fc0
	v_cmp_o_f32_e32 vcc, v0, v0
	s_mul_i32 s0, s8, s6
	v_add_u32_e32 v0, s0, v12
	v_cndmask_b32_e32 v2, v2, v1, vcc
	v_mov_b32_e32 v1, 0
	v_lshl_add_u64 v[0:1], v[0:1], 1, s[2:3]
	global_store_short v[0:1], v2, off
.LBB284_7:
	s_endpgm
	.section	.rodata,"a",@progbits
	.p2align	6, 0x0
	.amdhsa_kernel _ZL9moe_vec_qIN3c108BFloat16ELi256ELi32E10block_q6_KLi1EXadL_ZL17vec_dot_q6_K_q8_1PKvPK10block_q8_1RKiEEEvS4_S4_PT_PS8_iiii
		.amdhsa_group_segment_fixed_size 0
		.amdhsa_private_segment_fixed_size 0
		.amdhsa_kernarg_size 304
		.amdhsa_user_sgpr_count 2
		.amdhsa_user_sgpr_dispatch_ptr 0
		.amdhsa_user_sgpr_queue_ptr 0
		.amdhsa_user_sgpr_kernarg_segment_ptr 1
		.amdhsa_user_sgpr_dispatch_id 0
		.amdhsa_user_sgpr_kernarg_preload_length 0
		.amdhsa_user_sgpr_kernarg_preload_offset 0
		.amdhsa_user_sgpr_private_segment_size 0
		.amdhsa_uses_dynamic_stack 0
		.amdhsa_enable_private_segment 0
		.amdhsa_system_sgpr_workgroup_id_x 1
		.amdhsa_system_sgpr_workgroup_id_y 0
		.amdhsa_system_sgpr_workgroup_id_z 1
		.amdhsa_system_sgpr_workgroup_info 0
		.amdhsa_system_vgpr_workitem_id 1
		.amdhsa_next_free_vgpr 37
		.amdhsa_next_free_sgpr 20
		.amdhsa_accum_offset 40
		.amdhsa_reserve_vcc 1
		.amdhsa_float_round_mode_32 0
		.amdhsa_float_round_mode_16_64 0
		.amdhsa_float_denorm_mode_32 3
		.amdhsa_float_denorm_mode_16_64 3
		.amdhsa_dx10_clamp 1
		.amdhsa_ieee_mode 1
		.amdhsa_fp16_overflow 0
		.amdhsa_tg_split 0
		.amdhsa_exception_fp_ieee_invalid_op 0
		.amdhsa_exception_fp_denorm_src 0
		.amdhsa_exception_fp_ieee_div_zero 0
		.amdhsa_exception_fp_ieee_overflow 0
		.amdhsa_exception_fp_ieee_underflow 0
		.amdhsa_exception_fp_ieee_inexact 0
		.amdhsa_exception_int_div_zero 0
	.end_amdhsa_kernel
	.section	.text._ZL9moe_vec_qIN3c108BFloat16ELi256ELi32E10block_q6_KLi1EXadL_ZL17vec_dot_q6_K_q8_1PKvPK10block_q8_1RKiEEEvS4_S4_PT_PS8_iiii,"axG",@progbits,_ZL9moe_vec_qIN3c108BFloat16ELi256ELi32E10block_q6_KLi1EXadL_ZL17vec_dot_q6_K_q8_1PKvPK10block_q8_1RKiEEEvS4_S4_PT_PS8_iiii,comdat
.Lfunc_end284:
	.size	_ZL9moe_vec_qIN3c108BFloat16ELi256ELi32E10block_q6_KLi1EXadL_ZL17vec_dot_q6_K_q8_1PKvPK10block_q8_1RKiEEEvS4_S4_PT_PS8_iiii, .Lfunc_end284-_ZL9moe_vec_qIN3c108BFloat16ELi256ELi32E10block_q6_KLi1EXadL_ZL17vec_dot_q6_K_q8_1PKvPK10block_q8_1RKiEEEvS4_S4_PT_PS8_iiii
                                        ; -- End function
	.section	.AMDGPU.csdata,"",@progbits
; Kernel info:
; codeLenInByte = 1228
; NumSgprs: 26
; NumVgprs: 37
; NumAgprs: 0
; TotalNumVgprs: 37
; ScratchSize: 0
; MemoryBound: 0
; FloatMode: 240
; IeeeMode: 1
; LDSByteSize: 0 bytes/workgroup (compile time only)
; SGPRBlocks: 3
; VGPRBlocks: 4
; NumSGPRsForWavesPerEU: 26
; NumVGPRsForWavesPerEU: 37
; AccumOffset: 40
; Occupancy: 8
; WaveLimiterHint : 1
; COMPUTE_PGM_RSRC2:SCRATCH_EN: 0
; COMPUTE_PGM_RSRC2:USER_SGPR: 2
; COMPUTE_PGM_RSRC2:TRAP_HANDLER: 0
; COMPUTE_PGM_RSRC2:TGID_X_EN: 1
; COMPUTE_PGM_RSRC2:TGID_Y_EN: 0
; COMPUTE_PGM_RSRC2:TGID_Z_EN: 1
; COMPUTE_PGM_RSRC2:TIDIG_COMP_CNT: 1
; COMPUTE_PGM_RSRC3_GFX90A:ACCUM_OFFSET: 9
; COMPUTE_PGM_RSRC3_GFX90A:TG_SPLIT: 0
	.section	.text._ZL9moe_vec_qIN3c108BFloat16ELi256ELi8E13block_iq2_xxsLi1EXadL_ZL20vec_dot_iq2_xxs_q8_1PKvPK10block_q8_1RKiEEEvS4_S4_PT_PS8_iiii,"axG",@progbits,_ZL9moe_vec_qIN3c108BFloat16ELi256ELi8E13block_iq2_xxsLi1EXadL_ZL20vec_dot_iq2_xxs_q8_1PKvPK10block_q8_1RKiEEEvS4_S4_PT_PS8_iiii,comdat
	.globl	_ZL9moe_vec_qIN3c108BFloat16ELi256ELi8E13block_iq2_xxsLi1EXadL_ZL20vec_dot_iq2_xxs_q8_1PKvPK10block_q8_1RKiEEEvS4_S4_PT_PS8_iiii ; -- Begin function _ZL9moe_vec_qIN3c108BFloat16ELi256ELi8E13block_iq2_xxsLi1EXadL_ZL20vec_dot_iq2_xxs_q8_1PKvPK10block_q8_1RKiEEEvS4_S4_PT_PS8_iiii
	.p2align	8
	.type	_ZL9moe_vec_qIN3c108BFloat16ELi256ELi8E13block_iq2_xxsLi1EXadL_ZL20vec_dot_iq2_xxs_q8_1PKvPK10block_q8_1RKiEEEvS4_S4_PT_PS8_iiii,@function
_ZL9moe_vec_qIN3c108BFloat16ELi256ELi8E13block_iq2_xxsLi1EXadL_ZL20vec_dot_iq2_xxs_q8_1PKvPK10block_q8_1RKiEEEvS4_S4_PT_PS8_iiii: ; @_ZL9moe_vec_qIN3c108BFloat16ELi256ELi8E13block_iq2_xxsLi1EXadL_ZL20vec_dot_iq2_xxs_q8_1PKvPK10block_q8_1RKiEEEvS4_S4_PT_PS8_iiii
; %bb.0:
	s_mov_b32 s52, s3
	s_load_dword s3, s[0:1], 0x3c
	s_load_dwordx4 s[48:51], s[0:1], 0x20
	v_bfe_u32 v1, v0, 10, 10
	s_waitcnt lgkmcnt(0)
	s_lshr_b32 s3, s3, 16
	s_mul_i32 s2, s2, s3
	v_add_u32_e32 v8, s2, v1
	v_cmp_gt_u32_e32 vcc, s50, v8
	s_and_saveexec_b64 s[2:3], vcc
	s_cbranch_execz .LBB285_7
; %bb.1:
	s_load_dwordx2 s[54:55], s[0:1], 0x10
	s_ashr_i32 s2, s49, 31
	s_lshr_b32 s2, s2, 24
	s_add_i32 s2, s49, s2
	v_and_b32_e32 v9, 0x3ff, v0
	s_ashr_i32 s33, s2, 8
	v_lshrrev_b32_e32 v10, 3, v9
	v_cmp_gt_u32_e32 vcc, s33, v10
	v_mov_b32_e32 v11, 0
	s_and_saveexec_b64 s[56:57], vcc
	s_cbranch_execz .LBB285_5
; %bb.2:
	s_load_dwordx2 s[2:3], s[0:1], 0x18
	v_cvt_f32_u32_e32 v0, s48
	s_mov_b32 s53, 0
	s_lshl_b64 s[4:5], s[52:53], 2
	v_and_b32_e32 v2, 7, v9
	s_waitcnt lgkmcnt(0)
	s_add_u32 s2, s2, s4
	v_rcp_iflag_f32_e32 v0, v0
	s_addc_u32 s3, s3, s5
	s_load_dword s8, s[2:3], 0x0
	s_load_dwordx4 s[4:7], s[0:1], 0x0
	s_mul_i32 s0, s33, s50
	v_mul_f32_e32 v0, 0x4f7ffffe, v0
	v_cvt_u32_f32_e32 v0, v0
	s_waitcnt lgkmcnt(0)
	s_mul_i32 s0, s0, s8
	s_mul_hi_i32 s1, s0, 0x42
	s_mulk_i32 s0, 0x42
	s_add_u32 s0, s4, s0
	s_addc_u32 s1, s5, s1
	s_sub_i32 s2, 0, s48
	v_readfirstlane_b32 s3, v0
	s_mul_i32 s2, s2, s3
	s_mul_hi_u32 s2, s3, s2
	s_add_i32 s3, s3, s2
	s_mul_hi_u32 s2, s52, s3
	s_mul_i32 s3, s2, s48
	s_sub_i32 s3, s52, s3
	s_add_i32 s4, s2, 1
	s_sub_i32 s5, s3, s48
	s_cmp_ge_u32 s3, s48
	s_cselect_b32 s2, s4, s2
	s_cselect_b32 s3, s5, s3
	s_add_i32 s4, s2, 1
	s_cmp_ge_u32 s3, s48
	s_cselect_b32 s2, s4, s2
	s_mul_i32 s2, s2, s51
	s_mov_b32 s3, s53
	s_lshl_b64 s[2:3], s[2:3], 2
	s_add_u32 s2, s6, s2
	s_addc_u32 s3, s7, s3
	v_lshlrev_b32_e32 v0, 2, v2
	v_mov_b32_e32 v1, 0
	s_movk_i32 s60, 0x42
	v_mul_lo_u32 v12, v8, s33
	v_mad_u64_u32 v[2:3], s[2:3], v2, 36, s[2:3]
	v_lshlrev_b32_e32 v13, 3, v10
	s_mov_b64 s[48:49], 0
	v_mov_b64_e32 v[4:5], s[0:1]
	v_lshlrev_b32_e32 v0, 1, v0
	s_mov_b32 s51, 0xffff
	v_mov_b32_e32 v14, 3
	v_mov_b32_e32 v11, v1
	s_getpc_b64 s[58:59]
	s_add_u32 s58, s58, _ZL12ksigns_iq2xs@rel32@lo+4
	s_addc_u32 s59, s59, _ZL12ksigns_iq2xs@rel32@hi+12
.LBB285_3:                              ; =>This Inner Loop Header: Depth=1
	v_add_u32_e32 v15, v12, v10
	v_mad_i64_i32 v[6:7], s[0:1], v13, 36, v[2:3]
	v_mad_i64_i32 v[24:25], s[2:3], v15, s60, v[4:5]
	global_load_dwordx4 v[16:19], v[6:7], off offset:20
	global_load_dwordx4 v[20:23], v[6:7], off offset:4
	global_load_ushort v15, v[6:7], off
	v_lshl_add_u64 v[6:7], v[24:25], 0, v[0:1]
	global_load_ushort v30, v[24:25], off
	global_load_dword v26, v[6:7], off offset:2
	global_load_dword v31, v[6:7], off offset:6
	s_getpc_b64 s[0:1]
	s_add_u32 s0, s0, _ZL11iq2xxs_grid@rel32@lo+4
	s_addc_u32 s1, s1, _ZL11iq2xxs_grid@rel32@hi+12
	v_add_u32_e32 v10, 8, v10
	v_add_u32_e32 v13, 64, v13
	s_waitcnt vmcnt(2)
	v_cvt_f32_f16_e32 v30, v30
	s_waitcnt vmcnt(1)
	v_lshlrev_b32_sdwa v32, v14, v26 dst_sel:DWORD dst_unused:UNUSED_PAD src0_sel:DWORD src1_sel:BYTE_0
	s_waitcnt vmcnt(0)
	v_and_b32_e32 v33, 0x7f, v31
	v_lshlrev_b32_sdwa v34, v14, v26 dst_sel:DWORD dst_unused:UNUSED_PAD src0_sel:DWORD src1_sel:BYTE_1
	v_bfe_u32 v35, v31, 7, 7
	v_lshlrev_b32_sdwa v36, v14, v26 dst_sel:DWORD dst_unused:UNUSED_PAD src0_sel:DWORD src1_sel:BYTE_2
	v_lshlrev_b32_sdwa v37, v14, v26 dst_sel:DWORD dst_unused:UNUSED_PAD src0_sel:DWORD src1_sel:BYTE_3
	v_bfe_u32 v38, v31, 21, 7
	global_load_dwordx2 v[6:7], v32, s[0:1]
	global_load_sbyte v39, v33, s[58:59]
	global_load_dwordx2 v[24:25], v34, s[0:1]
	global_load_dwordx2 v[26:27], v36, s[0:1]
	;; [unrolled: 1-line block ×3, first 2 shown]
	global_load_sbyte v40, v35, s[58:59]
	global_load_sbyte v41, v38, s[58:59]
	v_cmp_gt_u32_e64 s[2:3], 64, v33
	v_cmp_gt_u32_e32 vcc, 64, v35
	v_cmp_gt_u32_e64 s[0:1], 64, v38
	v_cvt_f32_f16_e32 v15, v15
	s_waitcnt vmcnt(6)
	v_mul_i32_i24_sdwa v37, v6, sext(v20) dst_sel:DWORD dst_unused:UNUSED_PAD src0_sel:BYTE_2 src1_sel:BYTE_2
	s_waitcnt vmcnt(5)
	v_and_b32_e32 v36, 2, v39
	v_and_b32_e32 v42, 4, v39
	v_cmp_eq_u16_e64 s[6:7], 0, v36
	v_sub_u32_e32 v36, 0, v37
	v_cmp_eq_u16_e64 s[8:9], 0, v42
	v_mul_i32_i24_sdwa v34, v6, sext(v20) dst_sel:DWORD dst_unused:UNUSED_PAD src0_sel:BYTE_1 src1_sel:BYTE_1
	v_mul_i32_i24_sdwa v43, v7, sext(v21) dst_sel:DWORD dst_unused:UNUSED_PAD src0_sel:BYTE_0 src1_sel:BYTE_0
	v_cndmask_b32_e64 v36, v36, v37, s[8:9]
	v_and_b32_e32 v37, 0xffff0000, v31
	v_and_or_b32 v37, v31, s51, v37
	v_mul_i32_i24_sdwa v45, v7, sext(v21) dst_sel:DWORD dst_unused:UNUSED_PAD src0_sel:BYTE_1 src1_sel:BYTE_1
	v_mul_i32_i24_sdwa v47, v7, sext(v21) dst_sel:DWORD dst_unused:UNUSED_PAD src0_sel:BYTE_2 src1_sel:BYTE_2
	v_mul_i32_i24_sdwa v7, v7, sext(v21) dst_sel:DWORD dst_unused:UNUSED_PAD src0_sel:BYTE_3 src1_sel:BYTE_3
	s_waitcnt vmcnt(4)
	v_mul_i32_i24_sdwa v21, v24, sext(v22) dst_sel:DWORD dst_unused:UNUSED_PAD src0_sel:BYTE_0 src1_sel:BYTE_0
	v_mul_i32_i24_sdwa v48, v24, sext(v22) dst_sel:DWORD dst_unused:UNUSED_PAD src0_sel:BYTE_1 src1_sel:BYTE_1
	v_mul_i32_i24_sdwa v49, v24, sext(v22) dst_sel:DWORD dst_unused:UNUSED_PAD src0_sel:BYTE_2 src1_sel:BYTE_2
	v_mul_i32_i24_sdwa v22, v24, sext(v22) dst_sel:DWORD dst_unused:UNUSED_PAD src0_sel:BYTE_3 src1_sel:BYTE_3
	v_mul_i32_i24_sdwa v24, v25, sext(v23) dst_sel:DWORD dst_unused:UNUSED_PAD src0_sel:BYTE_0 src1_sel:BYTE_0
	v_mul_i32_i24_sdwa v50, v25, sext(v23) dst_sel:DWORD dst_unused:UNUSED_PAD src0_sel:BYTE_1 src1_sel:BYTE_1
	v_mul_i32_i24_sdwa v51, v25, sext(v23) dst_sel:DWORD dst_unused:UNUSED_PAD src0_sel:BYTE_2 src1_sel:BYTE_2
	v_mul_i32_i24_sdwa v23, v25, sext(v23) dst_sel:DWORD dst_unused:UNUSED_PAD src0_sel:BYTE_3 src1_sel:BYTE_3
	s_waitcnt vmcnt(3)
	v_mul_i32_i24_sdwa v25, v26, sext(v16) dst_sel:DWORD dst_unused:UNUSED_PAD src0_sel:BYTE_0 src1_sel:BYTE_0
	v_mul_i32_i24_sdwa v52, v26, sext(v16) dst_sel:DWORD dst_unused:UNUSED_PAD src0_sel:BYTE_1 src1_sel:BYTE_1
	v_mul_i32_i24_sdwa v53, v26, sext(v16) dst_sel:DWORD dst_unused:UNUSED_PAD src0_sel:BYTE_2 src1_sel:BYTE_2
	v_mul_i32_i24_sdwa v16, v26, sext(v16) dst_sel:DWORD dst_unused:UNUSED_PAD src0_sel:BYTE_3 src1_sel:BYTE_3
	v_mul_i32_i24_sdwa v26, v27, sext(v17) dst_sel:DWORD dst_unused:UNUSED_PAD src0_sel:BYTE_0 src1_sel:BYTE_0
	;; [unrolled: 9-line block ×3, first 2 shown]
	v_mul_i32_i24_sdwa v58, v29, sext(v19) dst_sel:DWORD dst_unused:UNUSED_PAD src0_sel:BYTE_1 src1_sel:BYTE_1
	v_mul_i32_i24_sdwa v59, v29, sext(v19) dst_sel:DWORD dst_unused:UNUSED_PAD src0_sel:BYTE_2 src1_sel:BYTE_2
	v_mul_i32_i24_sdwa v19, v29, sext(v19) dst_sel:DWORD dst_unused:UNUSED_PAD src0_sel:BYTE_3 src1_sel:BYTE_3
	s_waitcnt vmcnt(1)
	v_and_b32_e32 v29, 1, v40
	v_and_b32_e32 v60, 2, v40
	;; [unrolled: 1-line block ×6, first 2 shown]
	v_cmp_gt_i16_e64 s[4:5], 0, v40
	v_sub_u32_e32 v40, 0, v34
	v_bfe_u32 v37, v37, 14, 7
	v_cndmask_b32_e64 v34, v40, v34, s[6:7]
	v_cmp_gt_u32_e64 s[6:7], 64, v37
	global_load_sbyte v37, v37, s[58:59]
	v_mul_i32_i24_sdwa v32, v6, sext(v20) dst_sel:DWORD dst_unused:UNUSED_PAD src0_sel:BYTE_0 src1_sel:BYTE_0
	v_mul_i32_i24_sdwa v6, v6, sext(v20) dst_sel:DWORD dst_unused:UNUSED_PAD src0_sel:BYTE_3 src1_sel:BYTE_3
	v_and_b32_e32 v20, 8, v39
	v_and_b32_e32 v44, 16, v39
	;; [unrolled: 1-line block ×3, first 2 shown]
	v_cmp_gt_i16_e64 s[44:45], 0, v39
	v_and_b32_e32 v39, 1, v39
	v_sub_u32_e32 v72, 0, v32
	v_cmp_eq_u16_e64 s[46:47], 0, v39
	s_waitcnt vmcnt(1)
	v_and_b32_e32 v68, 8, v41
	v_sub_u32_e32 v42, 0, v6
	v_cmp_eq_u16_e64 s[10:11], 0, v20
	v_cndmask_b32_e64 v32, v72, v32, s[46:47]
	v_and_b32_e32 v65, 1, v41
	v_and_b32_e32 v66, 2, v41
	;; [unrolled: 1-line block ×3, first 2 shown]
	v_sub_u32_e32 v20, 0, v43
	v_cmp_eq_u16_e64 s[12:13], 0, v44
	v_sub_u32_e32 v44, 0, v45
	v_cmp_eq_u16_e64 s[14:15], 0, v46
	v_cmp_eq_u16_e64 s[36:37], 0, v68
	v_and_b32_e32 v68, 16, v41
	v_cmp_gt_i16_e64 s[40:41], 0, v41
	v_and_b32_e32 v41, 32, v41
	v_cndmask_b32_e64 v6, v42, v6, s[10:11]
	v_add_u32_e32 v32, v34, v32
	v_sub_u32_e32 v69, 0, v47
	v_sub_u32_e32 v33, 0, v51
	;; [unrolled: 1-line block ×3, first 2 shown]
	v_cmp_eq_u16_e64 s[16:17], 0, v29
	v_cmp_eq_u16_e64 s[42:43], 0, v41
	v_sub_u32_e32 v41, 0, v7
	v_cndmask_b32_e64 v20, v20, v43, s[12:13]
	v_cndmask_b32_e64 v42, v44, v45, s[14:15]
	v_add3_u32 v6, v32, v36, v6
	v_sub_u32_e32 v38, 0, v23
	v_sub_u32_e32 v29, 0, v48
	v_cmp_eq_u16_e64 s[18:19], 0, v60
	v_cmp_eq_u16_e64 s[28:29], 0, v65
	v_sub_u32_e32 v65, 0, v56
	v_cmp_eq_u16_e64 s[30:31], 0, v66
	v_sub_u32_e32 v39, 0, v55
	v_cndmask_b32_e64 v44, v69, v47, s[2:3]
	v_cndmask_b32_e64 v7, v7, v41, s[44:45]
	;; [unrolled: 1-line block ×3, first 2 shown]
	v_sub_u32_e32 v46, 0, v17
	v_cndmask_b32_e32 v33, v33, v51, vcc
	v_add3_u32 v6, v6, v20, v42
	v_sub_u32_e32 v60, 0, v49
	v_cmp_eq_u16_e64 s[20:21], 0, v61
	v_sub_u32_e32 v61, 0, v22
	v_cmp_eq_u16_e64 s[22:23], 0, v62
	;; [unrolled: 2-line block ×3, first 2 shown]
	v_sub_u32_e32 v40, 0, v25
	v_cndmask_b32_e64 v29, v29, v48, s[18:19]
	v_cndmask_b32_e64 v23, v23, v38, s[4:5]
	;; [unrolled: 1-line block ×4, first 2 shown]
	v_add3_u32 v6, v6, v44, v7
	v_sub_u32_e32 v62, 0, v24
	v_cmp_eq_u16_e64 s[24:25], 0, v63
	v_sub_u32_e32 v63, 0, v50
	v_cmp_eq_u16_e64 s[26:27], 0, v64
	v_sub_u32_e32 v43, 0, v52
	v_cndmask_b32_e64 v48, v60, v49, s[20:21]
	v_cndmask_b32_e64 v22, v61, v22, s[22:23]
	;; [unrolled: 1-line block ×3, first 2 shown]
	v_add3_u32 v6, v6, v21, v29
	v_sub_u32_e32 v45, 0, v53
	v_cndmask_b32_e64 v24, v62, v24, s[24:25]
	v_cndmask_b32_e64 v50, v63, v50, s[26:27]
	v_add3_u32 v6, v6, v48, v22
	v_sub_u32_e32 v41, 0, v16
	v_add3_u32 v6, v6, v24, v50
	v_sub_u32_e32 v47, 0, v26
	;; [unrolled: 2-line block ×3, first 2 shown]
	v_sub_u32_e32 v64, 0, v27
	s_waitcnt vmcnt(0)
	v_and_b32_e32 v51, 1, v37
	v_cmp_gt_i16_e32 vcc, 0, v37
	v_and_b32_e32 v56, 2, v37
	v_and_b32_e32 v57, 4, v37
	v_cndmask_b32_e32 v17, v17, v46, vcc
	v_cmp_eq_u16_e32 vcc, 0, v51
	v_and_b32_e32 v60, 8, v37
	v_and_b32_e32 v61, 16, v37
	v_cndmask_b32_e32 v25, v40, v25, vcc
	v_cmp_eq_u16_e32 vcc, 0, v56
	v_and_b32_e32 v62, 32, v37
	v_sub_u32_e32 v67, 0, v18
	v_cndmask_b32_e32 v34, v43, v52, vcc
	v_cmp_eq_u16_e32 vcc, 0, v57
	v_add3_u32 v6, v6, v25, v34
	v_cndmask_b32_e64 v27, v64, v27, s[28:29]
	v_cndmask_b32_e32 v37, v45, v53, vcc
	v_cmp_eq_u16_e32 vcc, 0, v60
	v_sub_u32_e32 v70, 0, v28
	v_cmp_eq_u16_e64 s[38:39], 0, v68
	v_cndmask_b32_e32 v16, v41, v16, vcc
	v_cmp_eq_u16_e32 vcc, 0, v61
	v_add3_u32 v6, v6, v37, v16
	v_sub_u32_e32 v71, 0, v58
	v_cndmask_b32_e32 v26, v47, v26, vcc
	v_cmp_eq_u16_e32 vcc, 0, v62
	v_cndmask_b32_e64 v18, v67, v18, s[36:37]
	v_sub_u32_e32 v35, 0, v59
	v_cndmask_b32_e32 v40, v49, v54, vcc
	v_add3_u32 v6, v6, v26, v40
	v_add3_u32 v6, v6, v38, v17
	;; [unrolled: 1-line block ×3, first 2 shown]
	v_sub_u32_e32 v68, 0, v19
	v_cndmask_b32_e64 v28, v70, v28, s[38:39]
	v_cndmask_b32_e64 v58, v71, v58, s[42:43]
	v_add3_u32 v6, v6, v55, v18
	v_lshrrev_b32_e32 v31, 28, v31
	v_cndmask_b32_e64 v35, v35, v59, s[0:1]
	v_cndmask_b32_e64 v19, v19, v68, s[40:41]
	v_add3_u32 v6, v6, v28, v58
	v_cvt_f32_ubyte0_e32 v31, v31
	v_add3_u32 v6, v6, v35, v19
	v_add_f32_e32 v31, 0.5, v31
	v_cvt_f32_i32_e32 v6, v6
	v_mul_f32_e32 v7, v31, v30
	v_mul_f32_e32 v7, v7, v15
	v_cmp_le_u32_e64 s[8:9], s33, v10
	v_mul_f32_e32 v7, 0x3e800000, v7
	s_or_b64 s[48:49], s[8:9], s[48:49]
	v_fmac_f32_e32 v11, v7, v6
	s_andn2_b64 exec, exec, s[48:49]
	s_cbranch_execnz .LBB285_3
; %bb.4:
	s_or_b64 exec, exec, s[48:49]
.LBB285_5:
	s_or_b64 exec, exec, s[56:57]
	v_mbcnt_lo_u32_b32 v0, -1, 0
	v_mbcnt_hi_u32_b32 v1, -1, v0
	v_and_b32_e32 v0, 64, v1
	v_add_u32_e32 v2, 64, v0
	v_xor_b32_e32 v0, 32, v1
	v_cmp_lt_i32_e32 vcc, v0, v2
	v_xor_b32_e32 v3, 16, v1
	v_xor_b32_e32 v4, 8, v1
	v_cndmask_b32_e32 v0, v1, v0, vcc
	v_lshlrev_b32_e32 v0, 2, v0
	ds_bpermute_b32 v0, v0, v11
	v_cmp_lt_i32_e32 vcc, v3, v2
	s_waitcnt lgkmcnt(0)
	v_add_f32_e32 v0, v11, v0
	v_cndmask_b32_e32 v3, v1, v3, vcc
	v_lshlrev_b32_e32 v3, 2, v3
	ds_bpermute_b32 v3, v3, v0
	v_cmp_lt_i32_e32 vcc, v4, v2
	s_waitcnt lgkmcnt(0)
	v_add_f32_e32 v0, v0, v3
	v_cndmask_b32_e32 v3, v1, v4, vcc
	v_lshlrev_b32_e32 v3, 2, v3
	ds_bpermute_b32 v3, v3, v0
	v_xor_b32_e32 v4, 4, v1
	v_cmp_lt_i32_e32 vcc, v4, v2
	s_waitcnt lgkmcnt(0)
	v_add_f32_e32 v0, v0, v3
	v_cndmask_b32_e32 v3, v1, v4, vcc
	v_lshlrev_b32_e32 v3, 2, v3
	ds_bpermute_b32 v3, v3, v0
	v_xor_b32_e32 v4, 2, v1
	;; [unrolled: 7-line block ×3, first 2 shown]
	v_cmp_lt_i32_e32 vcc, v4, v2
	s_waitcnt lgkmcnt(0)
	v_add_f32_e32 v0, v0, v3
	v_cndmask_b32_e32 v1, v1, v4, vcc
	v_lshlrev_b32_e32 v1, 2, v1
	ds_bpermute_b32 v1, v1, v0
	v_cmp_eq_u32_e32 vcc, 0, v9
	s_and_b64 exec, exec, vcc
	s_cbranch_execz .LBB285_7
; %bb.6:
	s_waitcnt lgkmcnt(0)
	v_add_f32_e32 v0, v0, v1
	v_bfe_u32 v1, v0, 16, 1
	s_movk_i32 s0, 0x7fff
	v_add3_u32 v1, v0, v1, s0
	v_lshrrev_b32_e32 v1, 16, v1
	v_mov_b32_e32 v2, 0x7fc0
	v_cmp_o_f32_e32 vcc, v0, v0
	s_mul_i32 s0, s52, s50
	v_add_u32_e32 v0, s0, v8
	v_cndmask_b32_e32 v2, v2, v1, vcc
	v_mov_b32_e32 v1, 0
	v_lshl_add_u64 v[0:1], v[0:1], 1, s[54:55]
	global_store_short v[0:1], v2, off
.LBB285_7:
	s_endpgm
	.section	.rodata,"a",@progbits
	.p2align	6, 0x0
	.amdhsa_kernel _ZL9moe_vec_qIN3c108BFloat16ELi256ELi8E13block_iq2_xxsLi1EXadL_ZL20vec_dot_iq2_xxs_q8_1PKvPK10block_q8_1RKiEEEvS4_S4_PT_PS8_iiii
		.amdhsa_group_segment_fixed_size 0
		.amdhsa_private_segment_fixed_size 0
		.amdhsa_kernarg_size 304
		.amdhsa_user_sgpr_count 2
		.amdhsa_user_sgpr_dispatch_ptr 0
		.amdhsa_user_sgpr_queue_ptr 0
		.amdhsa_user_sgpr_kernarg_segment_ptr 1
		.amdhsa_user_sgpr_dispatch_id 0
		.amdhsa_user_sgpr_kernarg_preload_length 0
		.amdhsa_user_sgpr_kernarg_preload_offset 0
		.amdhsa_user_sgpr_private_segment_size 0
		.amdhsa_uses_dynamic_stack 0
		.amdhsa_enable_private_segment 0
		.amdhsa_system_sgpr_workgroup_id_x 1
		.amdhsa_system_sgpr_workgroup_id_y 0
		.amdhsa_system_sgpr_workgroup_id_z 1
		.amdhsa_system_sgpr_workgroup_info 0
		.amdhsa_system_vgpr_workitem_id 1
		.amdhsa_next_free_vgpr 73
		.amdhsa_next_free_sgpr 61
		.amdhsa_accum_offset 76
		.amdhsa_reserve_vcc 1
		.amdhsa_float_round_mode_32 0
		.amdhsa_float_round_mode_16_64 0
		.amdhsa_float_denorm_mode_32 3
		.amdhsa_float_denorm_mode_16_64 3
		.amdhsa_dx10_clamp 1
		.amdhsa_ieee_mode 1
		.amdhsa_fp16_overflow 0
		.amdhsa_tg_split 0
		.amdhsa_exception_fp_ieee_invalid_op 0
		.amdhsa_exception_fp_denorm_src 0
		.amdhsa_exception_fp_ieee_div_zero 0
		.amdhsa_exception_fp_ieee_overflow 0
		.amdhsa_exception_fp_ieee_underflow 0
		.amdhsa_exception_fp_ieee_inexact 0
		.amdhsa_exception_int_div_zero 0
	.end_amdhsa_kernel
	.section	.text._ZL9moe_vec_qIN3c108BFloat16ELi256ELi8E13block_iq2_xxsLi1EXadL_ZL20vec_dot_iq2_xxs_q8_1PKvPK10block_q8_1RKiEEEvS4_S4_PT_PS8_iiii,"axG",@progbits,_ZL9moe_vec_qIN3c108BFloat16ELi256ELi8E13block_iq2_xxsLi1EXadL_ZL20vec_dot_iq2_xxs_q8_1PKvPK10block_q8_1RKiEEEvS4_S4_PT_PS8_iiii,comdat
.Lfunc_end285:
	.size	_ZL9moe_vec_qIN3c108BFloat16ELi256ELi8E13block_iq2_xxsLi1EXadL_ZL20vec_dot_iq2_xxs_q8_1PKvPK10block_q8_1RKiEEEvS4_S4_PT_PS8_iiii, .Lfunc_end285-_ZL9moe_vec_qIN3c108BFloat16ELi256ELi8E13block_iq2_xxsLi1EXadL_ZL20vec_dot_iq2_xxs_q8_1PKvPK10block_q8_1RKiEEEvS4_S4_PT_PS8_iiii
                                        ; -- End function
	.section	.AMDGPU.csdata,"",@progbits
; Kernel info:
; codeLenInByte = 2088
; NumSgprs: 67
; NumVgprs: 73
; NumAgprs: 0
; TotalNumVgprs: 73
; ScratchSize: 0
; MemoryBound: 0
; FloatMode: 240
; IeeeMode: 1
; LDSByteSize: 0 bytes/workgroup (compile time only)
; SGPRBlocks: 8
; VGPRBlocks: 9
; NumSGPRsForWavesPerEU: 67
; NumVGPRsForWavesPerEU: 73
; AccumOffset: 76
; Occupancy: 6
; WaveLimiterHint : 1
; COMPUTE_PGM_RSRC2:SCRATCH_EN: 0
; COMPUTE_PGM_RSRC2:USER_SGPR: 2
; COMPUTE_PGM_RSRC2:TRAP_HANDLER: 0
; COMPUTE_PGM_RSRC2:TGID_X_EN: 1
; COMPUTE_PGM_RSRC2:TGID_Y_EN: 0
; COMPUTE_PGM_RSRC2:TGID_Z_EN: 1
; COMPUTE_PGM_RSRC2:TIDIG_COMP_CNT: 1
; COMPUTE_PGM_RSRC3_GFX90A:ACCUM_OFFSET: 18
; COMPUTE_PGM_RSRC3_GFX90A:TG_SPLIT: 0
	.section	.text._ZL9moe_vec_qIN3c108BFloat16ELi256ELi8E12block_iq2_xsLi1EXadL_ZL19vec_dot_iq2_xs_q8_1PKvPK10block_q8_1RKiEEEvS4_S4_PT_PS8_iiii,"axG",@progbits,_ZL9moe_vec_qIN3c108BFloat16ELi256ELi8E12block_iq2_xsLi1EXadL_ZL19vec_dot_iq2_xs_q8_1PKvPK10block_q8_1RKiEEEvS4_S4_PT_PS8_iiii,comdat
	.globl	_ZL9moe_vec_qIN3c108BFloat16ELi256ELi8E12block_iq2_xsLi1EXadL_ZL19vec_dot_iq2_xs_q8_1PKvPK10block_q8_1RKiEEEvS4_S4_PT_PS8_iiii ; -- Begin function _ZL9moe_vec_qIN3c108BFloat16ELi256ELi8E12block_iq2_xsLi1EXadL_ZL19vec_dot_iq2_xs_q8_1PKvPK10block_q8_1RKiEEEvS4_S4_PT_PS8_iiii
	.p2align	8
	.type	_ZL9moe_vec_qIN3c108BFloat16ELi256ELi8E12block_iq2_xsLi1EXadL_ZL19vec_dot_iq2_xs_q8_1PKvPK10block_q8_1RKiEEEvS4_S4_PT_PS8_iiii,@function
_ZL9moe_vec_qIN3c108BFloat16ELi256ELi8E12block_iq2_xsLi1EXadL_ZL19vec_dot_iq2_xs_q8_1PKvPK10block_q8_1RKiEEEvS4_S4_PT_PS8_iiii: ; @_ZL9moe_vec_qIN3c108BFloat16ELi256ELi8E12block_iq2_xsLi1EXadL_ZL19vec_dot_iq2_xs_q8_1PKvPK10block_q8_1RKiEEEvS4_S4_PT_PS8_iiii
; %bb.0:
	s_mov_b32 s68, s3
	s_load_dword s3, s[0:1], 0x3c
	s_load_dwordx4 s[64:67], s[0:1], 0x20
	v_bfe_u32 v1, v0, 10, 10
	s_waitcnt lgkmcnt(0)
	s_lshr_b32 s3, s3, 16
	s_mul_i32 s2, s2, s3
	v_add_u32_e32 v18, s2, v1
	v_cmp_gt_u32_e32 vcc, s66, v18
	s_and_saveexec_b64 s[2:3], vcc
	s_cbranch_execz .LBB286_7
; %bb.1:
	s_load_dwordx2 s[70:71], s[0:1], 0x10
	s_ashr_i32 s2, s65, 31
	s_lshr_b32 s2, s2, 24
	s_add_i32 s2, s65, s2
	v_and_b32_e32 v19, 0x3ff, v0
	s_ashr_i32 s33, s2, 8
	v_lshrrev_b32_e32 v20, 3, v19
	v_cmp_gt_u32_e32 vcc, s33, v20
	v_mov_b32_e32 v21, 0
	s_and_saveexec_b64 s[72:73], vcc
	s_cbranch_execz .LBB286_5
; %bb.2:
	s_load_dwordx2 s[2:3], s[0:1], 0x18
	v_cvt_f32_u32_e32 v0, s64
	s_mov_b32 s69, 0
	s_lshl_b64 s[4:5], s[68:69], 2
	v_and_b32_e32 v8, 7, v19
	s_waitcnt lgkmcnt(0)
	s_add_u32 s2, s2, s4
	v_rcp_iflag_f32_e32 v0, v0
	s_addc_u32 s3, s3, s5
	s_load_dword s8, s[2:3], 0x0
	s_load_dwordx4 s[4:7], s[0:1], 0x0
	s_mul_i32 s0, s33, s66
	v_mul_f32_e32 v0, 0x4f7ffffe, v0
	v_cvt_u32_f32_e32 v0, v0
	s_waitcnt lgkmcnt(0)
	s_mul_i32 s0, s0, s8
	s_mul_hi_i32 s1, s0, 0x4a
	s_mulk_i32 s0, 0x4a
	s_add_u32 s0, s4, s0
	s_addc_u32 s1, s5, s1
	s_sub_i32 s2, 0, s64
	v_readfirstlane_b32 s3, v0
	s_mul_i32 s2, s2, s3
	s_mul_hi_u32 s2, s3, s2
	s_add_i32 s3, s3, s2
	s_mul_hi_u32 s2, s68, s3
	s_mul_i32 s3, s2, s64
	s_sub_i32 s3, s68, s3
	s_add_i32 s4, s2, 1
	s_sub_i32 s5, s3, s64
	s_cmp_ge_u32 s3, s64
	s_cselect_b32 s2, s4, s2
	s_cselect_b32 s3, s5, s3
	s_add_i32 s4, s2, 1
	s_cmp_ge_u32 s3, s64
	s_cselect_b32 s2, s4, s2
	s_mul_i32 s2, s2, s67
	s_mov_b32 s3, s69
	s_lshl_b64 s[2:3], s[2:3], 2
	s_add_u32 s2, s6, s2
	s_addc_u32 s3, s7, s3
	v_lshlrev_b32_e32 v0, 2, v8
	v_mov_b32_e32 v9, 0
	s_movk_i32 s74, 0x4a
	v_mul_lo_u32 v22, v18, s33
	v_mad_u64_u32 v[10:11], s[2:3], v8, 36, s[2:3]
	v_lshlrev_b32_e32 v23, 3, v20
	s_mov_b64 s[64:65], 0
	v_mov_b64_e32 v[12:13], s[0:1]
	v_lshlrev_b32_e32 v14, 1, v0
	v_mov_b32_e32 v15, v9
	v_mov_b32_e32 v21, v9
.LBB286_3:                              ; =>This Inner Loop Header: Depth=1
	v_add_u32_e32 v0, v22, v20
	v_mad_i64_i32 v[16:17], s[0:1], v23, 36, v[10:11]
	v_mad_i64_i32 v[28:29], s[4:5], v0, s74, v[12:13]
	global_load_dwordx4 v[0:3], v[16:17], off offset:20
	global_load_dwordx4 v[4:7], v[16:17], off offset:4
	global_load_ushort v24, v[16:17], off
	v_lshl_add_u64 v[30:31], v[28:29], 0, v[14:15]
	v_lshl_add_u64 v[32:33], v[28:29], 0, v[8:9]
	global_load_ushort v26, v[28:29], off
	global_load_dwordx2 v[16:17], v[30:31], off offset:2
	global_load_ubyte v25, v[32:33], off offset:66
	s_getpc_b64 s[2:3]
	s_add_u32 s2, s2, _ZL10iq2xs_grid@rel32@lo+4
	s_addc_u32 s3, s3, _ZL10iq2xs_grid@rel32@hi+12
	s_getpc_b64 s[0:1]
	s_add_u32 s0, s0, _ZL12ksigns_iq2xs@rel32@lo+4
	s_addc_u32 s1, s1, _ZL12ksigns_iq2xs@rel32@hi+12
	v_add_u32_e32 v20, 8, v20
	v_add_u32_e32 v23, 64, v23
	s_waitcnt vmcnt(3)
	v_cvt_f32_f16_e32 v24, v24
	s_waitcnt vmcnt(2)
	v_cvt_f32_f16_e32 v26, v26
	s_waitcnt vmcnt(1)
	v_bfe_u32 v28, v16, 9, 7
	v_and_b32_e32 v27, 0x1ff, v16
	v_lshrrev_b32_e32 v29, 13, v16
	v_lshrrev_b32_e32 v30, 25, v16
	v_and_b32_e32 v31, 0x1ff, v17
	v_bfe_u32 v32, v17, 9, 7
	v_lshrrev_b32_e32 v33, 13, v17
	v_lshrrev_b32_e32 v36, 25, v17
	global_load_sbyte v37, v28, s[0:1]
	global_load_sbyte v38, v30, s[0:1]
	;; [unrolled: 1-line block ×3, first 2 shown]
	v_lshlrev_b32_e32 v27, 3, v27
	v_and_b32_e32 v40, 0xff8, v29
	v_lshlrev_b32_e32 v41, 3, v31
	v_and_b32_e32 v42, 0xff8, v33
	global_load_sbyte v43, v36, s[0:1]
	global_load_dwordx2 v[28:29], v27, s[2:3]
	global_load_dwordx2 v[30:31], v40, s[2:3]
	;; [unrolled: 1-line block ×4, first 2 shown]
	v_cmp_gt_i16_e64 s[0:1], 0, v17
	v_cmp_lt_i16_sdwa vcc, v17, v9 src0_sel:WORD_1 src1_sel:DWORD
	v_cmp_gt_i16_e64 s[4:5], 0, v16
	v_cmp_lt_i16_sdwa s[2:3], v16, v9 src0_sel:WORD_1 src1_sel:DWORD
	s_waitcnt vmcnt(7)
	v_and_b32_e32 v27, 2, v37
	s_waitcnt vmcnt(6)
	v_and_b32_e32 v46, 4, v38
	v_and_b32_e32 v47, 8, v38
	v_and_b32_e32 v49, 32, v38
	s_waitcnt vmcnt(5)
	v_and_b32_e32 v50, 1, v39
	v_and_b32_e32 v51, 2, v39
	s_waitcnt vmcnt(3)
	v_mul_i32_i24_sdwa v57, v28, sext(v4) dst_sel:DWORD dst_unused:UNUSED_PAD src0_sel:BYTE_0 src1_sel:BYTE_0
	v_mul_i32_i24_sdwa v58, v28, sext(v4) dst_sel:DWORD dst_unused:UNUSED_PAD src0_sel:BYTE_1 src1_sel:BYTE_1
	v_mul_i32_i24_sdwa v59, v28, sext(v4) dst_sel:DWORD dst_unused:UNUSED_PAD src0_sel:BYTE_2 src1_sel:BYTE_2
	v_mul_i32_i24_sdwa v4, v28, sext(v4) dst_sel:DWORD dst_unused:UNUSED_PAD src0_sel:BYTE_3 src1_sel:BYTE_3
	v_mul_i32_i24_sdwa v28, v29, sext(v5) dst_sel:DWORD dst_unused:UNUSED_PAD src0_sel:BYTE_0 src1_sel:BYTE_0
	v_mul_i32_i24_sdwa v60, v29, sext(v5) dst_sel:DWORD dst_unused:UNUSED_PAD src0_sel:BYTE_1 src1_sel:BYTE_1
	v_mul_i32_i24_sdwa v61, v29, sext(v5) dst_sel:DWORD dst_unused:UNUSED_PAD src0_sel:BYTE_2 src1_sel:BYTE_2
	v_mul_i32_i24_sdwa v5, v29, sext(v5) dst_sel:DWORD dst_unused:UNUSED_PAD src0_sel:BYTE_3 src1_sel:BYTE_3
	s_waitcnt vmcnt(2)
	v_mul_i32_i24_sdwa v29, v30, sext(v6) dst_sel:DWORD dst_unused:UNUSED_PAD src0_sel:BYTE_0 src1_sel:BYTE_0
	v_mul_i32_i24_sdwa v62, v30, sext(v6) dst_sel:DWORD dst_unused:UNUSED_PAD src0_sel:BYTE_1 src1_sel:BYTE_1
	v_mul_i32_i24_sdwa v63, v30, sext(v6) dst_sel:DWORD dst_unused:UNUSED_PAD src0_sel:BYTE_2 src1_sel:BYTE_2
	v_mul_i32_i24_sdwa v6, v30, sext(v6) dst_sel:DWORD dst_unused:UNUSED_PAD src0_sel:BYTE_3 src1_sel:BYTE_3
	v_mul_i32_i24_sdwa v30, v31, sext(v7) dst_sel:DWORD dst_unused:UNUSED_PAD src0_sel:BYTE_0 src1_sel:BYTE_0
	v_mul_i32_i24_sdwa v64, v31, sext(v7) dst_sel:DWORD dst_unused:UNUSED_PAD src0_sel:BYTE_1 src1_sel:BYTE_1
	v_mul_i32_i24_sdwa v65, v31, sext(v7) dst_sel:DWORD dst_unused:UNUSED_PAD src0_sel:BYTE_2 src1_sel:BYTE_2
	v_mul_i32_i24_sdwa v7, v31, sext(v7) dst_sel:DWORD dst_unused:UNUSED_PAD src0_sel:BYTE_3 src1_sel:BYTE_3
	s_waitcnt vmcnt(1)
	v_mul_i32_i24_sdwa v31, v32, sext(v0) dst_sel:DWORD dst_unused:UNUSED_PAD src0_sel:BYTE_0 src1_sel:BYTE_0
	v_mul_i32_i24_sdwa v66, v32, sext(v0) dst_sel:DWORD dst_unused:UNUSED_PAD src0_sel:BYTE_1 src1_sel:BYTE_1
	v_and_b32_e32 v17, 4, v43
	v_and_b32_e32 v36, 4, v37
	v_and_b32_e32 v40, 8, v37
	v_and_b32_e32 v41, 16, v37
	v_and_b32_e32 v42, 32, v37
	v_and_b32_e32 v48, 16, v38
	v_and_b32_e32 v52, 4, v39
	v_and_b32_e32 v53, 8, v39
	v_mul_i32_i24_sdwa v67, v32, sext(v0) dst_sel:DWORD dst_unused:UNUSED_PAD src0_sel:BYTE_2 src1_sel:BYTE_2
	v_mul_i32_i24_sdwa v0, v32, sext(v0) dst_sel:DWORD dst_unused:UNUSED_PAD src0_sel:BYTE_3 src1_sel:BYTE_3
	v_cmp_eq_u16_e64 s[24:25], 0, v46
	v_sub_u32_e32 v46, 0, v6
	v_cmp_eq_u16_e64 s[26:27], 0, v47
	v_cmp_eq_u16_e64 s[30:31], 0, v49
	v_sub_u32_e32 v49, 0, v31
	v_cmp_eq_u16_e64 s[34:35], 0, v50
	v_sub_u32_e32 v50, 0, v66
	v_cmp_eq_u16_e64 s[36:37], 0, v51
	v_cmp_eq_u16_e64 s[50:51], 0, v17
	v_and_b32_e32 v17, 8, v43
	v_cmp_gt_i16_e64 s[60:61], 0, v37
	v_and_b32_e32 v37, 1, v37
	v_and_b32_e32 v44, 1, v38
	;; [unrolled: 1-line block ×5, first 2 shown]
	v_mul_i32_i24_sdwa v32, v33, sext(v1) dst_sel:DWORD dst_unused:UNUSED_PAD src0_sel:BYTE_0 src1_sel:BYTE_0
	v_mul_i32_i24_sdwa v68, v33, sext(v1) dst_sel:DWORD dst_unused:UNUSED_PAD src0_sel:BYTE_1 src1_sel:BYTE_1
	v_mul_i32_i24_sdwa v69, v33, sext(v1) dst_sel:DWORD dst_unused:UNUSED_PAD src0_sel:BYTE_2 src1_sel:BYTE_2
	v_mul_i32_i24_sdwa v1, v33, sext(v1) dst_sel:DWORD dst_unused:UNUSED_PAD src0_sel:BYTE_3 src1_sel:BYTE_3
	s_waitcnt vmcnt(0)
	v_mul_i32_i24_sdwa v33, v34, sext(v2) dst_sel:DWORD dst_unused:UNUSED_PAD src0_sel:BYTE_0 src1_sel:BYTE_0
	v_mul_i32_i24_sdwa v70, v34, sext(v2) dst_sel:DWORD dst_unused:UNUSED_PAD src0_sel:BYTE_1 src1_sel:BYTE_1
	v_mul_i32_i24_sdwa v71, v34, sext(v2) dst_sel:DWORD dst_unused:UNUSED_PAD src0_sel:BYTE_2 src1_sel:BYTE_2
	v_mul_i32_i24_sdwa v2, v34, sext(v2) dst_sel:DWORD dst_unused:UNUSED_PAD src0_sel:BYTE_3 src1_sel:BYTE_3
	v_mul_i32_i24_sdwa v34, v35, sext(v3) dst_sel:DWORD dst_unused:UNUSED_PAD src0_sel:BYTE_0 src1_sel:BYTE_0
	v_mul_i32_i24_sdwa v72, v35, sext(v3) dst_sel:DWORD dst_unused:UNUSED_PAD src0_sel:BYTE_1 src1_sel:BYTE_1
	v_mul_i32_i24_sdwa v73, v35, sext(v3) dst_sel:DWORD dst_unused:UNUSED_PAD src0_sel:BYTE_2 src1_sel:BYTE_2
	v_mul_i32_i24_sdwa v3, v35, sext(v3) dst_sel:DWORD dst_unused:UNUSED_PAD src0_sel:BYTE_3 src1_sel:BYTE_3
	v_cmp_gt_i16_e64 s[8:9], 0, v39
	v_sub_u32_e32 v39, 0, v58
	v_cmp_eq_u16_e64 s[10:11], 0, v27
	v_sub_u32_e32 v47, 0, v30
	v_cmp_eq_u16_e64 s[28:29], 0, v48
	;; [unrolled: 2-line block ×4, first 2 shown]
	v_cmp_eq_u16_e64 s[52:53], 0, v17
	v_and_b32_e32 v17, 16, v43
	v_sub_u32_e32 v81, 0, v57
	v_cmp_eq_u16_e64 s[62:63], 0, v37
	v_cndmask_b32_e64 v6, v46, v6, s[26:27]
	v_cndmask_b32_e64 v31, v49, v31, s[34:35]
	;; [unrolled: 1-line block ×3, first 2 shown]
	v_sub_u32_e32 v27, 0, v59
	v_cmp_eq_u16_e64 s[12:13], 0, v36
	v_sub_u32_e32 v36, 0, v4
	v_cmp_eq_u16_e64 s[14:15], 0, v40
	v_cmp_eq_u16_e64 s[18:19], 0, v42
	v_sub_u32_e32 v42, 0, v29
	v_cmp_eq_u16_e64 s[20:21], 0, v44
	v_sub_u32_e32 v44, 0, v62
	v_cmp_eq_u16_e64 s[22:23], 0, v45
	v_sub_u32_e32 v48, 0, v64
	v_sub_u32_e32 v53, 0, v32
	v_cmp_eq_u16_e64 s[42:43], 0, v54
	v_sub_u32_e32 v54, 0, v68
	v_cmp_eq_u16_e64 s[44:45], 0, v55
	v_cmp_eq_u16_e64 s[54:55], 0, v17
	v_sub_u32_e32 v17, 0, v3
	v_cmp_gt_i16_e64 s[56:57], 0, v43
	v_cndmask_b32_e64 v37, v81, v57, s[62:63]
	v_cndmask_b32_e64 v39, v39, v58, s[10:11]
	;; [unrolled: 1-line block ×5, first 2 shown]
	v_add_u32_e32 v31, v46, v31
	v_and_b32_e32 v56, 1, v43
	v_and_b32_e32 v35, 2, v43
	v_sub_u32_e32 v16, 0, v69
	v_cmp_gt_i16_e64 s[6:7], 0, v38
	v_sub_u32_e32 v38, 0, v1
	v_sub_u32_e32 v40, 0, v28
	v_cmp_eq_u16_e64 s[16:17], 0, v41
	v_sub_u32_e32 v41, 0, v60
	v_and_b32_e32 v43, 32, v43
	v_cndmask_b32_e64 v27, v27, v59, s[12:13]
	v_cndmask_b32_e64 v4, v36, v4, s[14:15]
	;; [unrolled: 1-line block ×8, first 2 shown]
	v_add_u32_e32 v17, v39, v37
	v_add3_u32 v0, v31, v47, v0
	v_sub_u32_e32 v74, 0, v61
	v_sub_u32_e32 v55, 0, v33
	v_cmp_eq_u16_e64 s[46:47], 0, v56
	v_sub_u32_e32 v56, 0, v70
	v_cmp_eq_u16_e64 s[48:49], 0, v35
	v_cmp_eq_u16_e64 s[58:59], 0, v43
	v_sub_u32_e32 v43, 0, v5
	v_cndmask_b32_e64 v28, v40, v28, s[16:17]
	v_cndmask_b32_e64 v40, v41, v60, s[18:19]
	;; [unrolled: 1-line block ×4, first 2 shown]
	v_add3_u32 v4, v17, v27, v4
	v_add3_u32 v0, v0, v32, v48
	v_sub_u32_e32 v35, 0, v71
	v_sub_u32_e32 v78, 0, v2
	v_cndmask_b32_e64 v41, v61, v74, s[4:5]
	v_cndmask_b32_e64 v5, v5, v43, s[60:61]
	;; [unrolled: 1-line block ×4, first 2 shown]
	v_add3_u32 v4, v4, v28, v40
	v_add3_u32 v0, v0, v16, v1
	v_sub_u32_e32 v45, 0, v63
	v_sub_u32_e32 v79, 0, v34
	;; [unrolled: 1-line block ×3, first 2 shown]
	v_cndmask_b32_e64 v35, v35, v71, s[50:51]
	v_cndmask_b32_e64 v2, v78, v2, s[52:53]
	v_add3_u32 v4, v4, v41, v5
	v_add3_u32 v0, v0, v33, v38
	v_sub_u32_e32 v76, 0, v73
	v_cndmask_b32_e64 v43, v45, v63, s[24:25]
	v_cndmask_b32_e64 v34, v79, v34, s[54:55]
	;; [unrolled: 1-line block ×3, first 2 shown]
	v_add3_u32 v1, v4, v29, v42
	v_add3_u32 v0, v0, v35, v2
	v_sub_u32_e32 v75, 0, v65
	v_sub_u32_e32 v77, 0, v7
	v_cndmask_b32_e32 v50, v73, v76, vcc
	v_add3_u32 v1, v1, v43, v6
	v_add3_u32 v0, v0, v34, v49
	v_cndmask_b32_e64 v45, v65, v75, s[2:3]
	v_cndmask_b32_e64 v7, v7, v77, s[6:7]
	v_add3_u32 v1, v1, v30, v44
	v_add3_u32 v0, v0, v50, v3
	;; [unrolled: 1-line block ×3, first 2 shown]
	v_cvt_f32_i32_e32 v0, v0
	v_lshrrev_b16_e32 v36, 4, v25
	v_cvt_f32_i32_e32 v1, v1
	v_and_b32_e32 v25, 15, v25
	v_cvt_f32_ubyte0_e32 v36, v36
	v_cvt_f32_ubyte0_e32 v25, v25
	v_add_f32_e32 v36, 0.5, v36
	v_add_f32_e32 v25, 0.5, v25
	v_mul_f32_e32 v2, v26, v24
	v_mul_f32_e32 v0, v36, v0
	v_cmp_le_u32_e64 s[10:11], s33, v20
	v_mul_f32_e32 v2, 0x3e800000, v2
	v_fmac_f32_e32 v0, v25, v1
	s_or_b64 s[64:65], s[10:11], s[64:65]
	v_fmac_f32_e32 v21, v2, v0
	s_andn2_b64 exec, exec, s[64:65]
	s_cbranch_execnz .LBB286_3
; %bb.4:
	s_or_b64 exec, exec, s[64:65]
.LBB286_5:
	s_or_b64 exec, exec, s[72:73]
	v_mbcnt_lo_u32_b32 v0, -1, 0
	v_mbcnt_hi_u32_b32 v1, -1, v0
	v_and_b32_e32 v0, 64, v1
	v_add_u32_e32 v2, 64, v0
	v_xor_b32_e32 v0, 32, v1
	v_cmp_lt_i32_e32 vcc, v0, v2
	v_xor_b32_e32 v3, 16, v1
	v_xor_b32_e32 v4, 8, v1
	v_cndmask_b32_e32 v0, v1, v0, vcc
	v_lshlrev_b32_e32 v0, 2, v0
	ds_bpermute_b32 v0, v0, v21
	v_cmp_lt_i32_e32 vcc, v3, v2
	s_waitcnt lgkmcnt(0)
	v_add_f32_e32 v0, v21, v0
	v_cndmask_b32_e32 v3, v1, v3, vcc
	v_lshlrev_b32_e32 v3, 2, v3
	ds_bpermute_b32 v3, v3, v0
	v_cmp_lt_i32_e32 vcc, v4, v2
	s_waitcnt lgkmcnt(0)
	v_add_f32_e32 v0, v0, v3
	v_cndmask_b32_e32 v3, v1, v4, vcc
	v_lshlrev_b32_e32 v3, 2, v3
	ds_bpermute_b32 v3, v3, v0
	v_xor_b32_e32 v4, 4, v1
	v_cmp_lt_i32_e32 vcc, v4, v2
	s_waitcnt lgkmcnt(0)
	v_add_f32_e32 v0, v0, v3
	v_cndmask_b32_e32 v3, v1, v4, vcc
	v_lshlrev_b32_e32 v3, 2, v3
	ds_bpermute_b32 v3, v3, v0
	v_xor_b32_e32 v4, 2, v1
	;; [unrolled: 7-line block ×3, first 2 shown]
	v_cmp_lt_i32_e32 vcc, v4, v2
	s_waitcnt lgkmcnt(0)
	v_add_f32_e32 v0, v0, v3
	v_cndmask_b32_e32 v1, v1, v4, vcc
	v_lshlrev_b32_e32 v1, 2, v1
	ds_bpermute_b32 v1, v1, v0
	v_cmp_eq_u32_e32 vcc, 0, v19
	s_and_b64 exec, exec, vcc
	s_cbranch_execz .LBB286_7
; %bb.6:
	s_waitcnt lgkmcnt(0)
	v_add_f32_e32 v0, v0, v1
	v_bfe_u32 v1, v0, 16, 1
	s_movk_i32 s0, 0x7fff
	v_add3_u32 v1, v0, v1, s0
	v_lshrrev_b32_e32 v1, 16, v1
	v_mov_b32_e32 v2, 0x7fc0
	v_cmp_o_f32_e32 vcc, v0, v0
	s_mul_i32 s0, s68, s66
	v_add_u32_e32 v0, s0, v18
	v_cndmask_b32_e32 v2, v2, v1, vcc
	v_mov_b32_e32 v1, 0
	v_lshl_add_u64 v[0:1], v[0:1], 1, s[70:71]
	global_store_short v[0:1], v2, off
.LBB286_7:
	s_endpgm
	.section	.rodata,"a",@progbits
	.p2align	6, 0x0
	.amdhsa_kernel _ZL9moe_vec_qIN3c108BFloat16ELi256ELi8E12block_iq2_xsLi1EXadL_ZL19vec_dot_iq2_xs_q8_1PKvPK10block_q8_1RKiEEEvS4_S4_PT_PS8_iiii
		.amdhsa_group_segment_fixed_size 0
		.amdhsa_private_segment_fixed_size 0
		.amdhsa_kernarg_size 304
		.amdhsa_user_sgpr_count 2
		.amdhsa_user_sgpr_dispatch_ptr 0
		.amdhsa_user_sgpr_queue_ptr 0
		.amdhsa_user_sgpr_kernarg_segment_ptr 1
		.amdhsa_user_sgpr_dispatch_id 0
		.amdhsa_user_sgpr_kernarg_preload_length 0
		.amdhsa_user_sgpr_kernarg_preload_offset 0
		.amdhsa_user_sgpr_private_segment_size 0
		.amdhsa_uses_dynamic_stack 0
		.amdhsa_enable_private_segment 0
		.amdhsa_system_sgpr_workgroup_id_x 1
		.amdhsa_system_sgpr_workgroup_id_y 0
		.amdhsa_system_sgpr_workgroup_id_z 1
		.amdhsa_system_sgpr_workgroup_info 0
		.amdhsa_system_vgpr_workitem_id 1
		.amdhsa_next_free_vgpr 82
		.amdhsa_next_free_sgpr 75
		.amdhsa_accum_offset 84
		.amdhsa_reserve_vcc 1
		.amdhsa_float_round_mode_32 0
		.amdhsa_float_round_mode_16_64 0
		.amdhsa_float_denorm_mode_32 3
		.amdhsa_float_denorm_mode_16_64 3
		.amdhsa_dx10_clamp 1
		.amdhsa_ieee_mode 1
		.amdhsa_fp16_overflow 0
		.amdhsa_tg_split 0
		.amdhsa_exception_fp_ieee_invalid_op 0
		.amdhsa_exception_fp_denorm_src 0
		.amdhsa_exception_fp_ieee_div_zero 0
		.amdhsa_exception_fp_ieee_overflow 0
		.amdhsa_exception_fp_ieee_underflow 0
		.amdhsa_exception_fp_ieee_inexact 0
		.amdhsa_exception_int_div_zero 0
	.end_amdhsa_kernel
	.section	.text._ZL9moe_vec_qIN3c108BFloat16ELi256ELi8E12block_iq2_xsLi1EXadL_ZL19vec_dot_iq2_xs_q8_1PKvPK10block_q8_1RKiEEEvS4_S4_PT_PS8_iiii,"axG",@progbits,_ZL9moe_vec_qIN3c108BFloat16ELi256ELi8E12block_iq2_xsLi1EXadL_ZL19vec_dot_iq2_xs_q8_1PKvPK10block_q8_1RKiEEEvS4_S4_PT_PS8_iiii,comdat
.Lfunc_end286:
	.size	_ZL9moe_vec_qIN3c108BFloat16ELi256ELi8E12block_iq2_xsLi1EXadL_ZL19vec_dot_iq2_xs_q8_1PKvPK10block_q8_1RKiEEEvS4_S4_PT_PS8_iiii, .Lfunc_end286-_ZL9moe_vec_qIN3c108BFloat16ELi256ELi8E12block_iq2_xsLi1EXadL_ZL19vec_dot_iq2_xs_q8_1PKvPK10block_q8_1RKiEEEvS4_S4_PT_PS8_iiii
                                        ; -- End function
	.section	.AMDGPU.csdata,"",@progbits
; Kernel info:
; codeLenInByte = 2152
; NumSgprs: 81
; NumVgprs: 82
; NumAgprs: 0
; TotalNumVgprs: 82
; ScratchSize: 0
; MemoryBound: 0
; FloatMode: 240
; IeeeMode: 1
; LDSByteSize: 0 bytes/workgroup (compile time only)
; SGPRBlocks: 10
; VGPRBlocks: 10
; NumSGPRsForWavesPerEU: 81
; NumVGPRsForWavesPerEU: 82
; AccumOffset: 84
; Occupancy: 5
; WaveLimiterHint : 1
; COMPUTE_PGM_RSRC2:SCRATCH_EN: 0
; COMPUTE_PGM_RSRC2:USER_SGPR: 2
; COMPUTE_PGM_RSRC2:TRAP_HANDLER: 0
; COMPUTE_PGM_RSRC2:TGID_X_EN: 1
; COMPUTE_PGM_RSRC2:TGID_Y_EN: 0
; COMPUTE_PGM_RSRC2:TGID_Z_EN: 1
; COMPUTE_PGM_RSRC2:TIDIG_COMP_CNT: 1
; COMPUTE_PGM_RSRC3_GFX90A:ACCUM_OFFSET: 20
; COMPUTE_PGM_RSRC3_GFX90A:TG_SPLIT: 0
	.section	.text._ZL9moe_vec_qIN3c108BFloat16ELi256ELi8E13block_iq3_xxsLi1EXadL_ZL20vec_dot_iq3_xxs_q8_1PKvPK10block_q8_1RKiEEEvS4_S4_PT_PS8_iiii,"axG",@progbits,_ZL9moe_vec_qIN3c108BFloat16ELi256ELi8E13block_iq3_xxsLi1EXadL_ZL20vec_dot_iq3_xxs_q8_1PKvPK10block_q8_1RKiEEEvS4_S4_PT_PS8_iiii,comdat
	.globl	_ZL9moe_vec_qIN3c108BFloat16ELi256ELi8E13block_iq3_xxsLi1EXadL_ZL20vec_dot_iq3_xxs_q8_1PKvPK10block_q8_1RKiEEEvS4_S4_PT_PS8_iiii ; -- Begin function _ZL9moe_vec_qIN3c108BFloat16ELi256ELi8E13block_iq3_xxsLi1EXadL_ZL20vec_dot_iq3_xxs_q8_1PKvPK10block_q8_1RKiEEEvS4_S4_PT_PS8_iiii
	.p2align	8
	.type	_ZL9moe_vec_qIN3c108BFloat16ELi256ELi8E13block_iq3_xxsLi1EXadL_ZL20vec_dot_iq3_xxs_q8_1PKvPK10block_q8_1RKiEEEvS4_S4_PT_PS8_iiii,@function
_ZL9moe_vec_qIN3c108BFloat16ELi256ELi8E13block_iq3_xxsLi1EXadL_ZL20vec_dot_iq3_xxs_q8_1PKvPK10block_q8_1RKiEEEvS4_S4_PT_PS8_iiii: ; @_ZL9moe_vec_qIN3c108BFloat16ELi256ELi8E13block_iq3_xxsLi1EXadL_ZL20vec_dot_iq3_xxs_q8_1PKvPK10block_q8_1RKiEEEvS4_S4_PT_PS8_iiii
; %bb.0:
	s_mov_b32 s8, s3
	s_load_dword s3, s[0:1], 0x3c
	s_load_dwordx4 s[4:7], s[0:1], 0x20
	v_bfe_u32 v1, v0, 10, 10
	s_waitcnt lgkmcnt(0)
	s_lshr_b32 s3, s3, 16
	s_mul_i32 s2, s2, s3
	v_add_u32_e32 v18, s2, v1
	v_cmp_gt_u32_e32 vcc, s6, v18
	s_and_saveexec_b64 s[2:3], vcc
	s_cbranch_execz .LBB287_7
; %bb.1:
	s_load_dwordx2 s[2:3], s[0:1], 0x10
	s_ashr_i32 s9, s5, 31
	s_lshr_b32 s9, s9, 24
	s_add_i32 s5, s5, s9
	v_and_b32_e32 v19, 0x3ff, v0
	s_ashr_i32 s14, s5, 8
	v_lshrrev_b32_e32 v20, 3, v19
	v_cmp_gt_u32_e32 vcc, s14, v20
	v_mov_b32_e32 v21, 0
	s_and_saveexec_b64 s[10:11], vcc
	s_cbranch_execz .LBB287_5
; %bb.2:
	s_load_dwordx2 s[12:13], s[0:1], 0x18
	v_cvt_f32_u32_e32 v0, s4
	s_mov_b32 s9, 0
	s_lshl_b64 s[16:17], s[8:9], 2
	v_and_b32_e32 v1, 7, v19
	s_waitcnt lgkmcnt(0)
	s_add_u32 s12, s12, s16
	v_rcp_iflag_f32_e32 v0, v0
	s_addc_u32 s13, s13, s17
	s_load_dword s5, s[12:13], 0x0
	s_load_dwordx4 s[16:19], s[0:1], 0x0
	s_mul_i32 s0, s14, s6
	v_mul_f32_e32 v0, 0x4f7ffffe, v0
	v_cvt_u32_f32_e32 v0, v0
	s_waitcnt lgkmcnt(0)
	s_mul_i32 s0, s0, s5
	s_mul_hi_i32 s1, s0, 0x62
	s_mulk_i32 s0, 0x62
	s_add_u32 s12, s16, s0
	s_addc_u32 s13, s17, s1
	s_sub_i32 s0, 0, s4
	v_readfirstlane_b32 s1, v0
	s_mul_i32 s0, s0, s1
	s_mul_hi_u32 s0, s1, s0
	s_add_i32 s1, s1, s0
	s_mul_hi_u32 s0, s8, s1
	s_mul_i32 s1, s0, s4
	s_sub_i32 s1, s8, s1
	s_add_i32 s5, s0, 1
	s_sub_i32 s16, s1, s4
	s_cmp_ge_u32 s1, s4
	s_cselect_b32 s0, s5, s0
	s_cselect_b32 s1, s16, s1
	s_add_i32 s5, s0, 1
	s_cmp_ge_u32 s1, s4
	s_cselect_b32 s0, s5, s0
	s_mul_i32 s0, s0, s7
	s_mov_b32 s1, s9
	s_lshl_b64 s[0:1], s[0:1], 2
	s_add_u32 s0, s18, s0
	s_addc_u32 s1, s19, s1
	v_mov_b32_e32 v9, 0
	v_lshlrev_b32_e32 v0, 1, v1
	v_mad_u64_u32 v[10:11], s[0:1], v1, 36, s[0:1]
	s_movk_i32 s15, 0x62
	v_mul_lo_u32 v22, v18, s14
	v_lshlrev_b32_e32 v8, 3, v1
	v_lshlrev_b32_e32 v23, 3, v20
	s_mov_b64 s[0:1], 0
	v_mov_b64_e32 v[12:13], s[12:13]
	v_lshlrev_b32_e32 v14, 1, v0
	v_mov_b32_e32 v15, v9
	s_mov_b32 s7, 0xffff
	s_mov_b32 s9, 0xc060c00
	v_mov_b32_e32 v24, 2
	v_mov_b32_e32 v21, v9
	s_getpc_b64 s[12:13]
	s_add_u32 s12, s12, _ZL11iq3xxs_grid@rel32@lo+4
	s_addc_u32 s13, s13, _ZL11iq3xxs_grid@rel32@hi+12
.LBB287_3:                              ; =>This Inner Loop Header: Depth=1
	v_add_u32_e32 v0, v22, v20
	v_mad_i64_i32 v[26:27], s[16:17], v0, s15, v[12:13]
	v_mad_i64_i32 v[16:17], s[4:5], v23, 36, v[10:11]
	v_lshl_add_u64 v[28:29], v[26:27], 0, v[14:15]
	global_load_dword v32, v[16:17], off offset:32
	global_load_dwordx4 v[4:7], v[16:17], off
	global_load_dwordx4 v[0:3], v[16:17], off offset:16
	v_lshl_add_u64 v[16:17], v[26:27], 0, v[8:9]
	global_load_dword v33, v[28:29], off offset:66
	global_load_dwordx2 v[30:31], v[16:17], off offset:2
	global_load_ushort v34, v[26:27], off
	s_getpc_b64 s[4:5]
	s_add_u32 s4, s4, _ZL8ksigns64@rel32@lo+4
	s_addc_u32 s5, s5, _ZL8ksigns64@rel32@hi+12
	v_mov_b32_e32 v25, 0
	v_add_u32_e32 v20, 8, v20
	v_cmp_le_u32_e32 vcc, s14, v20
	v_add_u32_e32 v23, 64, v23
	s_or_b64 s[0:1], vcc, s[0:1]
	s_waitcnt vmcnt(4)
	v_cvt_f32_f16_e32 v4, v4
	s_waitcnt vmcnt(2)
	v_and_b32_e32 v27, 0x7f, v33
	v_and_b32_e32 v16, 0xffff0000, v33
	s_waitcnt vmcnt(1)
	v_lshlrev_b32_sdwa v17, v24, v30 dst_sel:DWORD dst_unused:UNUSED_PAD src0_sel:DWORD src1_sel:BYTE_0
	v_lshlrev_b32_sdwa v26, v24, v30 dst_sel:DWORD dst_unused:UNUSED_PAD src0_sel:DWORD src1_sel:BYTE_1
	v_lshlrev_b32_sdwa v28, v24, v30 dst_sel:DWORD dst_unused:UNUSED_PAD src0_sel:DWORD src1_sel:BYTE_2
	v_lshlrev_b32_sdwa v29, v24, v30 dst_sel:DWORD dst_unused:UNUSED_PAD src0_sel:DWORD src1_sel:BYTE_3
	v_lshrrev_b32_e32 v30, 4, v33
	v_lshlrev_b32_sdwa v35, v24, v31 dst_sel:DWORD dst_unused:UNUSED_PAD src0_sel:DWORD src1_sel:BYTE_0
	v_lshlrev_b32_sdwa v36, v24, v31 dst_sel:DWORD dst_unused:UNUSED_PAD src0_sel:DWORD src1_sel:BYTE_1
	v_lshlrev_b32_sdwa v37, v24, v31 dst_sel:DWORD dst_unused:UNUSED_PAD src0_sel:DWORD src1_sel:BYTE_2
	v_lshrrev_b32_e32 v38, 18, v33
	v_lshlrev_b32_e32 v40, 3, v27
	v_lshlrev_b32_sdwa v31, v24, v31 dst_sel:DWORD dst_unused:UNUSED_PAD src0_sel:DWORD src1_sel:BYTE_3
	v_lshrrev_b32_e32 v39, 28, v33
	v_and_or_b32 v33, v33, s7, v16
	global_load_dword v41, v17, s[12:13]
	global_load_dword v42, v26, s[12:13]
	v_and_b32_e32 v30, 0x3f8, v30
	global_load_dword v43, v28, s[12:13]
	global_load_dword v44, v29, s[12:13]
	global_load_dword v45, v35, s[12:13]
	global_load_dword v46, v36, s[12:13]
	v_and_b32_e32 v35, 0x3f8, v38
	global_load_dword v36, v37, s[12:13]
	global_load_dword v38, v31, s[12:13]
	global_load_dwordx2 v[16:17], v40, s[4:5]
	global_load_dwordx2 v[26:27], v30, s[4:5]
	;; [unrolled: 1-line block ×3, first 2 shown]
	v_lshrrev_b32_e32 v30, 11, v33
	v_cvt_f32_ubyte0_e32 v31, v39
	v_and_b32_e32 v30, 0x3f8, v30
	v_add_f32_e32 v33, 0.5, v31
	global_load_dwordx2 v[30:31], v30, s[4:5]
	s_waitcnt vmcnt(12)
	v_cvt_f32_f16_e32 v34, v34
	s_waitcnt vmcnt(3)
	v_and_b32_e32 v37, 0xff000000, v16
	v_xor_b32_e32 v35, v16, v41
	v_and_b32_e32 v39, 0xff0000, v16
	v_and_b32_e32 v40, 0xff00, v16
	v_xor_b32_e32 v41, v17, v42
	v_and_b32_e32 v42, 0xff000000, v17
	v_and_b32_e32 v47, 0xff0000, v17
	;; [unrolled: 1-line block ×3, first 2 shown]
	s_waitcnt vmcnt(2)
	v_xor_b32_e32 v43, v26, v43
	v_and_b32_e32 v49, 0xff000000, v26
	v_and_b32_e32 v50, 0xff0000, v26
	;; [unrolled: 1-line block ×3, first 2 shown]
	v_xor_b32_e32 v44, v27, v44
	v_and_b32_e32 v52, 0xff000000, v27
	v_and_b32_e32 v53, 0xff0000, v27
	;; [unrolled: 1-line block ×3, first 2 shown]
	s_waitcnt vmcnt(1)
	v_xor_b32_e32 v36, v28, v36
	v_and_b32_e32 v55, 0xff000000, v28
	v_and_b32_e32 v56, 0xff0000, v28
	;; [unrolled: 1-line block ×3, first 2 shown]
	v_xor_b32_e32 v38, v29, v38
	v_and_b32_e32 v58, 0xff000000, v29
	v_and_b32_e32 v59, 0xff0000, v29
	;; [unrolled: 1-line block ×3, first 2 shown]
	v_sub_u32_e32 v37, v35, v37
	v_sub_u32_e32 v39, v35, v39
	;; [unrolled: 1-line block ×24, first 2 shown]
	v_and_b32_e32 v37, 0xff000000, v37
	v_and_b32_e32 v38, 0xff00, v40
	v_perm_b32 v16, v39, v16, s9
	v_and_b32_e32 v35, 0xff000000, v35
	v_and_b32_e32 v39, 0xff00, v47
	v_perm_b32 v17, v42, v17, s9
	v_or3_b32 v16, v16, v37, v38
	v_and_b32_e32 v40, 0xff000000, v41
	v_and_b32_e32 v41, 0xff00, v49
	v_perm_b32 v26, v48, v26, s9
	s_waitcnt vmcnt(0)
	v_xor_b32_e32 v45, v30, v45
	v_and_b32_e32 v47, 0xff000000, v30
	v_and_b32_e32 v48, 0xff0000, v30
	;; [unrolled: 1-line block ×3, first 2 shown]
	v_or3_b32 v17, v17, v35, v39
	v_dot4c_i32_i8_e32 v25, v16, v5
	v_and_b32_e32 v42, 0xff000000, v43
	v_and_b32_e32 v43, 0xff00, v51
	v_perm_b32 v27, v50, v27, s9
	v_xor_b32_e32 v46, v31, v46
	v_and_b32_e32 v50, 0xff000000, v31
	v_and_b32_e32 v51, 0xff0000, v31
	v_and_b32_e32 v56, 0xff00, v31
	v_or3_b32 v26, v26, v40, v41
	v_sub_u32_e32 v35, v45, v47
	v_sub_u32_e32 v37, v45, v48
	;; [unrolled: 1-line block ×4, first 2 shown]
	v_dot4c_i32_i8_e32 v25, v17, v6
	v_perm_b32 v28, v52, v28, s9
	v_and_b32_e32 v36, 0xff000000, v36
	v_and_b32_e32 v52, 0xff00, v55
	v_perm_b32 v29, v54, v29, s9
	v_or3_b32 v27, v27, v42, v43
	v_sub_u32_e32 v39, v46, v50
	v_sub_u32_e32 v40, v46, v51
	v_sub_u32_e32 v41, v46, v56
	v_sub_u32_e32 v31, v46, v31
	v_and_b32_e32 v5, 0xff000000, v35
	v_and_b32_e32 v16, 0xff00, v38
	v_perm_b32 v30, v37, v30, s9
	v_dot4c_i32_i8_e32 v25, v26, v7
	v_or3_b32 v29, v29, v36, v52
	v_and_b32_e32 v35, 0xff000000, v39
	v_and_b32_e32 v36, 0xff00, v41
	v_perm_b32 v31, v40, v31, s9
	v_or3_b32 v5, v30, v5, v16
	v_dot4c_i32_i8_e32 v25, v27, v0
	v_and_b32_e32 v44, 0xff000000, v44
	v_and_b32_e32 v53, 0xff00, v53
	v_or3_b32 v6, v31, v35, v36
	v_dot4c_i32_i8_e32 v25, v5, v1
	v_or3_b32 v28, v28, v44, v53
	v_dot4c_i32_i8_e32 v25, v6, v2
	v_dot4c_i32_i8_e32 v25, v28, v3
	;; [unrolled: 1-line block ×3, first 2 shown]
	v_mul_f32_e32 v1, v33, v34
	v_mul_f32_e32 v1, v1, v4
	v_mul_f32_e32 v1, 0.5, v1
	v_cvt_f32_i32_e32 v0, v25
	v_fmac_f32_e32 v21, v1, v0
	s_andn2_b64 exec, exec, s[0:1]
	s_cbranch_execnz .LBB287_3
; %bb.4:
	s_or_b64 exec, exec, s[0:1]
.LBB287_5:
	s_or_b64 exec, exec, s[10:11]
	v_mbcnt_lo_u32_b32 v0, -1, 0
	v_mbcnt_hi_u32_b32 v1, -1, v0
	v_and_b32_e32 v0, 64, v1
	v_add_u32_e32 v2, 64, v0
	v_xor_b32_e32 v0, 32, v1
	v_cmp_lt_i32_e32 vcc, v0, v2
	v_xor_b32_e32 v3, 16, v1
	v_xor_b32_e32 v4, 8, v1
	v_cndmask_b32_e32 v0, v1, v0, vcc
	v_lshlrev_b32_e32 v0, 2, v0
	ds_bpermute_b32 v0, v0, v21
	v_cmp_lt_i32_e32 vcc, v3, v2
	s_waitcnt lgkmcnt(0)
	v_add_f32_e32 v0, v21, v0
	v_cndmask_b32_e32 v3, v1, v3, vcc
	v_lshlrev_b32_e32 v3, 2, v3
	ds_bpermute_b32 v3, v3, v0
	v_cmp_lt_i32_e32 vcc, v4, v2
	s_waitcnt lgkmcnt(0)
	v_add_f32_e32 v0, v0, v3
	v_cndmask_b32_e32 v3, v1, v4, vcc
	v_lshlrev_b32_e32 v3, 2, v3
	ds_bpermute_b32 v3, v3, v0
	v_xor_b32_e32 v4, 4, v1
	v_cmp_lt_i32_e32 vcc, v4, v2
	s_waitcnt lgkmcnt(0)
	v_add_f32_e32 v0, v0, v3
	v_cndmask_b32_e32 v3, v1, v4, vcc
	v_lshlrev_b32_e32 v3, 2, v3
	ds_bpermute_b32 v3, v3, v0
	v_xor_b32_e32 v4, 2, v1
	;; [unrolled: 7-line block ×3, first 2 shown]
	v_cmp_lt_i32_e32 vcc, v4, v2
	s_waitcnt lgkmcnt(0)
	v_add_f32_e32 v0, v0, v3
	v_cndmask_b32_e32 v1, v1, v4, vcc
	v_lshlrev_b32_e32 v1, 2, v1
	ds_bpermute_b32 v1, v1, v0
	v_cmp_eq_u32_e32 vcc, 0, v19
	s_and_b64 exec, exec, vcc
	s_cbranch_execz .LBB287_7
; %bb.6:
	s_waitcnt lgkmcnt(0)
	v_add_f32_e32 v0, v0, v1
	v_bfe_u32 v1, v0, 16, 1
	s_movk_i32 s0, 0x7fff
	v_add3_u32 v1, v0, v1, s0
	v_lshrrev_b32_e32 v1, 16, v1
	v_mov_b32_e32 v2, 0x7fc0
	v_cmp_o_f32_e32 vcc, v0, v0
	s_mul_i32 s0, s8, s6
	v_add_u32_e32 v0, s0, v18
	v_cndmask_b32_e32 v2, v2, v1, vcc
	v_mov_b32_e32 v1, 0
	v_lshl_add_u64 v[0:1], v[0:1], 1, s[2:3]
	global_store_short v[0:1], v2, off
.LBB287_7:
	s_endpgm
	.section	.rodata,"a",@progbits
	.p2align	6, 0x0
	.amdhsa_kernel _ZL9moe_vec_qIN3c108BFloat16ELi256ELi8E13block_iq3_xxsLi1EXadL_ZL20vec_dot_iq3_xxs_q8_1PKvPK10block_q8_1RKiEEEvS4_S4_PT_PS8_iiii
		.amdhsa_group_segment_fixed_size 0
		.amdhsa_private_segment_fixed_size 0
		.amdhsa_kernarg_size 304
		.amdhsa_user_sgpr_count 2
		.amdhsa_user_sgpr_dispatch_ptr 0
		.amdhsa_user_sgpr_queue_ptr 0
		.amdhsa_user_sgpr_kernarg_segment_ptr 1
		.amdhsa_user_sgpr_dispatch_id 0
		.amdhsa_user_sgpr_kernarg_preload_length 0
		.amdhsa_user_sgpr_kernarg_preload_offset 0
		.amdhsa_user_sgpr_private_segment_size 0
		.amdhsa_uses_dynamic_stack 0
		.amdhsa_enable_private_segment 0
		.amdhsa_system_sgpr_workgroup_id_x 1
		.amdhsa_system_sgpr_workgroup_id_y 0
		.amdhsa_system_sgpr_workgroup_id_z 1
		.amdhsa_system_sgpr_workgroup_info 0
		.amdhsa_system_vgpr_workitem_id 1
		.amdhsa_next_free_vgpr 61
		.amdhsa_next_free_sgpr 20
		.amdhsa_accum_offset 64
		.amdhsa_reserve_vcc 1
		.amdhsa_float_round_mode_32 0
		.amdhsa_float_round_mode_16_64 0
		.amdhsa_float_denorm_mode_32 3
		.amdhsa_float_denorm_mode_16_64 3
		.amdhsa_dx10_clamp 1
		.amdhsa_ieee_mode 1
		.amdhsa_fp16_overflow 0
		.amdhsa_tg_split 0
		.amdhsa_exception_fp_ieee_invalid_op 0
		.amdhsa_exception_fp_denorm_src 0
		.amdhsa_exception_fp_ieee_div_zero 0
		.amdhsa_exception_fp_ieee_overflow 0
		.amdhsa_exception_fp_ieee_underflow 0
		.amdhsa_exception_fp_ieee_inexact 0
		.amdhsa_exception_int_div_zero 0
	.end_amdhsa_kernel
	.section	.text._ZL9moe_vec_qIN3c108BFloat16ELi256ELi8E13block_iq3_xxsLi1EXadL_ZL20vec_dot_iq3_xxs_q8_1PKvPK10block_q8_1RKiEEEvS4_S4_PT_PS8_iiii,"axG",@progbits,_ZL9moe_vec_qIN3c108BFloat16ELi256ELi8E13block_iq3_xxsLi1EXadL_ZL20vec_dot_iq3_xxs_q8_1PKvPK10block_q8_1RKiEEEvS4_S4_PT_PS8_iiii,comdat
.Lfunc_end287:
	.size	_ZL9moe_vec_qIN3c108BFloat16ELi256ELi8E13block_iq3_xxsLi1EXadL_ZL20vec_dot_iq3_xxs_q8_1PKvPK10block_q8_1RKiEEEvS4_S4_PT_PS8_iiii, .Lfunc_end287-_ZL9moe_vec_qIN3c108BFloat16ELi256ELi8E13block_iq3_xxsLi1EXadL_ZL20vec_dot_iq3_xxs_q8_1PKvPK10block_q8_1RKiEEEvS4_S4_PT_PS8_iiii
                                        ; -- End function
	.section	.AMDGPU.csdata,"",@progbits
; Kernel info:
; codeLenInByte = 1764
; NumSgprs: 26
; NumVgprs: 61
; NumAgprs: 0
; TotalNumVgprs: 61
; ScratchSize: 0
; MemoryBound: 0
; FloatMode: 240
; IeeeMode: 1
; LDSByteSize: 0 bytes/workgroup (compile time only)
; SGPRBlocks: 3
; VGPRBlocks: 7
; NumSGPRsForWavesPerEU: 26
; NumVGPRsForWavesPerEU: 61
; AccumOffset: 64
; Occupancy: 8
; WaveLimiterHint : 1
; COMPUTE_PGM_RSRC2:SCRATCH_EN: 0
; COMPUTE_PGM_RSRC2:USER_SGPR: 2
; COMPUTE_PGM_RSRC2:TRAP_HANDLER: 0
; COMPUTE_PGM_RSRC2:TGID_X_EN: 1
; COMPUTE_PGM_RSRC2:TGID_Y_EN: 0
; COMPUTE_PGM_RSRC2:TGID_Z_EN: 1
; COMPUTE_PGM_RSRC2:TIDIG_COMP_CNT: 1
; COMPUTE_PGM_RSRC3_GFX90A:ACCUM_OFFSET: 15
; COMPUTE_PGM_RSRC3_GFX90A:TG_SPLIT: 0
	.section	.text._ZL9moe_vec_qIN3c108BFloat16ELi256ELi8E11block_iq1_sLi1EXadL_ZL18vec_dot_iq1_s_q8_1PKvPK10block_q8_1RKiEEEvS4_S4_PT_PS8_iiii,"axG",@progbits,_ZL9moe_vec_qIN3c108BFloat16ELi256ELi8E11block_iq1_sLi1EXadL_ZL18vec_dot_iq1_s_q8_1PKvPK10block_q8_1RKiEEEvS4_S4_PT_PS8_iiii,comdat
	.globl	_ZL9moe_vec_qIN3c108BFloat16ELi256ELi8E11block_iq1_sLi1EXadL_ZL18vec_dot_iq1_s_q8_1PKvPK10block_q8_1RKiEEEvS4_S4_PT_PS8_iiii ; -- Begin function _ZL9moe_vec_qIN3c108BFloat16ELi256ELi8E11block_iq1_sLi1EXadL_ZL18vec_dot_iq1_s_q8_1PKvPK10block_q8_1RKiEEEvS4_S4_PT_PS8_iiii
	.p2align	8
	.type	_ZL9moe_vec_qIN3c108BFloat16ELi256ELi8E11block_iq1_sLi1EXadL_ZL18vec_dot_iq1_s_q8_1PKvPK10block_q8_1RKiEEEvS4_S4_PT_PS8_iiii,@function
_ZL9moe_vec_qIN3c108BFloat16ELi256ELi8E11block_iq1_sLi1EXadL_ZL18vec_dot_iq1_s_q8_1PKvPK10block_q8_1RKiEEEvS4_S4_PT_PS8_iiii: ; @_ZL9moe_vec_qIN3c108BFloat16ELi256ELi8E11block_iq1_sLi1EXadL_ZL18vec_dot_iq1_s_q8_1PKvPK10block_q8_1RKiEEEvS4_S4_PT_PS8_iiii
; %bb.0:
	s_mov_b32 s8, s3
	s_load_dword s3, s[0:1], 0x3c
	s_load_dwordx4 s[4:7], s[0:1], 0x20
	v_bfe_u32 v1, v0, 10, 10
	s_waitcnt lgkmcnt(0)
	s_lshr_b32 s3, s3, 16
	s_mul_i32 s2, s2, s3
	v_add_u32_e32 v1, s2, v1
	v_cmp_gt_u32_e32 vcc, s6, v1
	s_and_saveexec_b64 s[2:3], vcc
	s_cbranch_execz .LBB288_7
; %bb.1:
	v_cvt_f32_u32_e32 v2, s4
	v_and_b32_e32 v6, 0x3ff, v0
	s_load_dwordx2 s[2:3], s[0:1], 0x10
	s_ashr_i32 s9, s5, 31
	v_rcp_iflag_f32_e32 v2, v2
	s_lshr_b32 s9, s9, 24
	s_add_i32 s5, s5, s9
	v_lshrrev_b32_e32 v7, 3, v6
	v_mul_f32_e32 v0, 0x4f7ffffe, v2
	v_cvt_u32_f32_e32 v0, v0
	s_ashr_i32 s14, s5, 8
	v_cmp_gt_u32_e32 vcc, s14, v7
	v_mov_b32_e32 v8, 0
	v_readfirstlane_b32 s5, v0
	s_and_saveexec_b64 s[10:11], vcc
	s_cbranch_execz .LBB288_5
; %bb.2:
	s_sub_i32 s12, 0, s4
	s_mul_i32 s15, s12, s5
	s_load_dwordx4 s[16:19], s[0:1], 0x0
	s_load_dwordx2 s[12:13], s[0:1], 0x18
	s_mov_b32 s9, 0
	s_mul_hi_u32 s0, s5, s15
	s_add_i32 s5, s5, s0
	s_lshl_b64 s[0:1], s[8:9], 2
	s_waitcnt lgkmcnt(0)
	s_add_u32 s0, s12, s0
	s_mul_hi_u32 s5, s8, s5
	s_addc_u32 s1, s13, s1
	s_load_dword s0, s[0:1], 0x0
	s_mul_i32 s1, s5, s4
	s_sub_i32 s1, s8, s1
	s_add_i32 s12, s5, 1
	s_sub_i32 s13, s1, s4
	s_cmp_ge_u32 s1, s4
	s_cselect_b32 s5, s12, s5
	s_cselect_b32 s1, s13, s1
	s_add_i32 s12, s5, 1
	s_cmp_ge_u32 s1, s4
	s_mul_i32 s1, s14, s6
	s_waitcnt lgkmcnt(0)
	s_mul_i32 s0, s1, s0
	s_cselect_b32 s4, s12, s5
	s_mul_hi_i32 s1, s0, 50
	s_mul_i32 s0, s0, 50
	s_add_u32 s0, s16, s0
	s_mul_i32 s4, s4, s7
	s_mov_b32 s5, s9
	s_addc_u32 s1, s17, s1
	s_lshl_b64 s[4:5], s[4:5], 2
	v_and_b32_e32 v0, 7, v6
	s_add_u32 s4, s18, s4
	v_lshlrev_b32_e32 v2, 1, v0
	v_mov_b32_e32 v3, 0
	s_addc_u32 s5, s19, s5
	v_mul_lo_u32 v9, v1, s14
	v_lshlrev_b32_e32 v10, 3, v7
	s_mov_b64 s[12:13], 0
	v_lshlrev_b32_e32 v2, 1, v2
	v_lshlrev_b32_e32 v4, 1, v0
	s_movk_i32 s7, 0x700
	v_mov_b32_e32 v11, 0xbf600000
	v_mov_b32_e32 v5, v3
	v_mov_b32_e32 v8, v3
.LBB288_3:                              ; =>This Inner Loop Header: Depth=1
	v_add_u32_e32 v12, v9, v7
	v_mad_i64_i32 v[20:21], s[16:17], v12, 50, s[0:1]
	v_lshl_add_u64 v[12:13], v[20:21], 0, v[2:3]
	v_lshl_add_u64 v[14:15], v[20:21], 0, v[4:5]
	global_load_dword v24, v[12:13], off offset:2
	global_load_ushort v25, v[14:15], off offset:34
	v_mad_i64_i32 v[12:13], s[16:17], v10, 36, s[4:5]
	v_mad_u64_u32 v[22:23], s[18:19], v0, 36, v[12:13]
	global_load_dwordx4 v[12:15], v[22:23], off
	global_load_dwordx4 v[16:19], v[22:23], off offset:16
	global_load_ushort v26, v[20:21], off
	s_getpc_b64 s[16:17]
	s_add_u32 s16, s16, _ZL13iq1s_grid_gpu@rel32@lo+4
	s_addc_u32 s17, s17, _ZL13iq1s_grid_gpu@rel32@hi+12
	v_add_u32_e32 v7, 8, v7
	v_cmp_le_u32_e32 vcc, s14, v7
	v_add_u32_e32 v10, 64, v10
	s_or_b64 s[12:13], vcc, s[12:13]
	s_waitcnt vmcnt(4)
	v_and_b32_e32 v27, 0xff, v24
	s_waitcnt vmcnt(3)
	v_lshlrev_b32_e32 v28, 8, v25
	v_lshrrev_b16_e32 v20, 8, v24
	v_lshrrev_b32_e32 v21, 24, v24
	v_lshlrev_b32_e32 v29, 5, v25
	v_bfe_u32 v24, v24, 16, 8
	v_lshlrev_b32_e32 v30, 2, v25
	v_lshrrev_b32_e32 v31, 1, v25
	v_and_or_b32 v27, v28, s7, v27
	v_and_or_b32 v20, v29, s7, v20
	;; [unrolled: 1-line block ×4, first 2 shown]
	v_lshlrev_b32_e32 v27, 3, v27
	v_lshlrev_b32_e32 v20, 3, v20
	;; [unrolled: 1-line block ×4, first 2 shown]
	global_load_dword v28, v27, s[16:17]
	global_load_dword v29, v20, s[16:17]
	;; [unrolled: 1-line block ×4, first 2 shown]
	global_load_dword v32, v[22:23], off offset:32
	s_waitcnt vmcnt(7)
	v_cvt_f32_f16_e32 v20, v12
	v_cvt_f32_f16_sdwa v21, v12 dst_sel:DWORD dst_unused:UNUSED_PAD src0_sel:WORD_1
	v_lshrrev_b32_e32 v12, 11, v25
	v_mov_b32_e32 v22, 0
	s_waitcnt vmcnt(5)
	v_cvt_f32_f16_e32 v23, v26
	v_and_b32_e32 v24, 0x8000, v25
	v_and_or_b32 v25, v12, 14, 1
	v_cvt_f32_u32_e32 v24, v24
	s_waitcnt vmcnt(4)
	v_and_b32_e32 v12, 0xf0f0f0f, v28
	v_lshrrev_b32_e32 v26, 4, v28
	v_and_b32_e32 v26, 0xf0f0f0f, v26
	v_dot4c_i32_i8_e32 v22, v12, v13
	s_waitcnt vmcnt(3)
	v_and_b32_e32 v27, 0xf0f0f0f, v29
	v_lshrrev_b32_e32 v28, 4, v29
	v_dot4c_i32_i8_e32 v22, v26, v14
	v_and_b32_e32 v12, 0xf0f0f0f, v28
	v_dot4c_i32_i8_e32 v22, v27, v15
	s_waitcnt vmcnt(2)
	v_and_b32_e32 v29, 0xf0f0f0f, v30
	v_lshrrev_b32_e32 v30, 4, v30
	v_dot4c_i32_i8_e32 v22, v12, v16
	;; [unrolled: 6-line block ×3, first 2 shown]
	v_and_b32_e32 v28, 0xf0f0f0f, v31
	v_dot4c_i32_i8_e32 v22, v33, v19
	s_waitcnt vmcnt(0)
	v_dot4c_i32_i8_e32 v22, v28, v32
	v_cvt_f32_ubyte0_e32 v13, v25
	v_mul_f32_e32 v14, v13, v23
	v_fmamk_f32 v13, v24, 0xb7000000, v11
	v_cvt_f32_i32_e32 v12, v22
	v_pk_mul_f32 v[12:13], v[12:13], v[20:21]
	s_nop 0
	v_add_f32_e32 v12, v12, v13
	v_fmac_f32_e32 v8, v14, v12
	s_andn2_b64 exec, exec, s[12:13]
	s_cbranch_execnz .LBB288_3
; %bb.4:
	s_or_b64 exec, exec, s[12:13]
.LBB288_5:
	s_or_b64 exec, exec, s[10:11]
	v_mbcnt_lo_u32_b32 v0, -1, 0
	v_mbcnt_hi_u32_b32 v2, -1, v0
	v_and_b32_e32 v0, 64, v2
	v_add_u32_e32 v3, 64, v0
	v_xor_b32_e32 v0, 32, v2
	v_cmp_lt_i32_e32 vcc, v0, v3
	v_xor_b32_e32 v4, 16, v2
	v_xor_b32_e32 v5, 8, v2
	v_cndmask_b32_e32 v0, v2, v0, vcc
	v_lshlrev_b32_e32 v0, 2, v0
	ds_bpermute_b32 v0, v0, v8
	v_cmp_lt_i32_e32 vcc, v4, v3
	s_waitcnt lgkmcnt(0)
	v_add_f32_e32 v0, v8, v0
	v_cndmask_b32_e32 v4, v2, v4, vcc
	v_lshlrev_b32_e32 v4, 2, v4
	ds_bpermute_b32 v4, v4, v0
	v_cmp_lt_i32_e32 vcc, v5, v3
	s_waitcnt lgkmcnt(0)
	v_add_f32_e32 v0, v0, v4
	v_cndmask_b32_e32 v4, v2, v5, vcc
	v_lshlrev_b32_e32 v4, 2, v4
	ds_bpermute_b32 v4, v4, v0
	v_xor_b32_e32 v5, 4, v2
	v_cmp_lt_i32_e32 vcc, v5, v3
	s_waitcnt lgkmcnt(0)
	v_add_f32_e32 v0, v0, v4
	v_cndmask_b32_e32 v4, v2, v5, vcc
	v_lshlrev_b32_e32 v4, 2, v4
	ds_bpermute_b32 v4, v4, v0
	v_xor_b32_e32 v5, 2, v2
	;; [unrolled: 7-line block ×3, first 2 shown]
	v_cmp_lt_i32_e32 vcc, v5, v3
	s_waitcnt lgkmcnt(0)
	v_add_f32_e32 v0, v0, v4
	v_cndmask_b32_e32 v2, v2, v5, vcc
	v_lshlrev_b32_e32 v2, 2, v2
	ds_bpermute_b32 v2, v2, v0
	v_cmp_eq_u32_e32 vcc, 0, v6
	s_and_b64 exec, exec, vcc
	s_cbranch_execz .LBB288_7
; %bb.6:
	s_waitcnt lgkmcnt(0)
	v_add_f32_e32 v0, v0, v2
	v_bfe_u32 v2, v0, 16, 1
	s_movk_i32 s0, 0x7fff
	v_add3_u32 v2, v0, v2, s0
	s_mul_i32 s0, s8, s6
	v_lshrrev_b32_e32 v2, 16, v2
	v_mov_b32_e32 v3, 0x7fc0
	v_cmp_o_f32_e32 vcc, v0, v0
	v_add_u32_e32 v0, s0, v1
	v_mov_b32_e32 v1, 0
	v_cndmask_b32_e32 v2, v3, v2, vcc
	v_lshl_add_u64 v[0:1], v[0:1], 1, s[2:3]
	global_store_short v[0:1], v2, off
.LBB288_7:
	s_endpgm
	.section	.rodata,"a",@progbits
	.p2align	6, 0x0
	.amdhsa_kernel _ZL9moe_vec_qIN3c108BFloat16ELi256ELi8E11block_iq1_sLi1EXadL_ZL18vec_dot_iq1_s_q8_1PKvPK10block_q8_1RKiEEEvS4_S4_PT_PS8_iiii
		.amdhsa_group_segment_fixed_size 0
		.amdhsa_private_segment_fixed_size 0
		.amdhsa_kernarg_size 304
		.amdhsa_user_sgpr_count 2
		.amdhsa_user_sgpr_dispatch_ptr 0
		.amdhsa_user_sgpr_queue_ptr 0
		.amdhsa_user_sgpr_kernarg_segment_ptr 1
		.amdhsa_user_sgpr_dispatch_id 0
		.amdhsa_user_sgpr_kernarg_preload_length 0
		.amdhsa_user_sgpr_kernarg_preload_offset 0
		.amdhsa_user_sgpr_private_segment_size 0
		.amdhsa_uses_dynamic_stack 0
		.amdhsa_enable_private_segment 0
		.amdhsa_system_sgpr_workgroup_id_x 1
		.amdhsa_system_sgpr_workgroup_id_y 0
		.amdhsa_system_sgpr_workgroup_id_z 1
		.amdhsa_system_sgpr_workgroup_info 0
		.amdhsa_system_vgpr_workitem_id 1
		.amdhsa_next_free_vgpr 34
		.amdhsa_next_free_sgpr 20
		.amdhsa_accum_offset 36
		.amdhsa_reserve_vcc 1
		.amdhsa_float_round_mode_32 0
		.amdhsa_float_round_mode_16_64 0
		.amdhsa_float_denorm_mode_32 3
		.amdhsa_float_denorm_mode_16_64 3
		.amdhsa_dx10_clamp 1
		.amdhsa_ieee_mode 1
		.amdhsa_fp16_overflow 0
		.amdhsa_tg_split 0
		.amdhsa_exception_fp_ieee_invalid_op 0
		.amdhsa_exception_fp_denorm_src 0
		.amdhsa_exception_fp_ieee_div_zero 0
		.amdhsa_exception_fp_ieee_overflow 0
		.amdhsa_exception_fp_ieee_underflow 0
		.amdhsa_exception_fp_ieee_inexact 0
		.amdhsa_exception_int_div_zero 0
	.end_amdhsa_kernel
	.section	.text._ZL9moe_vec_qIN3c108BFloat16ELi256ELi8E11block_iq1_sLi1EXadL_ZL18vec_dot_iq1_s_q8_1PKvPK10block_q8_1RKiEEEvS4_S4_PT_PS8_iiii,"axG",@progbits,_ZL9moe_vec_qIN3c108BFloat16ELi256ELi8E11block_iq1_sLi1EXadL_ZL18vec_dot_iq1_s_q8_1PKvPK10block_q8_1RKiEEEvS4_S4_PT_PS8_iiii,comdat
.Lfunc_end288:
	.size	_ZL9moe_vec_qIN3c108BFloat16ELi256ELi8E11block_iq1_sLi1EXadL_ZL18vec_dot_iq1_s_q8_1PKvPK10block_q8_1RKiEEEvS4_S4_PT_PS8_iiii, .Lfunc_end288-_ZL9moe_vec_qIN3c108BFloat16ELi256ELi8E11block_iq1_sLi1EXadL_ZL18vec_dot_iq1_s_q8_1PKvPK10block_q8_1RKiEEEvS4_S4_PT_PS8_iiii
                                        ; -- End function
	.section	.AMDGPU.csdata,"",@progbits
; Kernel info:
; codeLenInByte = 1136
; NumSgprs: 26
; NumVgprs: 34
; NumAgprs: 0
; TotalNumVgprs: 34
; ScratchSize: 0
; MemoryBound: 0
; FloatMode: 240
; IeeeMode: 1
; LDSByteSize: 0 bytes/workgroup (compile time only)
; SGPRBlocks: 3
; VGPRBlocks: 4
; NumSGPRsForWavesPerEU: 26
; NumVGPRsForWavesPerEU: 34
; AccumOffset: 36
; Occupancy: 8
; WaveLimiterHint : 1
; COMPUTE_PGM_RSRC2:SCRATCH_EN: 0
; COMPUTE_PGM_RSRC2:USER_SGPR: 2
; COMPUTE_PGM_RSRC2:TRAP_HANDLER: 0
; COMPUTE_PGM_RSRC2:TGID_X_EN: 1
; COMPUTE_PGM_RSRC2:TGID_Y_EN: 0
; COMPUTE_PGM_RSRC2:TGID_Z_EN: 1
; COMPUTE_PGM_RSRC2:TIDIG_COMP_CNT: 1
; COMPUTE_PGM_RSRC3_GFX90A:ACCUM_OFFSET: 8
; COMPUTE_PGM_RSRC3_GFX90A:TG_SPLIT: 0
	.section	.text._ZL9moe_vec_qIN3c108BFloat16ELi32ELi4E12block_iq4_nlLi2EXadL_ZL19vec_dot_iq4_nl_q8_1PKvPK10block_q8_1RKiEEEvS4_S4_PT_PS8_iiii,"axG",@progbits,_ZL9moe_vec_qIN3c108BFloat16ELi32ELi4E12block_iq4_nlLi2EXadL_ZL19vec_dot_iq4_nl_q8_1PKvPK10block_q8_1RKiEEEvS4_S4_PT_PS8_iiii,comdat
	.globl	_ZL9moe_vec_qIN3c108BFloat16ELi32ELi4E12block_iq4_nlLi2EXadL_ZL19vec_dot_iq4_nl_q8_1PKvPK10block_q8_1RKiEEEvS4_S4_PT_PS8_iiii ; -- Begin function _ZL9moe_vec_qIN3c108BFloat16ELi32ELi4E12block_iq4_nlLi2EXadL_ZL19vec_dot_iq4_nl_q8_1PKvPK10block_q8_1RKiEEEvS4_S4_PT_PS8_iiii
	.p2align	8
	.type	_ZL9moe_vec_qIN3c108BFloat16ELi32ELi4E12block_iq4_nlLi2EXadL_ZL19vec_dot_iq4_nl_q8_1PKvPK10block_q8_1RKiEEEvS4_S4_PT_PS8_iiii,@function
_ZL9moe_vec_qIN3c108BFloat16ELi32ELi4E12block_iq4_nlLi2EXadL_ZL19vec_dot_iq4_nl_q8_1PKvPK10block_q8_1RKiEEEvS4_S4_PT_PS8_iiii: ; @_ZL9moe_vec_qIN3c108BFloat16ELi32ELi4E12block_iq4_nlLi2EXadL_ZL19vec_dot_iq4_nl_q8_1PKvPK10block_q8_1RKiEEEvS4_S4_PT_PS8_iiii
; %bb.0:
	s_mov_b32 s8, s3
	s_load_dword s3, s[0:1], 0x3c
	s_load_dwordx4 s[4:7], s[0:1], 0x20
	v_bfe_u32 v1, v0, 10, 10
	s_waitcnt lgkmcnt(0)
	s_lshr_b32 s3, s3, 16
	s_mul_i32 s2, s2, s3
	v_add_u32_e32 v4, s2, v1
	v_cmp_gt_u32_e32 vcc, s6, v4
	s_and_saveexec_b64 s[2:3], vcc
	s_cbranch_execz .LBB289_7
; %bb.1:
	v_cvt_f32_u32_e32 v1, s4
	v_and_b32_e32 v5, 0x3ff, v0
	s_load_dwordx2 s[2:3], s[0:1], 0x10
	s_ashr_i32 s9, s5, 31
	v_rcp_iflag_f32_e32 v1, v1
	s_lshr_b32 s9, s9, 27
	s_add_i32 s5, s5, s9
	v_lshrrev_b32_e32 v6, 1, v5
	v_mul_f32_e32 v0, 0x4f7ffffe, v1
	v_cvt_u32_f32_e32 v0, v0
	s_ashr_i32 s16, s5, 5
	v_cmp_gt_u32_e32 vcc, s16, v6
	v_mov_b32_e32 v7, 0
	v_readfirstlane_b32 s5, v0
	s_and_saveexec_b64 s[10:11], vcc
	s_cbranch_execz .LBB289_5
; %bb.2:
	s_sub_i32 s12, 0, s4
	s_mul_i32 s17, s12, s5
	s_load_dwordx4 s[12:15], s[0:1], 0x0
	s_load_dwordx2 s[18:19], s[0:1], 0x18
	s_mov_b32 s9, 0
	s_mul_hi_u32 s0, s5, s17
	s_add_i32 s5, s5, s0
	s_lshl_b64 s[0:1], s[8:9], 2
	s_waitcnt lgkmcnt(0)
	s_add_u32 s0, s18, s0
	s_mul_hi_u32 s5, s8, s5
	s_addc_u32 s1, s19, s1
	s_load_dword s0, s[0:1], 0x0
	s_mul_i32 s1, s5, s4
	s_sub_i32 s1, s8, s1
	s_add_i32 s17, s5, 1
	s_sub_i32 s18, s1, s4
	s_cmp_ge_u32 s1, s4
	s_cselect_b32 s5, s17, s5
	s_cselect_b32 s1, s18, s1
	s_add_i32 s17, s5, 1
	s_cmp_ge_u32 s1, s4
	s_mul_i32 s1, s16, s6
	s_waitcnt lgkmcnt(0)
	s_mul_i32 s0, s1, s0
	s_cselect_b32 s4, s17, s5
	s_mul_hi_i32 s1, s0, 18
	s_mul_i32 s0, s0, 18
	s_add_u32 s0, s12, s0
	s_mul_i32 s4, s4, s7
	s_mov_b32 s5, s9
	v_lshlrev_b32_e32 v0, 1, v5
	s_addc_u32 s1, s13, s1
	s_lshl_b64 s[4:5], s[4:5], 2
	v_and_b32_e32 v2, 2, v0
	s_add_u32 s4, s14, s4
	v_lshlrev_b32_e32 v0, 1, v2
	v_mov_b32_e32 v1, 0
	s_addc_u32 s5, s15, s5
	v_mul_lo_u32 v8, v4, s16
	s_mov_b64 s[12:13], 0
	v_lshlrev_b32_e32 v0, 1, v0
	v_lshlrev_b32_e32 v2, 2, v2
	v_mov_b32_e32 v3, v1
	v_mov_b32_e32 v7, v1
.LBB289_3:                              ; =>This Inner Loop Header: Depth=1
	v_add_u32_e32 v9, v8, v6
	v_mad_i64_i32 v[10:11], s[14:15], v9, 18, s[0:1]
	v_lshl_add_u64 v[12:13], v[10:11], 0, v[0:1]
	global_load_dwordx2 v[12:13], v[12:13], off offset:2
	v_mad_i64_i32 v[14:15], s[14:15], v6, 36, s[4:5]
	v_lshl_add_u64 v[16:17], v[14:15], 0, v[2:3]
	s_getpc_b64 s[14:15]
	s_add_u32 s14, s14, _ZL13kvalues_iq4nl@rel32@lo+4
	s_addc_u32 s15, s15, _ZL13kvalues_iq4nl@rel32@hi+12
	global_load_dword v9, v[14:15], off
	global_load_dwordx2 v[18:19], v[16:17], off offset:4
	global_load_dwordx2 v[20:21], v[16:17], off offset:20
	v_add_u32_e32 v6, 32, v6
	v_cmp_le_u32_e32 vcc, s16, v6
	s_or_b64 s[12:13], vcc, s[12:13]
	s_waitcnt vmcnt(3)
	v_bfe_u32 v14, v12, 24, 4
	v_and_b32_e32 v15, 15, v12
	v_bfe_u32 v16, v12, 8, 4
	v_bfe_u32 v17, v12, 16, 4
	;; [unrolled: 1-line block ×4, first 2 shown]
	v_lshrrev_b32_e32 v24, 28, v12
	v_bfe_u32 v12, v12, 4, 4
	v_bfe_u32 v25, v13, 24, 4
	v_and_b32_e32 v26, 15, v13
	v_bfe_u32 v27, v13, 8, 4
	v_bfe_u32 v28, v13, 16, 4
	;; [unrolled: 1-line block ×4, first 2 shown]
	v_lshrrev_b32_e32 v31, 28, v13
	v_bfe_u32 v13, v13, 4, 4
	global_load_ubyte v32, v16, s[14:15]
	global_load_ubyte v33, v17, s[14:15]
	;; [unrolled: 1-line block ×15, first 2 shown]
                                        ; kill: killed $vgpr13
                                        ; kill: killed $vgpr15
                                        ; kill: killed $vgpr12
                                        ; kill: killed $vgpr26
                                        ; kill: killed $vgpr30
                                        ; kill: killed $vgpr17
                                        ; kill: killed $vgpr14
                                        ; kill: killed $vgpr16
                                        ; kill: killed $vgpr22
                                        ; kill: killed $vgpr31
                                        ; kill: killed $vgpr24
                                        ; kill: killed $vgpr29
                                        ; kill: killed $vgpr28
                                        ; kill: killed $vgpr23
                                        ; kill: killed $vgpr27
	global_load_ubyte v12, v25, s[14:15]
	s_nop 0
	global_load_ushort v13, v[10:11], off
	v_mov_b32_e32 v10, 0
	v_mov_b32_e32 v11, 0
	s_waitcnt vmcnt(19)
	v_cvt_f32_f16_e32 v9, v9
	s_waitcnt vmcnt(15)
	v_lshlrev_b32_e32 v15, 16, v33
	s_waitcnt vmcnt(13)
	v_lshlrev_b32_e32 v22, 16, v35
	s_waitcnt vmcnt(12)
	v_lshl_or_b32 v23, v34, 8, v36
	s_waitcnt vmcnt(11)
	v_lshlrev_b32_e32 v17, 24, v37
	s_waitcnt vmcnt(10)
	v_lshl_or_b32 v16, v32, 8, v38
	s_waitcnt vmcnt(9)
	v_lshlrev_b32_e32 v14, 24, v39
	v_or3_b32 v14, v16, v15, v14
	s_waitcnt vmcnt(7)
	v_lshlrev_b32_e32 v24, 16, v41
	v_or3_b32 v15, v23, v22, v17
	s_waitcnt vmcnt(5)
	v_lshlrev_b32_e32 v27, 16, v43
	s_waitcnt vmcnt(4)
	v_lshl_or_b32 v28, v42, 8, v44
	s_waitcnt vmcnt(3)
	v_lshlrev_b32_e32 v26, 24, v45
	s_waitcnt vmcnt(2)
	v_lshl_or_b32 v25, v40, 8, v46
	v_or3_b32 v16, v28, v27, v26
	v_dot4c_i32_i8_e32 v10, v14, v18
	v_dot4c_i32_i8_e32 v11, v15, v20
	v_dot4c_i32_i8_e32 v11, v16, v21
	s_waitcnt vmcnt(1)
	v_lshlrev_b32_e32 v12, 24, v12
	v_or3_b32 v12, v25, v24, v12
	v_dot4c_i32_i8_e32 v10, v12, v19
	s_waitcnt vmcnt(0)
	v_cvt_f32_f16_e32 v13, v13
	v_mul_f32_e32 v9, v13, v9
	v_add_u32_e32 v10, v11, v10
	v_cvt_f32_i32_e32 v10, v10
	v_fmac_f32_e32 v7, v9, v10
	s_andn2_b64 exec, exec, s[12:13]
	s_cbranch_execnz .LBB289_3
; %bb.4:
	s_or_b64 exec, exec, s[12:13]
.LBB289_5:
	s_or_b64 exec, exec, s[10:11]
	v_mbcnt_lo_u32_b32 v0, -1, 0
	v_mbcnt_hi_u32_b32 v1, -1, v0
	v_and_b32_e32 v0, 64, v1
	v_add_u32_e32 v2, 64, v0
	v_xor_b32_e32 v0, 32, v1
	v_cmp_lt_i32_e32 vcc, v0, v2
	v_xor_b32_e32 v3, 16, v1
	v_xor_b32_e32 v6, 8, v1
	v_cndmask_b32_e32 v0, v1, v0, vcc
	v_lshlrev_b32_e32 v0, 2, v0
	ds_bpermute_b32 v0, v0, v7
	v_cmp_lt_i32_e32 vcc, v3, v2
	s_waitcnt lgkmcnt(0)
	v_add_f32_e32 v0, v7, v0
	v_cndmask_b32_e32 v3, v1, v3, vcc
	v_lshlrev_b32_e32 v3, 2, v3
	ds_bpermute_b32 v3, v3, v0
	v_cmp_lt_i32_e32 vcc, v6, v2
	s_waitcnt lgkmcnt(0)
	v_add_f32_e32 v0, v0, v3
	v_cndmask_b32_e32 v3, v1, v6, vcc
	v_lshlrev_b32_e32 v3, 2, v3
	ds_bpermute_b32 v3, v3, v0
	v_xor_b32_e32 v6, 4, v1
	v_cmp_lt_i32_e32 vcc, v6, v2
	s_waitcnt lgkmcnt(0)
	v_add_f32_e32 v0, v0, v3
	v_cndmask_b32_e32 v3, v1, v6, vcc
	v_lshlrev_b32_e32 v3, 2, v3
	ds_bpermute_b32 v3, v3, v0
	v_xor_b32_e32 v6, 2, v1
	;; [unrolled: 7-line block ×3, first 2 shown]
	v_cmp_lt_i32_e32 vcc, v6, v2
	s_waitcnt lgkmcnt(0)
	v_add_f32_e32 v0, v0, v3
	v_cndmask_b32_e32 v1, v1, v6, vcc
	v_lshlrev_b32_e32 v1, 2, v1
	ds_bpermute_b32 v1, v1, v0
	v_cmp_eq_u32_e32 vcc, 0, v5
	s_and_b64 exec, exec, vcc
	s_cbranch_execz .LBB289_7
; %bb.6:
	s_waitcnt lgkmcnt(0)
	v_add_f32_e32 v0, v0, v1
	v_bfe_u32 v1, v0, 16, 1
	s_movk_i32 s0, 0x7fff
	v_add3_u32 v1, v0, v1, s0
	v_lshrrev_b32_e32 v1, 16, v1
	v_mov_b32_e32 v2, 0x7fc0
	v_cmp_o_f32_e32 vcc, v0, v0
	s_mul_i32 s0, s8, s6
	v_add_u32_e32 v0, s0, v4
	v_cndmask_b32_e32 v2, v2, v1, vcc
	v_mov_b32_e32 v1, 0
	v_lshl_add_u64 v[0:1], v[0:1], 1, s[2:3]
	global_store_short v[0:1], v2, off
.LBB289_7:
	s_endpgm
	.section	.rodata,"a",@progbits
	.p2align	6, 0x0
	.amdhsa_kernel _ZL9moe_vec_qIN3c108BFloat16ELi32ELi4E12block_iq4_nlLi2EXadL_ZL19vec_dot_iq4_nl_q8_1PKvPK10block_q8_1RKiEEEvS4_S4_PT_PS8_iiii
		.amdhsa_group_segment_fixed_size 0
		.amdhsa_private_segment_fixed_size 0
		.amdhsa_kernarg_size 304
		.amdhsa_user_sgpr_count 2
		.amdhsa_user_sgpr_dispatch_ptr 0
		.amdhsa_user_sgpr_queue_ptr 0
		.amdhsa_user_sgpr_kernarg_segment_ptr 1
		.amdhsa_user_sgpr_dispatch_id 0
		.amdhsa_user_sgpr_kernarg_preload_length 0
		.amdhsa_user_sgpr_kernarg_preload_offset 0
		.amdhsa_user_sgpr_private_segment_size 0
		.amdhsa_uses_dynamic_stack 0
		.amdhsa_enable_private_segment 0
		.amdhsa_system_sgpr_workgroup_id_x 1
		.amdhsa_system_sgpr_workgroup_id_y 0
		.amdhsa_system_sgpr_workgroup_id_z 1
		.amdhsa_system_sgpr_workgroup_info 0
		.amdhsa_system_vgpr_workitem_id 1
		.amdhsa_next_free_vgpr 47
		.amdhsa_next_free_sgpr 20
		.amdhsa_accum_offset 48
		.amdhsa_reserve_vcc 1
		.amdhsa_float_round_mode_32 0
		.amdhsa_float_round_mode_16_64 0
		.amdhsa_float_denorm_mode_32 3
		.amdhsa_float_denorm_mode_16_64 3
		.amdhsa_dx10_clamp 1
		.amdhsa_ieee_mode 1
		.amdhsa_fp16_overflow 0
		.amdhsa_tg_split 0
		.amdhsa_exception_fp_ieee_invalid_op 0
		.amdhsa_exception_fp_denorm_src 0
		.amdhsa_exception_fp_ieee_div_zero 0
		.amdhsa_exception_fp_ieee_overflow 0
		.amdhsa_exception_fp_ieee_underflow 0
		.amdhsa_exception_fp_ieee_inexact 0
		.amdhsa_exception_int_div_zero 0
	.end_amdhsa_kernel
	.section	.text._ZL9moe_vec_qIN3c108BFloat16ELi32ELi4E12block_iq4_nlLi2EXadL_ZL19vec_dot_iq4_nl_q8_1PKvPK10block_q8_1RKiEEEvS4_S4_PT_PS8_iiii,"axG",@progbits,_ZL9moe_vec_qIN3c108BFloat16ELi32ELi4E12block_iq4_nlLi2EXadL_ZL19vec_dot_iq4_nl_q8_1PKvPK10block_q8_1RKiEEEvS4_S4_PT_PS8_iiii,comdat
.Lfunc_end289:
	.size	_ZL9moe_vec_qIN3c108BFloat16ELi32ELi4E12block_iq4_nlLi2EXadL_ZL19vec_dot_iq4_nl_q8_1PKvPK10block_q8_1RKiEEEvS4_S4_PT_PS8_iiii, .Lfunc_end289-_ZL9moe_vec_qIN3c108BFloat16ELi32ELi4E12block_iq4_nlLi2EXadL_ZL19vec_dot_iq4_nl_q8_1PKvPK10block_q8_1RKiEEEvS4_S4_PT_PS8_iiii
                                        ; -- End function
	.section	.AMDGPU.csdata,"",@progbits
; Kernel info:
; codeLenInByte = 1200
; NumSgprs: 26
; NumVgprs: 47
; NumAgprs: 0
; TotalNumVgprs: 47
; ScratchSize: 0
; MemoryBound: 0
; FloatMode: 240
; IeeeMode: 1
; LDSByteSize: 0 bytes/workgroup (compile time only)
; SGPRBlocks: 3
; VGPRBlocks: 5
; NumSGPRsForWavesPerEU: 26
; NumVGPRsForWavesPerEU: 47
; AccumOffset: 48
; Occupancy: 8
; WaveLimiterHint : 1
; COMPUTE_PGM_RSRC2:SCRATCH_EN: 0
; COMPUTE_PGM_RSRC2:USER_SGPR: 2
; COMPUTE_PGM_RSRC2:TRAP_HANDLER: 0
; COMPUTE_PGM_RSRC2:TGID_X_EN: 1
; COMPUTE_PGM_RSRC2:TGID_Y_EN: 0
; COMPUTE_PGM_RSRC2:TGID_Z_EN: 1
; COMPUTE_PGM_RSRC2:TIDIG_COMP_CNT: 1
; COMPUTE_PGM_RSRC3_GFX90A:ACCUM_OFFSET: 11
; COMPUTE_PGM_RSRC3_GFX90A:TG_SPLIT: 0
	.section	.text._ZL9moe_vec_qIN3c108BFloat16ELi256ELi8E11block_iq3_sLi1EXadL_ZL18vec_dot_iq3_s_q8_1PKvPK10block_q8_1RKiEEEvS4_S4_PT_PS8_iiii,"axG",@progbits,_ZL9moe_vec_qIN3c108BFloat16ELi256ELi8E11block_iq3_sLi1EXadL_ZL18vec_dot_iq3_s_q8_1PKvPK10block_q8_1RKiEEEvS4_S4_PT_PS8_iiii,comdat
	.globl	_ZL9moe_vec_qIN3c108BFloat16ELi256ELi8E11block_iq3_sLi1EXadL_ZL18vec_dot_iq3_s_q8_1PKvPK10block_q8_1RKiEEEvS4_S4_PT_PS8_iiii ; -- Begin function _ZL9moe_vec_qIN3c108BFloat16ELi256ELi8E11block_iq3_sLi1EXadL_ZL18vec_dot_iq3_s_q8_1PKvPK10block_q8_1RKiEEEvS4_S4_PT_PS8_iiii
	.p2align	8
	.type	_ZL9moe_vec_qIN3c108BFloat16ELi256ELi8E11block_iq3_sLi1EXadL_ZL18vec_dot_iq3_s_q8_1PKvPK10block_q8_1RKiEEEvS4_S4_PT_PS8_iiii,@function
_ZL9moe_vec_qIN3c108BFloat16ELi256ELi8E11block_iq3_sLi1EXadL_ZL18vec_dot_iq3_s_q8_1PKvPK10block_q8_1RKiEEEvS4_S4_PT_PS8_iiii: ; @_ZL9moe_vec_qIN3c108BFloat16ELi256ELi8E11block_iq3_sLi1EXadL_ZL18vec_dot_iq3_s_q8_1PKvPK10block_q8_1RKiEEEvS4_S4_PT_PS8_iiii
; %bb.0:
	s_mov_b32 s8, s3
	s_load_dword s3, s[0:1], 0x3c
	s_load_dwordx4 s[4:7], s[0:1], 0x20
	v_bfe_u32 v1, v0, 10, 10
	s_waitcnt lgkmcnt(0)
	s_lshr_b32 s3, s3, 16
	s_mul_i32 s2, s2, s3
	v_add_u32_e32 v24, s2, v1
	v_cmp_gt_u32_e32 vcc, s6, v24
	s_and_saveexec_b64 s[2:3], vcc
	s_cbranch_execz .LBB290_9
; %bb.1:
	s_load_dwordx2 s[2:3], s[0:1], 0x10
	s_ashr_i32 s9, s5, 31
	s_lshr_b32 s9, s9, 24
	s_add_i32 s5, s5, s9
	v_and_b32_e32 v25, 0x3ff, v0
	s_ashr_i32 s5, s5, 8
	v_lshrrev_b32_e32 v26, 3, v25
	v_cmp_gt_u32_e32 vcc, s5, v26
	v_mov_b32_e32 v1, 0
	s_and_saveexec_b64 s[10:11], vcc
	s_cbranch_execz .LBB290_7
; %bb.2:
	s_load_dwordx2 s[12:13], s[0:1], 0x18
	v_cvt_f32_u32_e32 v0, s4
	s_mov_b32 s9, 0
	s_lshl_b64 s[14:15], s[8:9], 2
	v_and_b32_e32 v2, 7, v25
	s_waitcnt lgkmcnt(0)
	s_add_u32 s12, s12, s14
	v_rcp_iflag_f32_e32 v0, v0
	s_addc_u32 s13, s13, s15
	s_load_dword s14, s[12:13], 0x0
	s_load_dwordx4 s[16:19], s[0:1], 0x0
	s_mul_i32 s0, s5, s6
	v_mul_f32_e32 v0, 0x4f7ffffe, v0
	v_cvt_u32_f32_e32 v0, v0
	s_waitcnt lgkmcnt(0)
	s_mul_i32 s0, s0, s14
	s_mul_hi_i32 s1, s0, 0x6e
	s_mulk_i32 s0, 0x6e
	s_add_u32 s14, s16, s0
	s_addc_u32 s15, s17, s1
	s_sub_i32 s0, 0, s4
	v_readfirstlane_b32 s1, v0
	s_mul_i32 s0, s0, s1
	s_mul_hi_u32 s0, s1, s0
	s_add_i32 s1, s1, s0
	s_mul_hi_u32 s0, s8, s1
	s_mul_i32 s1, s0, s4
	s_sub_i32 s1, s8, s1
	s_add_i32 s13, s0, 1
	s_sub_i32 s16, s1, s4
	s_cmp_ge_u32 s1, s4
	s_cselect_b32 s0, s13, s0
	s_cselect_b32 s1, s16, s1
	s_add_i32 s13, s0, 1
	s_cmp_ge_u32 s1, s4
	s_cselect_b32 s0, s13, s0
	s_mul_i32 s0, s0, s7
	s_mov_b32 s1, s9
	s_lshl_b64 s[0:1], s[0:1], 2
	s_add_u32 s0, s18, s0
	s_addc_u32 s1, s19, s1
	v_mov_b32_e32 v1, 0
	v_lshlrev_b32_e32 v8, 2, v25
	v_lshlrev_b32_e32 v0, 3, v2
	v_mad_u64_u32 v[4:5], s[0:1], v2, 36, s[0:1]
	v_and_b32_e32 v28, 4, v8
	v_lshlrev_b32_e32 v8, 2, v2
	v_mov_b32_e32 v9, v1
	v_mul_lo_u32 v27, v24, s5
	v_lshl_add_u64 v[8:9], s[14:15], 0, v[8:9]
	s_mov_b64 s[0:1], 0x4a
	v_lshl_add_u64 v[10:11], s[14:15], 0, v[0:1]
	s_movk_i32 s12, 0x6e
	v_mov_b32_e32 v3, v1
	v_bfe_u32 v6, v25, 1, 2
	v_mov_b32_e32 v7, v1
	v_lshl_add_u64 v[8:9], v[8:9], 0, s[0:1]
	v_add_u32_e32 v29, v26, v27
	v_lshl_add_u64 v[10:11], v[10:11], 0, 2
	s_mov_b64 s[0:1], 0
	v_mov_b64_e32 v[12:13], s[14:15]
	s_movk_i32 s4, 0x100
	s_mov_b32 s7, 0x1010101
	s_mov_b32 s9, 0x1000000
	v_mov_b32_e32 v0, 0xff0000
	v_mov_b32_e32 v30, 0xff00
	;; [unrolled: 1-line block ×3, first 2 shown]
	s_mov_b32 s13, 0xc060c00
	s_getpc_b64 s[16:17]
	s_add_u32 s16, s16, _ZL10iq3xs_grid@rel32@lo+4
	s_addc_u32 s17, s17, _ZL10iq3xs_grid@rel32@hi+12
.LBB290_3:                              ; =>This Loop Header: Depth=1
                                        ;     Child Loop BB290_4 Depth 2
	v_add_u32_e32 v14, v26, v27
	v_mad_i64_i32 v[16:17], s[14:15], v14, s12, v[12:13]
	v_lshl_add_u64 v[14:15], v[16:17], 0, v[2:3]
	global_load_ubyte v33, v[14:15], off offset:66
	v_lshlrev_b32_e32 v14, 3, v26
	v_mad_i64_i32 v[18:19], s[14:15], v29, s12, v[8:9]
	v_mad_i64_i32 v[20:21], s[14:15], v29, s12, v[10:11]
	;; [unrolled: 1-line block ×3, first 2 shown]
	v_lshl_add_u64 v[22:23], v[14:15], 0, 4
	s_mov_b32 s14, 7
	v_mov_b32_e32 v32, 0
.LBB290_4:                              ;   Parent Loop BB290_3 Depth=1
                                        ; =>  This Inner Loop Header: Depth=2
	global_load_ushort v34, v[20:21], off
	global_load_ubyte v36, v[18:19], off
	s_add_i32 s15, s14, 1
	s_waitcnt vmcnt(2)
	v_lshlrev_b32_e32 v37, s15, v33
	v_lshlrev_b32_e32 v35, s14, v33
	s_add_i32 s14, s14, -2
	v_lshl_add_u64 v[18:19], v[18:19], 0, 1
	v_lshl_add_u64 v[20:21], v[20:21], 0, 2
	s_cmp_lg_u32 s14, -1
	s_waitcnt vmcnt(1)
	v_and_b32_e32 v38, 0xff, v34
	v_lshrrev_b16_e32 v34, 8, v34
	v_and_or_b32 v37, v37, s4, v38
	v_and_or_b32 v34, v35, s4, v34
	v_lshlrev_b32_e32 v37, 2, v37
	v_lshlrev_b32_e32 v38, 2, v34
	global_load_dword v39, v37, s[16:17]
	global_load_dword v40, v38, s[16:17]
	global_load_dwordx2 v[34:35], v[22:23], off
	s_waitcnt vmcnt(3)
	v_and_b32_e32 v37, 15, v36
	v_lshrrev_b16_e32 v36, 4, v36
	v_mul_lo_u32 v36, v36, s7
	v_not_b32_e32 v36, v36
	v_and_b32_e32 v38, 0x8040201, v36
	v_and_b32_e32 v37, 0xffff, v37
	;; [unrolled: 1-line block ×3, first 2 shown]
	v_cmp_gt_u32_e32 vcc, s9, v38
	v_mul_lo_u32 v37, v37, s7
	v_and_b32_e32 v42, 0x200, v36
	v_cndmask_b32_e64 v38, 0, -1, vcc
	v_cmp_eq_u32_e32 vcc, 0, v41
	v_not_b32_e32 v37, v37
	v_and_b32_e32 v36, 1, v36
	v_cndmask_b32_e32 v41, 0, v0, vcc
	v_cmp_eq_u32_e32 vcc, 0, v42
	v_and_b32_e32 v43, 0x8040201, v37
	v_and_b32_e32 v44, 0x40000, v37
	v_cndmask_b32_e32 v42, 0, v30, vcc
	v_cmp_eq_u32_e32 vcc, 0, v36
	v_and_b32_e32 v45, 0x200, v37
	v_and_b32_e32 v37, 1, v37
	v_cndmask_b32_e32 v36, 0, v31, vcc
	v_cmp_gt_u32_e32 vcc, s9, v43
	v_lshlrev_b32_e32 v38, 24, v38
	v_or_b32_e32 v46, v42, v36
	v_cndmask_b32_e64 v43, 0, -1, vcc
	v_cmp_eq_u32_e32 vcc, 0, v44
	v_lshlrev_b32_e32 v43, 24, v43
	v_or3_b32 v46, v46, v41, v38
	v_cndmask_b32_e32 v44, 0, v0, vcc
	v_cmp_eq_u32_e32 vcc, 0, v45
	v_lshl_add_u64 v[22:23], v[22:23], 0, 8
	s_waitcnt vmcnt(1)
	v_xor_b32_e32 v40, v46, v40
	v_cndmask_b32_e32 v45, 0, v30, vcc
	v_cmp_eq_u32_e32 vcc, 0, v37
	v_sub_u32_e32 v38, v40, v38
	v_sub_u32_e32 v36, v40, v36
	v_cndmask_b32_e32 v37, 0, v31, vcc
	v_or_b32_e32 v47, v45, v37
	v_or3_b32 v47, v47, v44, v43
	v_xor_b32_e32 v39, v47, v39
	v_sub_u32_e32 v43, v39, v43
	v_sub_u32_e32 v44, v39, v44
	;; [unrolled: 1-line block ×6, first 2 shown]
	v_and_b32_e32 v40, 0xff000000, v43
	v_and_b32_e32 v42, 0xff00, v45
	v_perm_b32 v37, v44, v37, s13
	v_and_b32_e32 v38, 0xff000000, v38
	v_and_b32_e32 v41, 0xff00, v41
	v_perm_b32 v36, v39, v36, s13
	v_or3_b32 v37, v37, v40, v42
	v_or3_b32 v36, v36, v38, v41
	s_waitcnt vmcnt(0)
	v_dot4c_i32_i8_e32 v32, v37, v34
	v_dot4c_i32_i8_e32 v32, v36, v35
	s_cbranch_scc1 .LBB290_4
; %bb.5:                                ;   in Loop: Header=BB290_3 Depth=1
	global_load_ushort v18, v[16:17], off
	v_lshl_add_u64 v[16:17], v[16:17], 0, v[6:7]
	global_load_dword v19, v[14:15], off
	global_load_ubyte v20, v[16:17], off offset:106
	v_cvt_f32_i32_e32 v14, v32
	v_add_u32_e32 v26, 8, v26
	v_cmp_le_u32_e32 vcc, s5, v26
	s_or_b64 s[0:1], vcc, s[0:1]
	v_add_u32_e32 v29, 8, v29
	s_waitcnt vmcnt(2)
	v_cvt_f32_f16_e32 v15, v18
	s_waitcnt vmcnt(1)
	v_cvt_f32_f16_e32 v16, v19
	s_waitcnt vmcnt(0)
	v_bfe_u32 v17, v20, v28, 4
	v_cvt_f32_ubyte0_e32 v17, v17
	v_add_f32_e32 v17, 0.5, v17
	v_mul_f32_e32 v15, v17, v15
	v_mul_f32_e32 v15, v15, v16
	v_mul_f32_e32 v15, 0.5, v15
	v_fmac_f32_e32 v1, v15, v14
	s_andn2_b64 exec, exec, s[0:1]
	s_cbranch_execnz .LBB290_3
; %bb.6:
	s_or_b64 exec, exec, s[0:1]
.LBB290_7:
	s_or_b64 exec, exec, s[10:11]
	v_mbcnt_lo_u32_b32 v0, -1, 0
	v_mbcnt_hi_u32_b32 v2, -1, v0
	v_and_b32_e32 v0, 64, v2
	v_add_u32_e32 v3, 64, v0
	v_xor_b32_e32 v0, 32, v2
	v_cmp_lt_i32_e32 vcc, v0, v3
	v_xor_b32_e32 v4, 16, v2
	s_nop 0
	v_cndmask_b32_e32 v0, v2, v0, vcc
	v_lshlrev_b32_e32 v0, 2, v0
	ds_bpermute_b32 v0, v0, v1
	v_cmp_lt_i32_e32 vcc, v4, v3
	s_waitcnt lgkmcnt(0)
	v_add_f32_e32 v0, v1, v0
	v_cndmask_b32_e32 v1, v2, v4, vcc
	v_lshlrev_b32_e32 v1, 2, v1
	ds_bpermute_b32 v1, v1, v0
	v_xor_b32_e32 v4, 8, v2
	v_cmp_lt_i32_e32 vcc, v4, v3
	s_waitcnt lgkmcnt(0)
	v_add_f32_e32 v0, v0, v1
	v_cndmask_b32_e32 v1, v2, v4, vcc
	v_lshlrev_b32_e32 v1, 2, v1
	ds_bpermute_b32 v1, v1, v0
	v_xor_b32_e32 v4, 4, v2
	;; [unrolled: 7-line block ×4, first 2 shown]
	v_cmp_lt_i32_e32 vcc, v4, v3
	s_waitcnt lgkmcnt(0)
	v_add_f32_e32 v0, v0, v1
	v_cndmask_b32_e32 v1, v2, v4, vcc
	v_lshlrev_b32_e32 v1, 2, v1
	ds_bpermute_b32 v1, v1, v0
	v_cmp_eq_u32_e32 vcc, 0, v25
	s_and_b64 exec, exec, vcc
	s_cbranch_execz .LBB290_9
; %bb.8:
	s_waitcnt lgkmcnt(0)
	v_add_f32_e32 v0, v0, v1
	v_bfe_u32 v1, v0, 16, 1
	s_movk_i32 s0, 0x7fff
	v_add3_u32 v1, v0, v1, s0
	v_lshrrev_b32_e32 v1, 16, v1
	v_mov_b32_e32 v2, 0x7fc0
	v_cmp_o_f32_e32 vcc, v0, v0
	s_mul_i32 s0, s8, s6
	v_add_u32_e32 v0, s0, v24
	v_cndmask_b32_e32 v2, v2, v1, vcc
	v_mov_b32_e32 v1, 0
	v_lshl_add_u64 v[0:1], v[0:1], 1, s[2:3]
	global_store_short v[0:1], v2, off
.LBB290_9:
	s_endpgm
	.section	.rodata,"a",@progbits
	.p2align	6, 0x0
	.amdhsa_kernel _ZL9moe_vec_qIN3c108BFloat16ELi256ELi8E11block_iq3_sLi1EXadL_ZL18vec_dot_iq3_s_q8_1PKvPK10block_q8_1RKiEEEvS4_S4_PT_PS8_iiii
		.amdhsa_group_segment_fixed_size 0
		.amdhsa_private_segment_fixed_size 0
		.amdhsa_kernarg_size 304
		.amdhsa_user_sgpr_count 2
		.amdhsa_user_sgpr_dispatch_ptr 0
		.amdhsa_user_sgpr_queue_ptr 0
		.amdhsa_user_sgpr_kernarg_segment_ptr 1
		.amdhsa_user_sgpr_dispatch_id 0
		.amdhsa_user_sgpr_kernarg_preload_length 0
		.amdhsa_user_sgpr_kernarg_preload_offset 0
		.amdhsa_user_sgpr_private_segment_size 0
		.amdhsa_uses_dynamic_stack 0
		.amdhsa_enable_private_segment 0
		.amdhsa_system_sgpr_workgroup_id_x 1
		.amdhsa_system_sgpr_workgroup_id_y 0
		.amdhsa_system_sgpr_workgroup_id_z 1
		.amdhsa_system_sgpr_workgroup_info 0
		.amdhsa_system_vgpr_workitem_id 1
		.amdhsa_next_free_vgpr 48
		.amdhsa_next_free_sgpr 20
		.amdhsa_accum_offset 48
		.amdhsa_reserve_vcc 1
		.amdhsa_float_round_mode_32 0
		.amdhsa_float_round_mode_16_64 0
		.amdhsa_float_denorm_mode_32 3
		.amdhsa_float_denorm_mode_16_64 3
		.amdhsa_dx10_clamp 1
		.amdhsa_ieee_mode 1
		.amdhsa_fp16_overflow 0
		.amdhsa_tg_split 0
		.amdhsa_exception_fp_ieee_invalid_op 0
		.amdhsa_exception_fp_denorm_src 0
		.amdhsa_exception_fp_ieee_div_zero 0
		.amdhsa_exception_fp_ieee_overflow 0
		.amdhsa_exception_fp_ieee_underflow 0
		.amdhsa_exception_fp_ieee_inexact 0
		.amdhsa_exception_int_div_zero 0
	.end_amdhsa_kernel
	.section	.text._ZL9moe_vec_qIN3c108BFloat16ELi256ELi8E11block_iq3_sLi1EXadL_ZL18vec_dot_iq3_s_q8_1PKvPK10block_q8_1RKiEEEvS4_S4_PT_PS8_iiii,"axG",@progbits,_ZL9moe_vec_qIN3c108BFloat16ELi256ELi8E11block_iq3_sLi1EXadL_ZL18vec_dot_iq3_s_q8_1PKvPK10block_q8_1RKiEEEvS4_S4_PT_PS8_iiii,comdat
.Lfunc_end290:
	.size	_ZL9moe_vec_qIN3c108BFloat16ELi256ELi8E11block_iq3_sLi1EXadL_ZL18vec_dot_iq3_s_q8_1PKvPK10block_q8_1RKiEEEvS4_S4_PT_PS8_iiii, .Lfunc_end290-_ZL9moe_vec_qIN3c108BFloat16ELi256ELi8E11block_iq3_sLi1EXadL_ZL18vec_dot_iq3_s_q8_1PKvPK10block_q8_1RKiEEEvS4_S4_PT_PS8_iiii
                                        ; -- End function
	.section	.AMDGPU.csdata,"",@progbits
; Kernel info:
; codeLenInByte = 1428
; NumSgprs: 26
; NumVgprs: 48
; NumAgprs: 0
; TotalNumVgprs: 48
; ScratchSize: 0
; MemoryBound: 0
; FloatMode: 240
; IeeeMode: 1
; LDSByteSize: 0 bytes/workgroup (compile time only)
; SGPRBlocks: 3
; VGPRBlocks: 5
; NumSGPRsForWavesPerEU: 26
; NumVGPRsForWavesPerEU: 48
; AccumOffset: 48
; Occupancy: 8
; WaveLimiterHint : 1
; COMPUTE_PGM_RSRC2:SCRATCH_EN: 0
; COMPUTE_PGM_RSRC2:USER_SGPR: 2
; COMPUTE_PGM_RSRC2:TRAP_HANDLER: 0
; COMPUTE_PGM_RSRC2:TGID_X_EN: 1
; COMPUTE_PGM_RSRC2:TGID_Y_EN: 0
; COMPUTE_PGM_RSRC2:TGID_Z_EN: 1
; COMPUTE_PGM_RSRC2:TIDIG_COMP_CNT: 1
; COMPUTE_PGM_RSRC3_GFX90A:ACCUM_OFFSET: 11
; COMPUTE_PGM_RSRC3_GFX90A:TG_SPLIT: 0
	.section	.text._ZL9moe_vec_qIN3c108BFloat16ELi256ELi8E11block_iq2_sLi1EXadL_ZL18vec_dot_iq2_s_q8_1PKvPK10block_q8_1RKiEEEvS4_S4_PT_PS8_iiii,"axG",@progbits,_ZL9moe_vec_qIN3c108BFloat16ELi256ELi8E11block_iq2_sLi1EXadL_ZL18vec_dot_iq2_s_q8_1PKvPK10block_q8_1RKiEEEvS4_S4_PT_PS8_iiii,comdat
	.globl	_ZL9moe_vec_qIN3c108BFloat16ELi256ELi8E11block_iq2_sLi1EXadL_ZL18vec_dot_iq2_s_q8_1PKvPK10block_q8_1RKiEEEvS4_S4_PT_PS8_iiii ; -- Begin function _ZL9moe_vec_qIN3c108BFloat16ELi256ELi8E11block_iq2_sLi1EXadL_ZL18vec_dot_iq2_s_q8_1PKvPK10block_q8_1RKiEEEvS4_S4_PT_PS8_iiii
	.p2align	8
	.type	_ZL9moe_vec_qIN3c108BFloat16ELi256ELi8E11block_iq2_sLi1EXadL_ZL18vec_dot_iq2_s_q8_1PKvPK10block_q8_1RKiEEEvS4_S4_PT_PS8_iiii,@function
_ZL9moe_vec_qIN3c108BFloat16ELi256ELi8E11block_iq2_sLi1EXadL_ZL18vec_dot_iq2_s_q8_1PKvPK10block_q8_1RKiEEEvS4_S4_PT_PS8_iiii: ; @_ZL9moe_vec_qIN3c108BFloat16ELi256ELi8E11block_iq2_sLi1EXadL_ZL18vec_dot_iq2_s_q8_1PKvPK10block_q8_1RKiEEEvS4_S4_PT_PS8_iiii
; %bb.0:
	s_mov_b32 s8, s3
	s_load_dword s3, s[0:1], 0x3c
	s_load_dwordx4 s[4:7], s[0:1], 0x20
	v_bfe_u32 v1, v0, 10, 10
	s_waitcnt lgkmcnt(0)
	s_lshr_b32 s3, s3, 16
	s_mul_i32 s2, s2, s3
	v_add_u32_e32 v14, s2, v1
	v_cmp_gt_u32_e32 vcc, s6, v14
	s_and_saveexec_b64 s[2:3], vcc
	s_cbranch_execz .LBB291_7
; %bb.1:
	s_load_dwordx2 s[2:3], s[0:1], 0x10
	s_ashr_i32 s9, s5, 31
	s_lshr_b32 s9, s9, 24
	s_add_i32 s5, s5, s9
	v_and_b32_e32 v15, 0x3ff, v0
	s_ashr_i32 s12, s5, 8
	v_lshrrev_b32_e32 v16, 3, v15
	v_cmp_gt_u32_e32 vcc, s12, v16
	v_mov_b32_e32 v17, 0
	s_and_saveexec_b64 s[10:11], vcc
	s_cbranch_execz .LBB291_5
; %bb.2:
	s_load_dwordx2 s[14:15], s[0:1], 0x18
	v_cvt_f32_u32_e32 v0, s4
	s_mov_b32 s9, 0
	s_lshl_b64 s[16:17], s[8:9], 2
	v_mov_b32_e32 v1, 0
	s_waitcnt lgkmcnt(0)
	s_add_u32 s14, s14, s16
	v_rcp_iflag_f32_e32 v0, v0
	s_addc_u32 s15, s15, s17
	s_load_dword s5, s[14:15], 0x0
	s_load_dwordx4 s[16:19], s[0:1], 0x0
	s_mul_i32 s0, s12, s6
	v_mul_f32_e32 v0, 0x4f7ffffe, v0
	v_cvt_u32_f32_e32 v0, v0
	s_waitcnt lgkmcnt(0)
	s_mul_i32 s0, s0, s5
	s_mul_hi_i32 s1, s0, 0x52
	s_mulk_i32 s0, 0x52
	s_add_u32 s0, s16, s0
	s_addc_u32 s1, s17, s1
	s_sub_i32 s5, 0, s4
	v_readfirstlane_b32 s14, v0
	s_mul_i32 s5, s5, s14
	s_mul_hi_u32 s5, s14, s5
	s_add_i32 s14, s14, s5
	s_mul_hi_u32 s5, s8, s14
	s_mul_i32 s14, s5, s4
	s_sub_i32 s14, s8, s14
	s_add_i32 s15, s5, 1
	s_sub_i32 s16, s14, s4
	s_cmp_ge_u32 s14, s4
	s_cselect_b32 s5, s15, s5
	s_cselect_b32 s14, s16, s14
	s_add_i32 s15, s5, 1
	s_cmp_ge_u32 s14, s4
	s_cselect_b32 s4, s15, s5
	s_mul_i32 s4, s4, s7
	s_mov_b32 s5, s9
	s_lshl_b64 s[4:5], s[4:5], 2
	s_add_u32 s4, s18, s4
	s_addc_u32 s5, s19, s5
	v_and_b32_e32 v0, 7, v15
	v_mad_u64_u32 v[2:3], s[4:5], v0, 36, s[4:5]
	s_movk_i32 s13, 0x52
	v_mul_lo_u32 v18, v14, s12
	v_lshlrev_b32_e32 v4, 2, v0
	v_mov_b32_e32 v5, v1
	v_lshlrev_b32_e32 v19, 3, v16
	s_mov_b64 s[4:5], 0
	v_mov_b64_e32 v[6:7], s[0:1]
	s_movk_i32 s7, 0x300
	s_mov_b32 s9, 0x1010101
	s_mov_b32 s14, 0x1000000
	v_mov_b32_e32 v20, 0xff0000
	v_mov_b32_e32 v21, 0xff00
	;; [unrolled: 1-line block ×3, first 2 shown]
	s_mov_b32 s15, 0xc060c00
	v_mov_b32_e32 v23, 4
	v_mov_b32_e32 v17, v1
.LBB291_3:                              ; =>This Inner Loop Header: Depth=1
	v_add_u32_e32 v8, v18, v16
	v_mad_i64_i32 v[8:9], s[16:17], v8, s13, v[6:7]
	v_lshl_add_u64 v[10:11], v[8:9], 0, v[4:5]
	v_lshl_add_u64 v[12:13], v[8:9], 0, v[0:1]
	global_load_ushort v28, v[8:9], off
	global_load_dword v24, v[10:11], off offset:2
	global_load_ubyte v25, v[12:13], off offset:66
	global_load_dword v26, v[10:11], off offset:34
	global_load_ubyte v29, v[12:13], off offset:74
	s_getpc_b64 s[0:1]
	s_add_u32 s0, s0, _ZL9iq2s_grid@rel32@lo+4
	s_addc_u32 s1, s1, _ZL9iq2s_grid@rel32@hi+12
	v_add_u32_e32 v16, 8, v16
	s_waitcnt vmcnt(4)
	v_cvt_f32_f16_e32 v28, v28
	s_waitcnt vmcnt(3)
	v_lshrrev_b32_e32 v8, 24, v24
	v_and_b32_e32 v9, 0xff, v24
	s_waitcnt vmcnt(2)
	v_lshlrev_b32_e32 v10, 8, v25
	s_waitcnt vmcnt(1)
	v_lshrrev_b32_e32 v11, 8, v26
	v_and_b32_e32 v12, 15, v26
	v_lshrrev_b16_e32 v13, 4, v26
	v_bfe_u32 v27, v24, 8, 8
	v_lshlrev_b32_e32 v30, 6, v25
	v_bfe_u32 v31, v26, 8, 4
	v_bfe_u32 v24, v24, 16, 8
	v_lshlrev_b32_e32 v32, 4, v25
	v_bfe_u32 v33, v26, 16, 4
	;; [unrolled: 3-line block ×3, first 2 shown]
	v_lshrrev_b16_sdwa v26, v23, v26 dst_sel:DWORD dst_unused:UNUSED_PAD src0_sel:DWORD src1_sel:BYTE_3
	v_and_or_b32 v9, v10, s7, v9
	v_mul_lo_u32 v10, v12, s9
	v_and_b32_e32 v12, 15, v13
	v_and_or_b32 v13, v30, s7, v27
	v_mul_lo_u32 v27, v31, s9
	v_lshrrev_b16_e32 v11, 4, v11
	v_and_or_b32 v24, v32, s7, v24
	v_mul_lo_u32 v30, v33, s9
	v_mul_lo_u32 v31, v34, s9
	v_and_or_b32 v8, v25, s7, v8
	v_mul_lo_u32 v25, v35, s9
	v_mul_lo_u32 v26, v26, s9
	v_lshlrev_b32_e32 v32, 3, v9
	v_not_b32_e32 v9, v10
	v_and_b32_e32 v10, 0xffff, v12
	v_lshlrev_b32_e32 v33, 3, v13
	v_not_b32_e32 v12, v27
	v_and_b32_e32 v11, 15, v11
	v_lshlrev_b32_e32 v27, 3, v24
	v_not_b32_e32 v13, v30
	v_not_b32_e32 v24, v31
	v_lshlrev_b32_e32 v30, 3, v8
	v_not_b32_e32 v8, v25
	v_not_b32_e32 v25, v26
	v_and_b32_e32 v26, 0x8040201, v9
	v_and_b32_e32 v31, 0x40000, v9
	;; [unrolled: 1-line block ×4, first 2 shown]
	v_mul_lo_u32 v36, v10, s9
	v_and_b32_e32 v37, 0x8040201, v12
	v_and_b32_e32 v38, 0x40000, v12
	;; [unrolled: 1-line block ×21, first 2 shown]
	global_load_dwordx2 v[8:9], v32, s[0:1]
	global_load_dwordx2 v[10:11], v33, s[0:1]
	;; [unrolled: 1-line block ×4, first 2 shown]
	v_cmp_gt_u32_e32 vcc, s14, v26
	v_not_b32_e32 v32, v36
	s_nop 0
	v_cndmask_b32_e64 v26, 0, -1, vcc
	v_cmp_eq_u32_e32 vcc, 0, v31
	v_lshlrev_b32_e32 v26, 24, v26
	s_nop 0
	v_cndmask_b32_e32 v27, 0, v20, vcc
	v_cmp_eq_u32_e32 vcc, 0, v34
	s_nop 1
	v_cndmask_b32_e32 v30, 0, v21, vcc
	v_cmp_eq_u32_e32 vcc, 0, v35
	s_nop 1
	v_cndmask_b32_e32 v31, 0, v22, vcc
	v_cmp_gt_u32_e32 vcc, s14, v37
	v_mul_lo_u32 v37, v41, s9
	v_not_b32_e32 v37, v37
	v_cndmask_b32_e64 v33, 0, -1, vcc
	v_cmp_eq_u32_e32 vcc, 0, v38
	v_and_b32_e32 v59, 0x8040201, v37
	v_and_b32_e32 v60, 0x40000, v37
	v_cndmask_b32_e32 v34, 0, v20, vcc
	v_cmp_eq_u32_e32 vcc, 0, v39
	v_and_b32_e32 v61, 0x200, v37
	v_and_b32_e32 v37, 1, v37
	v_cndmask_b32_e32 v35, 0, v21, vcc
	v_cmp_eq_u32_e32 vcc, 0, v40
	v_cmp_gt_u32_e64 s[0:1], s14, v59
	v_lshlrev_b32_e32 v33, 24, v33
	v_cndmask_b32_e32 v36, 0, v22, vcc
	v_cmp_gt_u32_e32 vcc, s14, v42
	v_cndmask_b32_e64 v59, 0, -1, s[0:1]
	v_cmp_eq_u32_e64 s[0:1], 0, v60
	v_cndmask_b32_e64 v38, 0, -1, vcc
	v_cmp_eq_u32_e32 vcc, 0, v43
	v_cndmask_b32_e64 v60, 0, v20, s[0:1]
	v_cmp_eq_u32_e64 s[0:1], 0, v61
	v_cndmask_b32_e32 v39, 0, v20, vcc
	v_cmp_eq_u32_e32 vcc, 0, v44
	v_cndmask_b32_e64 v61, 0, v21, s[0:1]
	v_or_b32_e32 v58, v35, v36
	v_cndmask_b32_e32 v40, 0, v21, vcc
	v_cmp_eq_u32_e32 vcc, 0, v45
	v_or3_b32 v58, v58, v34, v33
	v_lshlrev_b32_e32 v38, 24, v38
	v_cndmask_b32_e32 v41, 0, v22, vcc
	v_cmp_gt_u32_e32 vcc, s14, v46
	s_waitcnt vmcnt(2)
	v_xor_b32_e32 v10, v58, v10
	v_cndmask_b32_e64 v42, 0, -1, vcc
	v_cmp_eq_u32_e32 vcc, 0, v47
	v_or_b32_e32 v58, v40, v41
	v_lshlrev_b32_e32 v42, 24, v42
	v_cndmask_b32_e32 v43, 0, v20, vcc
	v_cmp_eq_u32_e32 vcc, 0, v48
	v_or3_b32 v58, v58, v39, v38
	s_waitcnt vmcnt(1)
	v_xor_b32_e32 v58, v58, v12
	v_cndmask_b32_e32 v44, 0, v21, vcc
	v_cmp_eq_u32_e32 vcc, 0, v49
	v_sub_u32_e32 v33, v10, v33
	v_sub_u32_e32 v34, v10, v34
	v_cndmask_b32_e32 v45, 0, v22, vcc
	v_cmp_gt_u32_e32 vcc, s14, v50
	v_sub_u32_e32 v35, v10, v35
	v_sub_u32_e32 v36, v10, v36
	v_cndmask_b32_e64 v46, 0, -1, vcc
	v_cmp_eq_u32_e32 vcc, 0, v51
	v_lshlrev_b32_e32 v46, 24, v46
	v_sub_u32_e32 v38, v58, v38
	v_cndmask_b32_e32 v47, 0, v20, vcc
	v_cmp_eq_u32_e32 vcc, 0, v52
	v_sub_u32_e32 v39, v58, v39
	v_sub_u32_e32 v40, v58, v40
	v_cndmask_b32_e32 v48, 0, v21, vcc
	v_cmp_eq_u32_e32 vcc, 0, v53
	v_sub_u32_e32 v41, v58, v41
	v_and_b32_e32 v38, 0xff000000, v38
	v_cndmask_b32_e32 v49, 0, v22, vcc
	v_cmp_gt_u32_e32 vcc, s14, v54
	v_or_b32_e32 v54, v30, v31
	v_or3_b32 v54, v54, v27, v26
	v_cndmask_b32_e64 v50, 0, -1, vcc
	v_cmp_eq_u32_e32 vcc, 0, v55
	v_and_b32_e32 v55, 0x8040201, v32
	v_xor_b32_e32 v8, v54, v8
	v_cndmask_b32_e32 v51, 0, v20, vcc
	v_cmp_eq_u32_e32 vcc, 0, v56
	v_and_b32_e32 v56, 0x40000, v32
	v_lshlrev_b32_e32 v54, 24, v59
	v_cndmask_b32_e32 v52, 0, v21, vcc
	v_cmp_eq_u32_e32 vcc, 0, v57
	v_and_b32_e32 v57, 0x200, v32
	v_and_b32_e32 v32, 1, v32
	v_cndmask_b32_e32 v53, 0, v22, vcc
	v_cmp_gt_u32_e32 vcc, s14, v55
	v_or_b32_e32 v12, v48, v49
	v_lshlrev_b32_e32 v50, 24, v50
	v_cndmask_b32_e64 v55, 0, -1, vcc
	v_cmp_eq_u32_e32 vcc, 0, v56
	v_lshlrev_b32_e32 v55, 24, v55
	v_or3_b32 v12, v12, v47, v46
	v_cndmask_b32_e32 v56, 0, v20, vcc
	v_cmp_eq_u32_e32 vcc, 0, v57
	s_waitcnt vmcnt(0)
	v_xor_b32_e32 v24, v12, v24
	v_sub_u32_e32 v63, v8, v26
	v_cndmask_b32_e32 v57, 0, v21, vcc
	v_cmp_eq_u32_e32 vcc, 0, v32
	v_sub_u32_e32 v64, v8, v27
	v_sub_u32_e32 v30, v8, v30
	v_cndmask_b32_e32 v32, 0, v22, vcc
	v_cmp_eq_u32_e32 vcc, 0, v37
	v_or_b32_e32 v37, v57, v32
	v_or3_b32 v37, v37, v56, v55
	v_xor_b32_e32 v9, v37, v9
	v_cndmask_b32_e32 v37, 0, v22, vcc
	v_or_b32_e32 v59, v61, v37
	v_or3_b32 v59, v59, v60, v54
	v_xor_b32_e32 v11, v59, v11
	v_or_b32_e32 v59, v44, v45
	v_or3_b32 v59, v59, v43, v42
	v_xor_b32_e32 v59, v59, v13
	;; [unrolled: 3-line block ×3, first 2 shown]
	v_mad_i64_i32 v[12:13], s[0:1], v19, 36, v[2:3]
	v_sub_u32_e32 v31, v8, v31
	v_sub_u32_e32 v55, v9, v55
	;; [unrolled: 1-line block ×9, first 2 shown]
	global_load_dwordx4 v[8:11], v[12:13], off
	v_sub_u32_e32 v46, v24, v46
	v_sub_u32_e32 v47, v24, v47
	;; [unrolled: 1-line block ×4, first 2 shown]
	global_load_dwordx4 v[24:27], v[12:13], off offset:16
	global_load_dword v58, v[12:13], off offset:32
	v_sub_u32_e32 v42, v59, v42
	v_sub_u32_e32 v43, v59, v43
	;; [unrolled: 1-line block ×8, first 2 shown]
	v_and_b32_e32 v40, 0xff00, v40
	v_perm_b32 v39, v39, v41, s15
	v_mov_b32_e32 v52, 0
	v_perm_b32 v31, v64, v31, s15
	v_perm_b32 v32, v56, v32, s15
	v_and_b32_e32 v56, 0xff000000, v63
	v_and_b32_e32 v41, 0xff000000, v42
	;; [unrolled: 1-line block ×3, first 2 shown]
	v_perm_b32 v43, v43, v45, s15
	v_and_b32_e32 v44, 0xff000000, v46
	v_perm_b32 v46, v47, v49, s15
	v_and_b32_e32 v12, 0xff000000, v12
	v_and_b32_e32 v47, 0xff00, v50
	v_perm_b32 v13, v13, v51, s15
	v_and_b32_e32 v30, 0xff00, v30
	v_or3_b32 v38, v39, v38, v40
	v_mov_b32_e32 v53, 0
	v_and_b32_e32 v55, 0xff000000, v55
	v_and_b32_e32 v45, 0xff00, v48
	;; [unrolled: 1-line block ×3, first 2 shown]
	v_or3_b32 v39, v43, v41, v42
	v_or3_b32 v12, v13, v12, v47
	;; [unrolled: 1-line block ×3, first 2 shown]
	v_perm_b32 v34, v34, v36, s15
	v_and_b32_e32 v33, 0xff000000, v33
	v_and_b32_e32 v35, 0xff00, v35
	v_or3_b32 v40, v46, v44, v45
	v_or3_b32 v30, v32, v55, v48
	v_and_b32_e32 v54, 0xff000000, v54
	v_perm_b32 v37, v60, v37, s15
	v_and_b32_e32 v49, 0xff00, v61
	v_or3_b32 v31, v34, v33, v35
	v_or3_b32 v32, v37, v54, v49
	v_lshrrev_b16_e32 v36, 4, v29
	v_and_b32_e32 v29, 15, v29
	v_cvt_f32_ubyte0_e32 v36, v36
	v_cvt_f32_ubyte0_e32 v29, v29
	v_add_f32_e32 v36, 0.5, v36
	v_add_f32_e32 v29, 0.5, v29
	v_cmp_le_u32_e32 vcc, s12, v16
	v_add_u32_e32 v19, 64, v19
	s_or_b64 s[4:5], vcc, s[4:5]
	s_waitcnt vmcnt(2)
	v_dot4c_i32_i8_e32 v53, v13, v9
	v_dot4c_i32_i8_e32 v53, v30, v10
	;; [unrolled: 1-line block ×3, first 2 shown]
	v_cvt_f32_f16_e32 v8, v8
	s_waitcnt vmcnt(1)
	v_dot4c_i32_i8_e32 v52, v38, v25
	v_dot4c_i32_i8_e32 v52, v39, v26
	;; [unrolled: 1-line block ×3, first 2 shown]
	s_waitcnt vmcnt(0)
	v_dot4c_i32_i8_e32 v52, v12, v58
	v_dot4c_i32_i8_e32 v53, v32, v24
	v_mul_f32_e32 v8, v28, v8
	v_mul_f32_e32 v8, 0x3e800000, v8
	v_cvt_f32_i32_e32 v9, v52
	v_cvt_f32_i32_e32 v10, v53
	v_mul_f32_e32 v9, v36, v9
	v_fmac_f32_e32 v9, v29, v10
	v_fmac_f32_e32 v17, v8, v9
	s_andn2_b64 exec, exec, s[4:5]
	s_cbranch_execnz .LBB291_3
; %bb.4:
	s_or_b64 exec, exec, s[4:5]
.LBB291_5:
	s_or_b64 exec, exec, s[10:11]
	v_mbcnt_lo_u32_b32 v0, -1, 0
	v_mbcnt_hi_u32_b32 v1, -1, v0
	v_and_b32_e32 v0, 64, v1
	v_add_u32_e32 v2, 64, v0
	v_xor_b32_e32 v0, 32, v1
	v_cmp_lt_i32_e32 vcc, v0, v2
	v_xor_b32_e32 v3, 16, v1
	v_xor_b32_e32 v4, 8, v1
	v_cndmask_b32_e32 v0, v1, v0, vcc
	v_lshlrev_b32_e32 v0, 2, v0
	ds_bpermute_b32 v0, v0, v17
	v_cmp_lt_i32_e32 vcc, v3, v2
	s_waitcnt lgkmcnt(0)
	v_add_f32_e32 v0, v17, v0
	v_cndmask_b32_e32 v3, v1, v3, vcc
	v_lshlrev_b32_e32 v3, 2, v3
	ds_bpermute_b32 v3, v3, v0
	v_cmp_lt_i32_e32 vcc, v4, v2
	s_waitcnt lgkmcnt(0)
	v_add_f32_e32 v0, v0, v3
	v_cndmask_b32_e32 v3, v1, v4, vcc
	v_lshlrev_b32_e32 v3, 2, v3
	ds_bpermute_b32 v3, v3, v0
	v_xor_b32_e32 v4, 4, v1
	v_cmp_lt_i32_e32 vcc, v4, v2
	s_waitcnt lgkmcnt(0)
	v_add_f32_e32 v0, v0, v3
	v_cndmask_b32_e32 v3, v1, v4, vcc
	v_lshlrev_b32_e32 v3, 2, v3
	ds_bpermute_b32 v3, v3, v0
	v_xor_b32_e32 v4, 2, v1
	;; [unrolled: 7-line block ×3, first 2 shown]
	v_cmp_lt_i32_e32 vcc, v4, v2
	s_waitcnt lgkmcnt(0)
	v_add_f32_e32 v0, v0, v3
	v_cndmask_b32_e32 v1, v1, v4, vcc
	v_lshlrev_b32_e32 v1, 2, v1
	ds_bpermute_b32 v1, v1, v0
	v_cmp_eq_u32_e32 vcc, 0, v15
	s_and_b64 exec, exec, vcc
	s_cbranch_execz .LBB291_7
; %bb.6:
	s_waitcnt lgkmcnt(0)
	v_add_f32_e32 v0, v0, v1
	v_bfe_u32 v1, v0, 16, 1
	s_movk_i32 s0, 0x7fff
	v_add3_u32 v1, v0, v1, s0
	v_lshrrev_b32_e32 v1, 16, v1
	v_mov_b32_e32 v2, 0x7fc0
	v_cmp_o_f32_e32 vcc, v0, v0
	s_mul_i32 s0, s8, s6
	v_add_u32_e32 v0, s0, v14
	v_cndmask_b32_e32 v2, v2, v1, vcc
	v_mov_b32_e32 v1, 0
	v_lshl_add_u64 v[0:1], v[0:1], 1, s[2:3]
	global_store_short v[0:1], v2, off
.LBB291_7:
	s_endpgm
	.section	.rodata,"a",@progbits
	.p2align	6, 0x0
	.amdhsa_kernel _ZL9moe_vec_qIN3c108BFloat16ELi256ELi8E11block_iq2_sLi1EXadL_ZL18vec_dot_iq2_s_q8_1PKvPK10block_q8_1RKiEEEvS4_S4_PT_PS8_iiii
		.amdhsa_group_segment_fixed_size 0
		.amdhsa_private_segment_fixed_size 0
		.amdhsa_kernarg_size 304
		.amdhsa_user_sgpr_count 2
		.amdhsa_user_sgpr_dispatch_ptr 0
		.amdhsa_user_sgpr_queue_ptr 0
		.amdhsa_user_sgpr_kernarg_segment_ptr 1
		.amdhsa_user_sgpr_dispatch_id 0
		.amdhsa_user_sgpr_kernarg_preload_length 0
		.amdhsa_user_sgpr_kernarg_preload_offset 0
		.amdhsa_user_sgpr_private_segment_size 0
		.amdhsa_uses_dynamic_stack 0
		.amdhsa_enable_private_segment 0
		.amdhsa_system_sgpr_workgroup_id_x 1
		.amdhsa_system_sgpr_workgroup_id_y 0
		.amdhsa_system_sgpr_workgroup_id_z 1
		.amdhsa_system_sgpr_workgroup_info 0
		.amdhsa_system_vgpr_workitem_id 1
		.amdhsa_next_free_vgpr 65
		.amdhsa_next_free_sgpr 20
		.amdhsa_accum_offset 68
		.amdhsa_reserve_vcc 1
		.amdhsa_float_round_mode_32 0
		.amdhsa_float_round_mode_16_64 0
		.amdhsa_float_denorm_mode_32 3
		.amdhsa_float_denorm_mode_16_64 3
		.amdhsa_dx10_clamp 1
		.amdhsa_ieee_mode 1
		.amdhsa_fp16_overflow 0
		.amdhsa_tg_split 0
		.amdhsa_exception_fp_ieee_invalid_op 0
		.amdhsa_exception_fp_denorm_src 0
		.amdhsa_exception_fp_ieee_div_zero 0
		.amdhsa_exception_fp_ieee_overflow 0
		.amdhsa_exception_fp_ieee_underflow 0
		.amdhsa_exception_fp_ieee_inexact 0
		.amdhsa_exception_int_div_zero 0
	.end_amdhsa_kernel
	.section	.text._ZL9moe_vec_qIN3c108BFloat16ELi256ELi8E11block_iq2_sLi1EXadL_ZL18vec_dot_iq2_s_q8_1PKvPK10block_q8_1RKiEEEvS4_S4_PT_PS8_iiii,"axG",@progbits,_ZL9moe_vec_qIN3c108BFloat16ELi256ELi8E11block_iq2_sLi1EXadL_ZL18vec_dot_iq2_s_q8_1PKvPK10block_q8_1RKiEEEvS4_S4_PT_PS8_iiii,comdat
.Lfunc_end291:
	.size	_ZL9moe_vec_qIN3c108BFloat16ELi256ELi8E11block_iq2_sLi1EXadL_ZL18vec_dot_iq2_s_q8_1PKvPK10block_q8_1RKiEEEvS4_S4_PT_PS8_iiii, .Lfunc_end291-_ZL9moe_vec_qIN3c108BFloat16ELi256ELi8E11block_iq2_sLi1EXadL_ZL18vec_dot_iq2_s_q8_1PKvPK10block_q8_1RKiEEEvS4_S4_PT_PS8_iiii
                                        ; -- End function
	.section	.AMDGPU.csdata,"",@progbits
; Kernel info:
; codeLenInByte = 2384
; NumSgprs: 26
; NumVgprs: 65
; NumAgprs: 0
; TotalNumVgprs: 65
; ScratchSize: 0
; MemoryBound: 0
; FloatMode: 240
; IeeeMode: 1
; LDSByteSize: 0 bytes/workgroup (compile time only)
; SGPRBlocks: 3
; VGPRBlocks: 8
; NumSGPRsForWavesPerEU: 26
; NumVGPRsForWavesPerEU: 65
; AccumOffset: 68
; Occupancy: 7
; WaveLimiterHint : 1
; COMPUTE_PGM_RSRC2:SCRATCH_EN: 0
; COMPUTE_PGM_RSRC2:USER_SGPR: 2
; COMPUTE_PGM_RSRC2:TRAP_HANDLER: 0
; COMPUTE_PGM_RSRC2:TGID_X_EN: 1
; COMPUTE_PGM_RSRC2:TGID_Y_EN: 0
; COMPUTE_PGM_RSRC2:TGID_Z_EN: 1
; COMPUTE_PGM_RSRC2:TIDIG_COMP_CNT: 1
; COMPUTE_PGM_RSRC3_GFX90A:ACCUM_OFFSET: 16
; COMPUTE_PGM_RSRC3_GFX90A:TG_SPLIT: 0
	.section	.text._ZL9moe_vec_qIN3c108BFloat16ELi256ELi8E12block_iq4_xsLi1EXadL_ZL19vec_dot_iq4_xs_q8_1PKvPK10block_q8_1RKiEEEvS4_S4_PT_PS8_iiii,"axG",@progbits,_ZL9moe_vec_qIN3c108BFloat16ELi256ELi8E12block_iq4_xsLi1EXadL_ZL19vec_dot_iq4_xs_q8_1PKvPK10block_q8_1RKiEEEvS4_S4_PT_PS8_iiii,comdat
	.globl	_ZL9moe_vec_qIN3c108BFloat16ELi256ELi8E12block_iq4_xsLi1EXadL_ZL19vec_dot_iq4_xs_q8_1PKvPK10block_q8_1RKiEEEvS4_S4_PT_PS8_iiii ; -- Begin function _ZL9moe_vec_qIN3c108BFloat16ELi256ELi8E12block_iq4_xsLi1EXadL_ZL19vec_dot_iq4_xs_q8_1PKvPK10block_q8_1RKiEEEvS4_S4_PT_PS8_iiii
	.p2align	8
	.type	_ZL9moe_vec_qIN3c108BFloat16ELi256ELi8E12block_iq4_xsLi1EXadL_ZL19vec_dot_iq4_xs_q8_1PKvPK10block_q8_1RKiEEEvS4_S4_PT_PS8_iiii,@function
_ZL9moe_vec_qIN3c108BFloat16ELi256ELi8E12block_iq4_xsLi1EXadL_ZL19vec_dot_iq4_xs_q8_1PKvPK10block_q8_1RKiEEEvS4_S4_PT_PS8_iiii: ; @_ZL9moe_vec_qIN3c108BFloat16ELi256ELi8E12block_iq4_xsLi1EXadL_ZL19vec_dot_iq4_xs_q8_1PKvPK10block_q8_1RKiEEEvS4_S4_PT_PS8_iiii
; %bb.0:
	s_mov_b32 s8, s3
	s_load_dword s3, s[0:1], 0x3c
	s_load_dwordx4 s[4:7], s[0:1], 0x20
	v_bfe_u32 v1, v0, 10, 10
	s_waitcnt lgkmcnt(0)
	s_lshr_b32 s3, s3, 16
	s_mul_i32 s2, s2, s3
	v_add_u32_e32 v18, s2, v1
	v_cmp_gt_u32_e32 vcc, s6, v18
	s_and_saveexec_b64 s[2:3], vcc
	s_cbranch_execz .LBB292_7
; %bb.1:
	s_load_dwordx2 s[2:3], s[0:1], 0x10
	s_ashr_i32 s9, s5, 31
	s_lshr_b32 s9, s9, 24
	s_add_i32 s5, s5, s9
	v_and_b32_e32 v19, 0x3ff, v0
	s_ashr_i32 s12, s5, 8
	v_lshrrev_b32_e32 v20, 3, v19
	v_cmp_gt_u32_e32 vcc, s12, v20
	v_mov_b32_e32 v21, 0
	s_and_saveexec_b64 s[10:11], vcc
	s_cbranch_execz .LBB292_5
; %bb.2:
	s_load_dwordx2 s[14:15], s[0:1], 0x18
	v_cvt_f32_u32_e32 v0, s4
	s_mov_b32 s9, 0
	s_lshl_b64 s[16:17], s[8:9], 2
	v_and_b32_e32 v1, 7, v19
	s_waitcnt lgkmcnt(0)
	s_add_u32 s14, s14, s16
	v_rcp_iflag_f32_e32 v0, v0
	s_addc_u32 s15, s15, s17
	s_load_dword s5, s[14:15], 0x0
	s_load_dwordx4 s[16:19], s[0:1], 0x0
	s_mul_i32 s0, s12, s6
	v_mul_f32_e32 v0, 0x4f7ffffe, v0
	v_cvt_u32_f32_e32 v0, v0
	s_waitcnt lgkmcnt(0)
	s_mul_i32 s0, s0, s5
	s_mul_hi_i32 s1, s0, 0x88
	s_mulk_i32 s0, 0x88
	s_add_u32 s14, s16, s0
	s_addc_u32 s15, s17, s1
	s_sub_i32 s0, 0, s4
	v_readfirstlane_b32 s1, v0
	s_mul_i32 s0, s0, s1
	s_mul_hi_u32 s0, s1, s0
	s_add_i32 s1, s1, s0
	s_mul_hi_u32 s0, s8, s1
	s_mul_i32 s1, s0, s4
	s_sub_i32 s1, s8, s1
	s_add_i32 s5, s0, 1
	s_sub_i32 s16, s1, s4
	s_cmp_ge_u32 s1, s4
	s_cselect_b32 s0, s5, s0
	s_cselect_b32 s1, s16, s1
	s_add_i32 s5, s0, 1
	s_cmp_ge_u32 s1, s4
	s_cselect_b32 s0, s5, s0
	s_mul_i32 s0, s0, s7
	s_mov_b32 s1, s9
	s_lshl_b64 s[0:1], s[0:1], 2
	s_add_u32 s0, s18, s0
	s_addc_u32 s1, s19, s1
	v_mad_u64_u32 v[8:9], s[0:1], v1, 36, s[0:1]
	v_lshlrev_b32_e32 v0, 2, v1
	v_mov_b32_e32 v11, 0
	v_lshlrev_b32_e32 v2, 2, v19
	s_movk_i32 s13, 0x88
	v_mul_lo_u32 v22, v18, s12
	v_bfe_u32 v10, v19, 1, 2
	v_and_b32_e32 v23, 4, v2
	v_lshlrev_b32_e32 v24, 1, v1
	v_lshlrev_b32_e32 v25, 3, v20
	s_mov_b64 s[0:1], 0
	v_mov_b64_e32 v[12:13], s[14:15]
	v_lshlrev_b32_e32 v14, 2, v0
	v_mov_b32_e32 v15, v11
	v_mov_b32_e32 v21, v11
.LBB292_3:                              ; =>This Inner Loop Header: Depth=1
	v_add_u32_e32 v0, v22, v20
	v_mad_i64_i32 v[26:27], s[14:15], v0, s13, v[12:13]
	v_lshl_add_u64 v[28:29], v[26:27], 0, v[14:15]
	v_mad_i64_i32 v[16:17], s[4:5], v25, 36, v[8:9]
	v_lshl_add_u64 v[30:31], v[26:27], 0, v[10:11]
	global_load_dwordx4 v[4:7], v[28:29], off offset:8
	global_load_ubyte v32, v[30:31], off offset:4
	global_load_dwordx4 v[0:3], v[16:17], off
	s_getpc_b64 s[4:5]
	s_add_u32 s4, s4, _ZL13kvalues_iq4nl@rel32@lo+4
	s_addc_u32 s5, s5, _ZL13kvalues_iq4nl@rel32@hi+12
	v_add_u32_e32 v20, 8, v20
	v_cmp_le_u32_e32 vcc, s12, v20
	v_add_u32_e32 v25, 64, v25
	s_or_b64 s[0:1], vcc, s[0:1]
	s_waitcnt vmcnt(2)
	v_bfe_u32 v28, v4, 24, 4
	v_and_b32_e32 v29, 15, v4
	v_bfe_u32 v30, v4, 8, 4
	v_bfe_u32 v31, v4, 16, 4
	v_bfe_u32 v33, v4, 20, 4
	v_lshrrev_b32_e32 v34, 28, v4
	v_bfe_u32 v35, v4, 4, 4
	v_bfe_u32 v36, v4, 12, 4
	v_bfe_u32 v37, v5, 24, 4
	v_and_b32_e32 v38, 15, v5
	v_bfe_u32 v39, v5, 8, 4
	v_bfe_u32 v40, v5, 16, 4
	v_bfe_u32 v41, v5, 20, 4
	v_lshrrev_b32_e32 v42, 28, v5
	v_bfe_u32 v43, v5, 4, 4
	v_bfe_u32 v44, v5, 12, 4
	;; [unrolled: 8-line block ×3, first 2 shown]
	v_bfe_u32 v53, v7, 24, 4
	v_bfe_u32 v55, v7, 8, 4
	v_bfe_u32 v56, v7, 16, 4
	v_bfe_u32 v57, v7, 20, 4
	v_bfe_u32 v60, v7, 12, 4
	v_and_b32_e32 v54, 15, v7
	v_lshrrev_b32_e32 v58, 28, v7
	v_bfe_u32 v59, v7, 4, 4
	global_load_dwordx4 v[4:7], v[16:17], off offset:16
	global_load_dword v61, v[26:27], off
	global_load_ubyte v62, v36, s[4:5]
	global_load_ubyte v63, v30, s[4:5]
                                        ; kill: killed $vgpr26_vgpr27
                                        ; kill: killed $vgpr36
                                        ; kill: killed $vgpr30
	s_nop 0
	global_load_ubyte v26, v31, s[4:5]
	global_load_ubyte v27, v33, s[4:5]
	;; [unrolled: 1-line block ×4, first 2 shown]
                                        ; kill: killed $vgpr34
                                        ; kill: killed $vgpr33
                                        ; kill: killed $vgpr31
                                        ; kill: killed $vgpr35
	s_nop 0
	global_load_ubyte v31, v29, s[4:5]
	global_load_ubyte v33, v28, s[4:5]
	;; [unrolled: 1-line block ×4, first 2 shown]
                                        ; kill: killed $vgpr39
                                        ; kill: killed $vgpr29
                                        ; kill: killed $vgpr28
                                        ; kill: killed $vgpr44
	s_nop 0
	global_load_ubyte v28, v40, s[4:5]
	global_load_ubyte v29, v41, s[4:5]
	;; [unrolled: 1-line block ×4, first 2 shown]
                                        ; kill: killed $vgpr43
                                        ; kill: killed $vgpr41
                                        ; kill: killed $vgpr40
                                        ; kill: killed $vgpr42
	s_nop 0
	global_load_ubyte v40, v38, s[4:5]
	global_load_ubyte v41, v37, s[4:5]
	;; [unrolled: 1-line block ×4, first 2 shown]
                                        ; kill: killed $vgpr37
                                        ; kill: killed $vgpr47
                                        ; kill: killed $vgpr38
                                        ; kill: killed $vgpr52
	s_nop 0
	global_load_ubyte v37, v48, s[4:5]
	global_load_ubyte v38, v49, s[4:5]
	;; [unrolled: 1-line block ×4, first 2 shown]
                                        ; kill: killed $vgpr51
                                        ; kill: killed $vgpr49
                                        ; kill: killed $vgpr48
                                        ; kill: killed $vgpr50
	s_nop 0
	global_load_ubyte v48, v46, s[4:5]
	global_load_ubyte v49, v45, s[4:5]
	;; [unrolled: 1-line block ×4, first 2 shown]
                                        ; kill: killed $vgpr45
                                        ; kill: killed $vgpr55
                                        ; kill: killed $vgpr46
                                        ; kill: killed $vgpr60
	s_nop 0
	global_load_ubyte v45, v56, s[4:5]
	global_load_ubyte v46, v57, s[4:5]
	;; [unrolled: 1-line block ×4, first 2 shown]
                                        ; kill: killed $vgpr53
                                        ; kill: killed $vgpr57
                                        ; kill: killed $vgpr56
                                        ; kill: killed $vgpr58
	s_nop 0
	global_load_ubyte v53, v54, s[4:5]
	global_load_ubyte v56, v59, s[4:5]
	global_load_dword v57, v[16:17], off offset:32
	v_mov_b32_e32 v16, 0
	v_mov_b32_e32 v17, 0
	s_waitcnt vmcnt(36)
	v_bfe_u32 v32, v32, v23, 4
	s_waitcnt vmcnt(35)
	v_cvt_f32_f16_e32 v0, v0
	s_waitcnt vmcnt(33)
	v_lshrrev_b32_sdwa v54, v24, v61 dst_sel:DWORD dst_unused:UNUSED_PAD src0_sel:DWORD src1_sel:WORD_1
	v_lshlrev_b32_e32 v54, 4, v54
	v_and_or_b32 v32, v54, 48, v32
	v_subrev_u32_e32 v32, 32, v32
	v_cvt_f32_f16_e32 v54, v61
	v_cvt_f32_i32_e32 v32, v32
	s_waitcnt vmcnt(30)
	v_lshlrev_b32_e32 v26, 16, v26
	s_waitcnt vmcnt(29)
	v_lshlrev_b32_e32 v27, 16, v27
	s_waitcnt vmcnt(28)
	v_lshl_or_b32 v30, v62, 8, v30
	s_waitcnt vmcnt(27)
	v_lshlrev_b32_e32 v36, 24, v36
	v_or3_b32 v27, v30, v27, v36
	v_dot4c_i32_i8_e32 v17, v27, v5
	s_waitcnt vmcnt(26)
	v_lshl_or_b32 v31, v63, 8, v31
	s_waitcnt vmcnt(25)
	v_lshlrev_b32_e32 v33, 24, v33
	v_or3_b32 v26, v31, v26, v33
	v_dot4c_i32_i8_e32 v16, v26, v1
	s_waitcnt vmcnt(22)
	v_lshlrev_b32_e32 v28, 16, v28
	s_waitcnt vmcnt(21)
	v_lshlrev_b32_e32 v29, 16, v29
	s_waitcnt vmcnt(20)
	v_lshl_or_b32 v34, v34, 8, v39
	s_waitcnt vmcnt(18)
	v_lshl_or_b32 v35, v35, 8, v40
	s_waitcnt vmcnt(17)
	v_lshlrev_b32_e32 v41, 24, v41
	v_lshlrev_b32_e32 v40, 24, v44
	v_or3_b32 v28, v35, v28, v41
	v_or3_b32 v29, v34, v29, v40
	v_dot4c_i32_i8_e32 v16, v28, v2
	v_dot4c_i32_i8_e32 v17, v29, v6
	v_mul_f32_e32 v2, v54, v32
	s_waitcnt vmcnt(14)
	v_lshlrev_b32_e32 v37, 16, v37
	s_waitcnt vmcnt(13)
	v_lshlrev_b32_e32 v38, 16, v38
	s_waitcnt vmcnt(12)
	v_lshl_or_b32 v42, v42, 8, v47
	s_waitcnt vmcnt(11)
	v_lshlrev_b32_e32 v44, 24, v52
	v_or3_b32 v31, v42, v38, v44
	v_dot4c_i32_i8_e32 v17, v31, v7
	v_mul_f32_e32 v0, v2, v0
	s_waitcnt vmcnt(10)
	v_lshl_or_b32 v43, v43, 8, v48
	s_waitcnt vmcnt(9)
	v_lshlrev_b32_e32 v39, 24, v49
	v_or3_b32 v30, v43, v37, v39
	v_dot4c_i32_i8_e32 v16, v30, v3
	s_waitcnt vmcnt(6)
	v_lshlrev_b32_e32 v45, 16, v45
	s_waitcnt vmcnt(5)
	v_lshlrev_b32_e32 v46, 16, v46
	;; [unrolled: 2-line block ×4, first 2 shown]
	s_waitcnt vmcnt(2)
	v_lshl_or_b32 v48, v51, 8, v53
	s_waitcnt vmcnt(1)
	v_lshl_or_b32 v50, v50, 8, v56
	v_or3_b32 v33, v48, v45, v47
	v_or3_b32 v34, v50, v46, v49
	v_dot4c_i32_i8_e32 v16, v33, v4
	s_waitcnt vmcnt(0)
	v_dot4c_i32_i8_e32 v17, v34, v57
	s_nop 2
	v_add_u32_e32 v1, v17, v16
	v_cvt_f32_i32_e32 v1, v1
	v_fmac_f32_e32 v21, v0, v1
	s_andn2_b64 exec, exec, s[0:1]
	s_cbranch_execnz .LBB292_3
; %bb.4:
	s_or_b64 exec, exec, s[0:1]
.LBB292_5:
	s_or_b64 exec, exec, s[10:11]
	v_mbcnt_lo_u32_b32 v0, -1, 0
	v_mbcnt_hi_u32_b32 v1, -1, v0
	v_and_b32_e32 v0, 64, v1
	v_add_u32_e32 v2, 64, v0
	v_xor_b32_e32 v0, 32, v1
	v_cmp_lt_i32_e32 vcc, v0, v2
	v_xor_b32_e32 v3, 16, v1
	v_xor_b32_e32 v4, 8, v1
	v_cndmask_b32_e32 v0, v1, v0, vcc
	v_lshlrev_b32_e32 v0, 2, v0
	ds_bpermute_b32 v0, v0, v21
	v_cmp_lt_i32_e32 vcc, v3, v2
	s_waitcnt lgkmcnt(0)
	v_add_f32_e32 v0, v21, v0
	v_cndmask_b32_e32 v3, v1, v3, vcc
	v_lshlrev_b32_e32 v3, 2, v3
	ds_bpermute_b32 v3, v3, v0
	v_cmp_lt_i32_e32 vcc, v4, v2
	s_waitcnt lgkmcnt(0)
	v_add_f32_e32 v0, v0, v3
	v_cndmask_b32_e32 v3, v1, v4, vcc
	v_lshlrev_b32_e32 v3, 2, v3
	ds_bpermute_b32 v3, v3, v0
	v_xor_b32_e32 v4, 4, v1
	v_cmp_lt_i32_e32 vcc, v4, v2
	s_waitcnt lgkmcnt(0)
	v_add_f32_e32 v0, v0, v3
	v_cndmask_b32_e32 v3, v1, v4, vcc
	v_lshlrev_b32_e32 v3, 2, v3
	ds_bpermute_b32 v3, v3, v0
	v_xor_b32_e32 v4, 2, v1
	;; [unrolled: 7-line block ×3, first 2 shown]
	v_cmp_lt_i32_e32 vcc, v4, v2
	s_waitcnt lgkmcnt(0)
	v_add_f32_e32 v0, v0, v3
	v_cndmask_b32_e32 v1, v1, v4, vcc
	v_lshlrev_b32_e32 v1, 2, v1
	ds_bpermute_b32 v1, v1, v0
	v_cmp_eq_u32_e32 vcc, 0, v19
	s_and_b64 exec, exec, vcc
	s_cbranch_execz .LBB292_7
; %bb.6:
	s_waitcnt lgkmcnt(0)
	v_add_f32_e32 v0, v0, v1
	v_bfe_u32 v1, v0, 16, 1
	s_movk_i32 s0, 0x7fff
	v_add3_u32 v1, v0, v1, s0
	v_lshrrev_b32_e32 v1, 16, v1
	v_mov_b32_e32 v2, 0x7fc0
	v_cmp_o_f32_e32 vcc, v0, v0
	s_mul_i32 s0, s8, s6
	v_add_u32_e32 v0, s0, v18
	v_cndmask_b32_e32 v2, v2, v1, vcc
	v_mov_b32_e32 v1, 0
	v_lshl_add_u64 v[0:1], v[0:1], 1, s[2:3]
	global_store_short v[0:1], v2, off
.LBB292_7:
	s_endpgm
	.section	.rodata,"a",@progbits
	.p2align	6, 0x0
	.amdhsa_kernel _ZL9moe_vec_qIN3c108BFloat16ELi256ELi8E12block_iq4_xsLi1EXadL_ZL19vec_dot_iq4_xs_q8_1PKvPK10block_q8_1RKiEEEvS4_S4_PT_PS8_iiii
		.amdhsa_group_segment_fixed_size 0
		.amdhsa_private_segment_fixed_size 0
		.amdhsa_kernarg_size 304
		.amdhsa_user_sgpr_count 2
		.amdhsa_user_sgpr_dispatch_ptr 0
		.amdhsa_user_sgpr_queue_ptr 0
		.amdhsa_user_sgpr_kernarg_segment_ptr 1
		.amdhsa_user_sgpr_dispatch_id 0
		.amdhsa_user_sgpr_kernarg_preload_length 0
		.amdhsa_user_sgpr_kernarg_preload_offset 0
		.amdhsa_user_sgpr_private_segment_size 0
		.amdhsa_uses_dynamic_stack 0
		.amdhsa_enable_private_segment 0
		.amdhsa_system_sgpr_workgroup_id_x 1
		.amdhsa_system_sgpr_workgroup_id_y 0
		.amdhsa_system_sgpr_workgroup_id_z 1
		.amdhsa_system_sgpr_workgroup_info 0
		.amdhsa_system_vgpr_workitem_id 1
		.amdhsa_next_free_vgpr 64
		.amdhsa_next_free_sgpr 20
		.amdhsa_accum_offset 64
		.amdhsa_reserve_vcc 1
		.amdhsa_float_round_mode_32 0
		.amdhsa_float_round_mode_16_64 0
		.amdhsa_float_denorm_mode_32 3
		.amdhsa_float_denorm_mode_16_64 3
		.amdhsa_dx10_clamp 1
		.amdhsa_ieee_mode 1
		.amdhsa_fp16_overflow 0
		.amdhsa_tg_split 0
		.amdhsa_exception_fp_ieee_invalid_op 0
		.amdhsa_exception_fp_denorm_src 0
		.amdhsa_exception_fp_ieee_div_zero 0
		.amdhsa_exception_fp_ieee_overflow 0
		.amdhsa_exception_fp_ieee_underflow 0
		.amdhsa_exception_fp_ieee_inexact 0
		.amdhsa_exception_int_div_zero 0
	.end_amdhsa_kernel
	.section	.text._ZL9moe_vec_qIN3c108BFloat16ELi256ELi8E12block_iq4_xsLi1EXadL_ZL19vec_dot_iq4_xs_q8_1PKvPK10block_q8_1RKiEEEvS4_S4_PT_PS8_iiii,"axG",@progbits,_ZL9moe_vec_qIN3c108BFloat16ELi256ELi8E12block_iq4_xsLi1EXadL_ZL19vec_dot_iq4_xs_q8_1PKvPK10block_q8_1RKiEEEvS4_S4_PT_PS8_iiii,comdat
.Lfunc_end292:
	.size	_ZL9moe_vec_qIN3c108BFloat16ELi256ELi8E12block_iq4_xsLi1EXadL_ZL19vec_dot_iq4_xs_q8_1PKvPK10block_q8_1RKiEEEvS4_S4_PT_PS8_iiii, .Lfunc_end292-_ZL9moe_vec_qIN3c108BFloat16ELi256ELi8E12block_iq4_xsLi1EXadL_ZL19vec_dot_iq4_xs_q8_1PKvPK10block_q8_1RKiEEEvS4_S4_PT_PS8_iiii
                                        ; -- End function
	.section	.AMDGPU.csdata,"",@progbits
; Kernel info:
; codeLenInByte = 1724
; NumSgprs: 26
; NumVgprs: 64
; NumAgprs: 0
; TotalNumVgprs: 64
; ScratchSize: 0
; MemoryBound: 0
; FloatMode: 240
; IeeeMode: 1
; LDSByteSize: 0 bytes/workgroup (compile time only)
; SGPRBlocks: 3
; VGPRBlocks: 7
; NumSGPRsForWavesPerEU: 26
; NumVGPRsForWavesPerEU: 64
; AccumOffset: 64
; Occupancy: 8
; WaveLimiterHint : 1
; COMPUTE_PGM_RSRC2:SCRATCH_EN: 0
; COMPUTE_PGM_RSRC2:USER_SGPR: 2
; COMPUTE_PGM_RSRC2:TRAP_HANDLER: 0
; COMPUTE_PGM_RSRC2:TGID_X_EN: 1
; COMPUTE_PGM_RSRC2:TGID_Y_EN: 0
; COMPUTE_PGM_RSRC2:TGID_Z_EN: 1
; COMPUTE_PGM_RSRC2:TIDIG_COMP_CNT: 1
; COMPUTE_PGM_RSRC3_GFX90A:ACCUM_OFFSET: 15
; COMPUTE_PGM_RSRC3_GFX90A:TG_SPLIT: 0
	.section	.text._ZL9moe_vec_qIN3c108BFloat16ELi256ELi8E11block_iq1_mLi1EXadL_ZL18vec_dot_iq1_m_q8_1PKvPK10block_q8_1RKiEEEvS4_S4_PT_PS8_iiii,"axG",@progbits,_ZL9moe_vec_qIN3c108BFloat16ELi256ELi8E11block_iq1_mLi1EXadL_ZL18vec_dot_iq1_m_q8_1PKvPK10block_q8_1RKiEEEvS4_S4_PT_PS8_iiii,comdat
	.globl	_ZL9moe_vec_qIN3c108BFloat16ELi256ELi8E11block_iq1_mLi1EXadL_ZL18vec_dot_iq1_m_q8_1PKvPK10block_q8_1RKiEEEvS4_S4_PT_PS8_iiii ; -- Begin function _ZL9moe_vec_qIN3c108BFloat16ELi256ELi8E11block_iq1_mLi1EXadL_ZL18vec_dot_iq1_m_q8_1PKvPK10block_q8_1RKiEEEvS4_S4_PT_PS8_iiii
	.p2align	8
	.type	_ZL9moe_vec_qIN3c108BFloat16ELi256ELi8E11block_iq1_mLi1EXadL_ZL18vec_dot_iq1_m_q8_1PKvPK10block_q8_1RKiEEEvS4_S4_PT_PS8_iiii,@function
_ZL9moe_vec_qIN3c108BFloat16ELi256ELi8E11block_iq1_mLi1EXadL_ZL18vec_dot_iq1_m_q8_1PKvPK10block_q8_1RKiEEEvS4_S4_PT_PS8_iiii: ; @_ZL9moe_vec_qIN3c108BFloat16ELi256ELi8E11block_iq1_mLi1EXadL_ZL18vec_dot_iq1_m_q8_1PKvPK10block_q8_1RKiEEEvS4_S4_PT_PS8_iiii
; %bb.0:
	s_mov_b32 s8, s3
	s_load_dword s3, s[0:1], 0x3c
	s_load_dwordx4 s[4:7], s[0:1], 0x20
	v_bfe_u32 v1, v0, 10, 10
	s_waitcnt lgkmcnt(0)
	s_lshr_b32 s3, s3, 16
	s_mul_i32 s2, s2, s3
	v_add_u32_e32 v9, s2, v1
	v_cmp_gt_u32_e32 vcc, s6, v9
	s_and_saveexec_b64 s[2:3], vcc
	s_cbranch_execz .LBB293_7
; %bb.1:
	v_cvt_f32_u32_e32 v1, s4
	v_and_b32_e32 v18, 0x3ff, v0
	s_load_dwordx2 s[2:3], s[0:1], 0x10
	s_ashr_i32 s9, s5, 31
	v_rcp_iflag_f32_e32 v1, v1
	s_lshr_b32 s9, s9, 24
	s_add_i32 s5, s5, s9
	v_lshrrev_b32_e32 v19, 3, v18
	v_mul_f32_e32 v0, 0x4f7ffffe, v1
	v_cvt_u32_f32_e32 v0, v0
	s_ashr_i32 s15, s5, 8
	v_cmp_gt_u32_e32 vcc, s15, v19
	v_mov_b32_e32 v21, 0
	v_readfirstlane_b32 s5, v0
	s_and_saveexec_b64 s[10:11], vcc
	s_cbranch_execz .LBB293_5
; %bb.2:
	s_sub_i32 s12, 0, s4
	s_mul_i32 s14, s12, s5
	s_load_dwordx4 s[16:19], s[0:1], 0x0
	s_load_dwordx2 s[12:13], s[0:1], 0x18
	s_mov_b32 s9, 0
	s_mul_hi_u32 s0, s5, s14
	s_add_i32 s5, s5, s0
	s_lshl_b64 s[0:1], s[8:9], 2
	s_waitcnt lgkmcnt(0)
	s_add_u32 s0, s12, s0
	s_mul_hi_u32 s5, s8, s5
	s_addc_u32 s1, s13, s1
	s_load_dword s0, s[0:1], 0x0
	s_mul_i32 s1, s5, s4
	s_sub_i32 s1, s8, s1
	s_add_i32 s12, s5, 1
	s_sub_i32 s13, s1, s4
	s_cmp_ge_u32 s1, s4
	s_cselect_b32 s5, s12, s5
	s_cselect_b32 s1, s13, s1
	s_add_i32 s12, s5, 1
	s_cmp_ge_u32 s1, s4
	s_mul_i32 s1, s15, s6
	s_waitcnt lgkmcnt(0)
	s_mul_i32 s0, s1, s0
	s_cselect_b32 s4, s12, s5
	s_mul_hi_i32 s1, s0, 56
	s_mul_i32 s0, s0, 56
	s_add_u32 s0, s16, s0
	s_mul_i32 s4, s4, s7
	s_mov_b32 s5, s9
	s_addc_u32 s1, s17, s1
	s_lshl_b64 s[4:5], s[4:5], 2
	v_and_b32_e32 v1, 1, v18
	s_add_u32 s4, s18, s4
	v_and_b32_e32 v8, 7, v18
	v_mov_b32_e32 v11, 0
	v_bfe_u32 v0, v18, 1, 2
	v_cmp_eq_u32_e32 vcc, 1, v1
	s_mov_b32 s18, 0xbf600000
	s_addc_u32 s5, s19, s5
	v_mul_lo_u32 v20, v9, s15
	v_lshlrev_b32_e32 v10, 1, v8
	v_cndmask_b32_e64 v22, 0, 6, vcc
	v_lshlrev_b32_e32 v23, 3, v19
	s_mov_b64 s[12:13], 0
	v_lshlrev_b32_e32 v12, 2, v8
	s_mov_b32 s7, 0x40008
	s_movk_i32 s9, 0xf000
	v_lshlrev_b32_e32 v14, 1, v0
	s_movk_i32 s16, 0x700
	s_mov_b32 s14, 0x3d000000
	v_mov_b64_e32 v[16:17], s[18:19]
	v_mov_b32_e32 v13, v11
	v_mov_b32_e32 v15, v11
	;; [unrolled: 1-line block ×4, first 2 shown]
.LBB293_3:                              ; =>This Inner Loop Header: Depth=1
	v_add_u32_e32 v0, v20, v19
	v_mad_i64_i32 v[26:27], s[18:19], v0, 56, s[0:1]
	v_lshl_add_u64 v[0:1], v[26:27], 0, v[12:13]
	v_lshl_add_u64 v[2:3], v[26:27], 0, v[10:11]
	global_load_dword v25, v[0:1], off
	global_load_ushort v30, v[2:3], off offset:32
	v_mad_i64_i32 v[0:1], s[18:19], v23, 36, s[4:5]
	v_mad_u64_u32 v[28:29], s[20:21], v8, 36, v[0:1]
	s_getpc_b64 s[18:19]
	s_add_u32 s18, s18, _ZL13iq1s_grid_gpu@rel32@lo+4
	s_addc_u32 s19, s19, _ZL13iq1s_grid_gpu@rel32@hi+12
	global_load_dword v36, v[28:29], off offset:32
	global_load_dwordx4 v[4:7], v[28:29], off
	global_load_dwordx4 v[0:3], v[28:29], off offset:16
	v_lshl_add_u64 v[28:29], v[26:27], 0, v[14:15]
	global_load_dwordx2 v[26:27], v[26:27], off offset:48
	v_mov_b32_e32 v42, 0
	v_mov_b32_e32 v43, 0
	v_add_u32_e32 v19, 8, v19
	v_cmp_le_u32_e32 vcc, s15, v19
	v_add_u32_e32 v23, 64, v23
	s_or_b64 s[12:13], vcc, s[12:13]
	s_waitcnt vmcnt(5)
	v_and_b32_e32 v31, 0xff, v25
	s_waitcnt vmcnt(4)
	v_lshlrev_b32_e32 v34, 8, v30
	v_lshrrev_b16_e32 v37, 4, v30
	v_and_or_b32 v31, v34, s16, v31
	v_and_b32_e32 v34, 15, v37
	v_bfe_u32 v32, v25, 8, 8
	v_lshrrev_b16_e32 v35, 12, v30
	v_lshlrev_b32_e32 v34, 8, v34
	v_bfe_u32 v33, v25, 16, 8
	v_lshlrev_b32_sdwa v38, v24, v30 dst_sel:DWORD dst_unused:UNUSED_PAD src0_sel:DWORD src1_sel:BYTE_1
	v_alignbit_b32 v25, v35, v25, 24
	v_lshlrev_b32_e32 v31, 3, v31
	v_and_or_b32 v32, v34, s16, v32
	v_and_or_b32 v33, v38, s16, v33
	v_and_b32_e32 v25, 0x7ff, v25
	global_load_dword v38, v31, s[18:19]
	v_lshlrev_b32_e32 v31, 3, v32
	v_lshlrev_b32_e32 v33, 3, v33
	;; [unrolled: 1-line block ×3, first 2 shown]
	global_load_dword v39, v31, s[18:19]
	global_load_dword v40, v33, s[18:19]
	;; [unrolled: 1-line block ×3, first 2 shown]
	global_load_ushort v32, v[28:29], off offset:48
	v_mov_b32_e32 v25, 0
	v_mov_b32_e32 v28, 0
	s_waitcnt vmcnt(7)
	v_dot4c_i32_i8_e32 v25, 0x1010101, v5
	s_waitcnt vmcnt(6)
	v_dot4c_i32_i8_e32 v28, 0x1010101, v1
	v_dot4c_i32_i8_e32 v25, 0x1010101, v6
	;; [unrolled: 1-line block ×3, first 2 shown]
	s_waitcnt vmcnt(5)
	v_alignbit_b32 v29, v27, v26, 16
	v_lshrrev_b16_e32 v34, 12, v26
	v_and_b32_sdwa v44, v27, s9 dst_sel:DWORD dst_unused:UNUSED_PAD src0_sel:WORD_1 src1_sel:DWORD
	v_and_b32_sdwa v27, v30, v24 dst_sel:DWORD dst_unused:UNUSED_PAD src0_sel:BYTE_1 src1_sel:DWORD
	v_and_b32_e32 v30, 8, v30
	v_cvt_f32_ubyte0_e32 v27, v27
	v_mov_b32_e32 v33, 0
	v_mov_b32_e32 v31, 0
	v_dot4c_i32_i8_e32 v33, 0x1010101, v7
	v_dot4c_i32_i8_e32 v31, 0x1010101, v3
	;; [unrolled: 1-line block ×4, first 2 shown]
	v_and_b32_e32 v35, 8, v35
	v_cvt_f32_f16_e32 v4, v4
	s_waitcnt vmcnt(0)
	v_lshrrev_b32_e32 v26, v22, v32
	v_pk_lshrrev_b16 v32, s7, v29
	v_cvt_f32_i32_e32 v29, v28
	v_cvt_f32_i32_e32 v28, v25
	v_lshlrev_b32_e32 v45, 1, v26
	v_lshrrev_b32_e32 v46, 2, v26
	v_cvt_f32_ubyte0_e32 v26, v30
	v_pk_fma_f32 v[26:27], v[26:27], s[14:15], v[16:17] op_sel_hi:[1,0,0] neg_lo:[1,0,0] neg_hi:[1,0,0]
	v_and_b32_e32 v25, 8, v37
	v_pk_fma_f32 v[26:27], v[26:27], v[28:29], 0 op_sel_hi:[1,1,0]
	v_and_b32_e32 v28, 0xf0f0f0f, v38
	v_lshrrev_b32_e32 v29, 4, v38
	v_and_b32_e32 v29, 0xf0f0f0f, v29
	v_dot4c_i32_i8_e32 v42, v28, v5
	v_and_b32_e32 v37, 0xf0000f0, v32
	v_dot4c_i32_i8_e32 v42, v29, v6
	v_and_b32_e32 v5, 0xf0f0f0f, v39
	v_and_b32_e32 v28, 0xf0f0f0f, v40
	v_lshrrev_b32_e32 v29, 4, v40
	v_cvt_f32_ubyte0_e32 v32, v25
	v_and_or_b32 v25, v45, 14, 1
	v_or_b32_e32 v45, v37, v34
	v_dot4c_i32_i8_e32 v42, v5, v7
	v_and_b32_e32 v5, 0xf0f0f0f, v29
	v_dot4c_i32_i8_e32 v43, v28, v1
	v_cvt_f32_ubyte0_e32 v34, v25
	v_or_b32_sdwa v25, v45, v37 dst_sel:DWORD dst_unused:UNUSED_PAD src0_sel:DWORD src1_sel:WORD_1
	v_lshrrev_b32_e32 v6, 4, v39
	v_and_b32_e32 v37, 0xf0f0f0f, v41
	v_lshrrev_b32_e32 v38, 4, v41
	v_dot4c_i32_i8_e32 v43, v5, v2
	v_and_b32_e32 v6, 0xf0f0f0f, v6
	v_and_b32_e32 v1, 0xf0f0f0f, v38
	v_dot4c_i32_i8_e32 v43, v37, v3
	v_cvt_f32_i32_e32 v31, v31
	v_cvt_f32_i32_e32 v30, v33
	v_dot4c_i32_i8_e32 v42, v6, v0
	v_dot4c_i32_i8_e32 v43, v1, v36
	v_cvt_f32_ubyte0_e32 v33, v35
	v_or_b32_e32 v25, v25, v44
	v_cvt_f32_i32_e32 v0, v42
	v_cvt_f32_i32_e32 v1, v43
	v_pk_fma_f32 v[32:33], v[32:33], s[14:15], v[16:17] op_sel_hi:[1,0,0] neg_lo:[1,0,0] neg_hi:[1,0,0]
	v_cvt_f32_f16_e32 v5, v25
	v_and_or_b32 v35, v46, 14, 1
	v_pk_fma_f32 v[2:3], v[32:33], v[30:31], v[26:27]
	v_cvt_f32_ubyte0_e32 v35, v35
	v_pk_add_f32 v[0:1], v[2:3], v[0:1]
	v_mul_f32_e32 v4, v5, v4
	v_pk_mul_f32 v[0:1], v[0:1], v[34:35]
	s_nop 0
	v_add_f32_e32 v0, v0, v1
	v_fmac_f32_e32 v21, v4, v0
	s_andn2_b64 exec, exec, s[12:13]
	s_cbranch_execnz .LBB293_3
; %bb.4:
	s_or_b64 exec, exec, s[12:13]
.LBB293_5:
	s_or_b64 exec, exec, s[10:11]
	v_mbcnt_lo_u32_b32 v0, -1, 0
	v_mbcnt_hi_u32_b32 v1, -1, v0
	v_and_b32_e32 v0, 64, v1
	v_add_u32_e32 v2, 64, v0
	v_xor_b32_e32 v0, 32, v1
	v_cmp_lt_i32_e32 vcc, v0, v2
	v_xor_b32_e32 v3, 16, v1
	v_xor_b32_e32 v4, 8, v1
	v_cndmask_b32_e32 v0, v1, v0, vcc
	v_lshlrev_b32_e32 v0, 2, v0
	ds_bpermute_b32 v0, v0, v21
	v_cmp_lt_i32_e32 vcc, v3, v2
	s_waitcnt lgkmcnt(0)
	v_add_f32_e32 v0, v21, v0
	v_cndmask_b32_e32 v3, v1, v3, vcc
	v_lshlrev_b32_e32 v3, 2, v3
	ds_bpermute_b32 v3, v3, v0
	v_cmp_lt_i32_e32 vcc, v4, v2
	s_waitcnt lgkmcnt(0)
	v_add_f32_e32 v0, v0, v3
	v_cndmask_b32_e32 v3, v1, v4, vcc
	v_lshlrev_b32_e32 v3, 2, v3
	ds_bpermute_b32 v3, v3, v0
	v_xor_b32_e32 v4, 4, v1
	v_cmp_lt_i32_e32 vcc, v4, v2
	s_waitcnt lgkmcnt(0)
	v_add_f32_e32 v0, v0, v3
	v_cndmask_b32_e32 v3, v1, v4, vcc
	v_lshlrev_b32_e32 v3, 2, v3
	ds_bpermute_b32 v3, v3, v0
	v_xor_b32_e32 v4, 2, v1
	;; [unrolled: 7-line block ×3, first 2 shown]
	v_cmp_lt_i32_e32 vcc, v4, v2
	s_waitcnt lgkmcnt(0)
	v_add_f32_e32 v0, v0, v3
	v_cndmask_b32_e32 v1, v1, v4, vcc
	v_lshlrev_b32_e32 v1, 2, v1
	ds_bpermute_b32 v1, v1, v0
	v_cmp_eq_u32_e32 vcc, 0, v18
	s_and_b64 exec, exec, vcc
	s_cbranch_execz .LBB293_7
; %bb.6:
	s_waitcnt lgkmcnt(0)
	v_add_f32_e32 v0, v0, v1
	v_bfe_u32 v1, v0, 16, 1
	s_movk_i32 s0, 0x7fff
	v_add3_u32 v1, v0, v1, s0
	v_lshrrev_b32_e32 v1, 16, v1
	v_mov_b32_e32 v2, 0x7fc0
	v_cmp_o_f32_e32 vcc, v0, v0
	s_mul_i32 s0, s8, s6
	v_add_u32_e32 v0, s0, v9
	v_cndmask_b32_e32 v2, v2, v1, vcc
	v_mov_b32_e32 v1, 0
	v_lshl_add_u64 v[0:1], v[0:1], 1, s[2:3]
	global_store_short v[0:1], v2, off
.LBB293_7:
	s_endpgm
	.section	.rodata,"a",@progbits
	.p2align	6, 0x0
	.amdhsa_kernel _ZL9moe_vec_qIN3c108BFloat16ELi256ELi8E11block_iq1_mLi1EXadL_ZL18vec_dot_iq1_m_q8_1PKvPK10block_q8_1RKiEEEvS4_S4_PT_PS8_iiii
		.amdhsa_group_segment_fixed_size 0
		.amdhsa_private_segment_fixed_size 0
		.amdhsa_kernarg_size 304
		.amdhsa_user_sgpr_count 2
		.amdhsa_user_sgpr_dispatch_ptr 0
		.amdhsa_user_sgpr_queue_ptr 0
		.amdhsa_user_sgpr_kernarg_segment_ptr 1
		.amdhsa_user_sgpr_dispatch_id 0
		.amdhsa_user_sgpr_kernarg_preload_length 0
		.amdhsa_user_sgpr_kernarg_preload_offset 0
		.amdhsa_user_sgpr_private_segment_size 0
		.amdhsa_uses_dynamic_stack 0
		.amdhsa_enable_private_segment 0
		.amdhsa_system_sgpr_workgroup_id_x 1
		.amdhsa_system_sgpr_workgroup_id_y 0
		.amdhsa_system_sgpr_workgroup_id_z 1
		.amdhsa_system_sgpr_workgroup_info 0
		.amdhsa_system_vgpr_workitem_id 1
		.amdhsa_next_free_vgpr 47
		.amdhsa_next_free_sgpr 22
		.amdhsa_accum_offset 48
		.amdhsa_reserve_vcc 1
		.amdhsa_float_round_mode_32 0
		.amdhsa_float_round_mode_16_64 0
		.amdhsa_float_denorm_mode_32 3
		.amdhsa_float_denorm_mode_16_64 3
		.amdhsa_dx10_clamp 1
		.amdhsa_ieee_mode 1
		.amdhsa_fp16_overflow 0
		.amdhsa_tg_split 0
		.amdhsa_exception_fp_ieee_invalid_op 0
		.amdhsa_exception_fp_denorm_src 0
		.amdhsa_exception_fp_ieee_div_zero 0
		.amdhsa_exception_fp_ieee_overflow 0
		.amdhsa_exception_fp_ieee_underflow 0
		.amdhsa_exception_fp_ieee_inexact 0
		.amdhsa_exception_int_div_zero 0
	.end_amdhsa_kernel
	.section	.text._ZL9moe_vec_qIN3c108BFloat16ELi256ELi8E11block_iq1_mLi1EXadL_ZL18vec_dot_iq1_m_q8_1PKvPK10block_q8_1RKiEEEvS4_S4_PT_PS8_iiii,"axG",@progbits,_ZL9moe_vec_qIN3c108BFloat16ELi256ELi8E11block_iq1_mLi1EXadL_ZL18vec_dot_iq1_m_q8_1PKvPK10block_q8_1RKiEEEvS4_S4_PT_PS8_iiii,comdat
.Lfunc_end293:
	.size	_ZL9moe_vec_qIN3c108BFloat16ELi256ELi8E11block_iq1_mLi1EXadL_ZL18vec_dot_iq1_m_q8_1PKvPK10block_q8_1RKiEEEvS4_S4_PT_PS8_iiii, .Lfunc_end293-_ZL9moe_vec_qIN3c108BFloat16ELi256ELi8E11block_iq1_mLi1EXadL_ZL18vec_dot_iq1_m_q8_1PKvPK10block_q8_1RKiEEEvS4_S4_PT_PS8_iiii
                                        ; -- End function
	.section	.AMDGPU.csdata,"",@progbits
; Kernel info:
; codeLenInByte = 1440
; NumSgprs: 28
; NumVgprs: 47
; NumAgprs: 0
; TotalNumVgprs: 47
; ScratchSize: 0
; MemoryBound: 0
; FloatMode: 240
; IeeeMode: 1
; LDSByteSize: 0 bytes/workgroup (compile time only)
; SGPRBlocks: 3
; VGPRBlocks: 5
; NumSGPRsForWavesPerEU: 28
; NumVGPRsForWavesPerEU: 47
; AccumOffset: 48
; Occupancy: 8
; WaveLimiterHint : 1
; COMPUTE_PGM_RSRC2:SCRATCH_EN: 0
; COMPUTE_PGM_RSRC2:USER_SGPR: 2
; COMPUTE_PGM_RSRC2:TRAP_HANDLER: 0
; COMPUTE_PGM_RSRC2:TGID_X_EN: 1
; COMPUTE_PGM_RSRC2:TGID_Y_EN: 0
; COMPUTE_PGM_RSRC2:TGID_Z_EN: 1
; COMPUTE_PGM_RSRC2:TIDIG_COMP_CNT: 1
; COMPUTE_PGM_RSRC3_GFX90A:ACCUM_OFFSET: 11
; COMPUTE_PGM_RSRC3_GFX90A:TG_SPLIT: 0
	.text
	.p2alignl 6, 3212836864
	.fill 256, 4, 3212836864
	.type	_ZL11iq2xxs_grid,@object        ; @_ZL11iq2xxs_grid
	.section	.rodata,"a",@progbits
	.p2align	4, 0x0
_ZL11iq2xxs_grid:
	.quad	578721382704613384              ; 0x808080808080808
	.quad	578721382704613419              ; 0x80808080808082b
	;; [unrolled: 1-line block ×132, first 2 shown]
	.quad	1803700481349388313             ; 0x1908080808080819
	.quad	1803700481349392648             ; 0x1908080808081908
	;; [unrolled: 1-line block ×124, first 2 shown]
	.size	_ZL11iq2xxs_grid, 2048

	.type	_ZL12ksigns_iq2xs,@object       ; @_ZL12ksigns_iq2xs
	.p2align	4, 0x0
_ZL12ksigns_iq2xs:
	.ascii	"\000\201\202\003\204\005\006\207\210\t\n\213\f\215\216\017\220\021\022\223\024\225\226\027\030\231\232\033\234\035\036\237\240!\"\243$\245\246'(\251\252+\254-.\2570\261\2623\26456\267\2709:\273<\275\276?\300AB\303D\305\306GH\311\312K\314MN\317P\321\322S\324UV\327\330YZ\333\\\335\336_`\341\342c\344ef\347\350ij\353l\355\356o\360qr\363t\365\366wx\371\372{\374}~\377"
	.size	_ZL12ksigns_iq2xs, 128

	.type	_ZL10iq2xs_grid,@object         ; @_ZL10iq2xs_grid
	.p2align	4, 0x0
_ZL10iq2xs_grid:
	.quad	578721382704613384              ; 0x808080808080808
	.quad	578721382704613419              ; 0x80808080808082b
	;; [unrolled: 1-line block ×254, first 2 shown]
	.quad	1803700481349388313             ; 0x1908080808080819
	.quad	1803700481349392648             ; 0x1908080808081908
	;; [unrolled: 1-line block ×258, first 2 shown]
	.size	_ZL10iq2xs_grid, 4096

	.type	_ZL11iq3xxs_grid,@object        ; @_ZL11iq3xxs_grid
	.p2align	4, 0x0
_ZL11iq3xxs_grid:
	.long	67372036                        ; 0x4040404
	.long	67372052                        ; 0x4040414
	;; [unrolled: 1-line block ×58, first 2 shown]
	.long	201589772                       ; 0xc04040c
	.long	201589788                       ; 0xc04041c
	;; [unrolled: 1-line block ×177, first 2 shown]
	.long	1040450588                      ; 0x3e04041c
	.long	1040450604                      ; 0x3e04042c
	.long	1040450622                      ; 0x3e04043e
	.long	1040452612                      ; 0x3e040c04
	.long	1040456724                      ; 0x3e041c14
	.long	1040460820                      ; 0x3e042c14
	.long	1040978996                      ; 0x3e0c1434
	.long	1040983044                      ; 0x3e0c2404
	.long	1041501204                      ; 0x3e140c14
	.long	1041507372                      ; 0x3e14242c
	.long	1041509396                      ; 0x3e142c14
	.long	1042023428                      ; 0x3e1c0404
	.long	1042025516                      ; 0x3e1c0c2c
	.long	1042029596                      ; 0x3e1c1c1c
	.long	1042035716                      ; 0x3e1c3404
	.long	1042551820                      ; 0x3e24140c
	.long	1042555916                      ; 0x3e24240c
	.long	1043072004                      ; 0x3e2c0404
	.long	1043072020                      ; 0x3e2c0414
	.long	1043076132                      ; 0x3e2c1424
	.long	1043602436                      ; 0x3e341c04
	.size	_ZL11iq3xxs_grid, 1024

	.type	_ZL13iq1s_grid_gpu,@object      ; @_ZL13iq1s_grid_gpu
	.p2align	4, 0x0
_ZL13iq1s_grid_gpu:
	.quad	0                               ; 0x0
	.quad	2                               ; 0x2
	.quad	257                             ; 0x101
	.quad	512                             ; 0x200
	;; [unrolled: 1-line block ×3, first 2 shown]
	.quad	65537                           ; 0x10001
	.quad	65793                           ; 0x10101
	.quad	131072                          ; 0x20000
	.quad	131074                          ; 0x20002
	;; [unrolled: 1-line block ×4, first 2 shown]
	.quad	16777473                        ; 0x1000101
	.quad	16842753                        ; 0x1010001
	;; [unrolled: 1-line block ×14, first 2 shown]
	.quad	272                             ; 0x110
	.quad	273                             ; 0x111
	.quad	65553                           ; 0x10011
	.quad	65808                           ; 0x10110
	;; [unrolled: 1-line block ×5, first 2 shown]
	.quad	131345                          ; 0x20111
	.quad	16777233                        ; 0x1000011
	.quad	16777490                        ; 0x1000112
	;; [unrolled: 1-line block ×15, first 2 shown]
	.quad	32                              ; 0x20
	.quad	34                              ; 0x22
	.quad	544                             ; 0x220
	.quad	546                             ; 0x222
	.quad	65825                           ; 0x10121
	.quad	131104                          ; 0x20020
	.quad	131106                          ; 0x20022
	;; [unrolled: 1-line block ×4, first 2 shown]
	.quad	16777505                        ; 0x1000121
	.quad	16842785                        ; 0x1010021
	;; [unrolled: 1-line block ×16, first 2 shown]
	.quad	69633                           ; 0x11001
	.quad	69888                           ; 0x11100
	;; [unrolled: 1-line block ×3, first 2 shown]
	.quad	135425                          ; 0x21101
	.quad	16781313                        ; 0x1001001
	.quad	16781825                        ; 0x1001201
	;; [unrolled: 1-line block ×9, first 2 shown]
	.quad	4113                            ; 0x1011
	.quad	4368                            ; 0x1110
	;; [unrolled: 1-line block ×4, first 2 shown]
	.quad	69905                           ; 0x11111
	.quad	70160                           ; 0x11210
	.quad	70162                           ; 0x11212
	.quad	135697                          ; 0x21211
	.quad	16781328                        ; 0x1001010
	.quad	16781585                        ; 0x1001111
	;; [unrolled: 1-line block ×24, first 2 shown]
	.quad	69920                           ; 0x11120
	.quad	70177                           ; 0x11221
	.quad	16781345                        ; 0x1001021
	.quad	16781600                        ; 0x1001120
	;; [unrolled: 1-line block ×14, first 2 shown]
	.quad	8192                            ; 0x2000
	.quad	8194                            ; 0x2002
	;; [unrolled: 1-line block ×4, first 2 shown]
	.quad	73985                           ; 0x12101
	.quad	139264                          ; 0x22000
	.quad	139266                          ; 0x22002
	;; [unrolled: 1-line block ×4, first 2 shown]
	.quad	16785665                        ; 0x1002101
	.quad	16850945                        ; 0x1012001
	;; [unrolled: 1-line block ×13, first 2 shown]
	.quad	8465                            ; 0x2111
	.quad	73745                           ; 0x12011
	.quad	74000                           ; 0x12110
	;; [unrolled: 1-line block ×3, first 2 shown]
	.quad	139536                          ; 0x22110
	.quad	139537                          ; 0x22111
	.quad	16785425                        ; 0x1002011
	.quad	16850960                        ; 0x1012010
	;; [unrolled: 1-line block ×12, first 2 shown]
	.quad	8224                            ; 0x2020
	.quad	8226                            ; 0x2022
	.quad	8736                            ; 0x2220
	.quad	8738                            ; 0x2222
	.quad	74017                           ; 0x12121
	.quad	139296                          ; 0x22020
	.quad	139298                          ; 0x22022
	;; [unrolled: 1-line block ×4, first 2 shown]
	.quad	16785697                        ; 0x1002121
	.quad	16850977                        ; 0x1012021
	;; [unrolled: 1-line block ×15, first 2 shown]
	.quad	1114112                         ; 0x110000
	.quad	1114113                         ; 0x110001
	;; [unrolled: 1-line block ×6, first 2 shown]
	.quad	17825793                        ; 0x1100001
	.quad	17826048                        ; 0x1100100
	;; [unrolled: 1-line block ×14, first 2 shown]
	.quad	1048593                         ; 0x100011
	.quad	1048848                         ; 0x100110
	.quad	1048850                         ; 0x100112
	.quad	1049105                         ; 0x100211
	.quad	1114128                         ; 0x110010
	.quad	1114130                         ; 0x110012
	.quad	1114385                         ; 0x110111
	.quad	1114640                         ; 0x110210
	.quad	1179665                         ; 0x120011
	.quad	1179920                         ; 0x120110
	.quad	1180177                         ; 0x120211
	.quad	17826065                        ; 0x1100111
	.quad	17826322                        ; 0x1100212
	;; [unrolled: 1-line block ×16, first 2 shown]
	.quad	1114145                         ; 0x110021
	.quad	1114400                         ; 0x110120
	;; [unrolled: 1-line block ×4, first 2 shown]
	.quad	17825824                        ; 0x1100020
	.quad	17826082                        ; 0x1100122
	.quad	17826337                        ; 0x1100221
	.quad	17891362                        ; 0x1110022
	.quad	17891617                        ; 0x1110121
	.quad	17891872                        ; 0x1110220
	.quad	17891874                        ; 0x1110222
	.quad	17957152                        ; 0x1120120
	.quad	17957154                        ; 0x1120122
	.quad	34603297                        ; 0x2100121
	.quad	34668577                        ; 0x2110021
	.quad	34668832                        ; 0x2110120
	.quad	34668834                        ; 0x2110122
	.quad	34734369                        ; 0x2120121
	.quad	1052673                         ; 0x101001
	.quad	1052930                         ; 0x101102
	;; [unrolled: 1-line block ×9, first 2 shown]
	.quad	17829889                        ; 0x1101001
	.quad	17830145                        ; 0x1101101
	;; [unrolled: 1-line block ×25, first 2 shown]
	.quad	1052690                         ; 0x101012
	.quad	1052945                         ; 0x101111
	;; [unrolled: 1-line block ×13, first 2 shown]
	.quad	17829905                        ; 0x1101011
	.quad	17830160                        ; 0x1101110
	;; [unrolled: 1-line block ×32, first 2 shown]
	.quad	1052705                         ; 0x101021
	.quad	1052960                         ; 0x101120
	;; [unrolled: 1-line block ×10, first 2 shown]
	.quad	17829920                        ; 0x1101020
	.quad	17829922                        ; 0x1101022
	;; [unrolled: 1-line block ×23, first 2 shown]
	.quad	1122305                         ; 0x112001
	.quad	1122562                         ; 0x112102
	;; [unrolled: 1-line block ×3, first 2 shown]
	.quad	17833985                        ; 0x1102001
	.quad	17834240                        ; 0x1102100
	;; [unrolled: 1-line block ×17, first 2 shown]
	.quad	1122320                         ; 0x112010
	.quad	1122322                         ; 0x112012
	;; [unrolled: 1-line block ×6, first 2 shown]
	.quad	17834002                        ; 0x1102012
	.quad	17834256                        ; 0x1102110
	;; [unrolled: 1-line block ×21, first 2 shown]
	.quad	1057313                         ; 0x102221
	.quad	1122594                         ; 0x112122
	;; [unrolled: 1-line block ×4, first 2 shown]
	.quad	17834272                        ; 0x1102120
	.quad	17834274                        ; 0x1102122
	;; [unrolled: 1-line block ×14, first 2 shown]
	.quad	2097152                         ; 0x200000
	.quad	2097154                         ; 0x200002
	;; [unrolled: 1-line block ×10, first 2 shown]
	.quad	18874625                        ; 0x1200101
	.quad	18939905                        ; 0x1210001
	;; [unrolled: 1-line block ×15, first 2 shown]
	.quad	2097425                         ; 0x200111
	.quad	2162705                         ; 0x210011
	;; [unrolled: 1-line block ×5, first 2 shown]
	.quad	18874386                        ; 0x1200012
	.quad	18874640                        ; 0x1200110
	;; [unrolled: 1-line block ×15, first 2 shown]
	.quad	2097185                         ; 0x200021
	.quad	2097696                         ; 0x200220
	;; [unrolled: 1-line block ×9, first 2 shown]
	.quad	18874657                        ; 0x1200121
	.quad	18939937                        ; 0x1210021
	;; [unrolled: 1-line block ×14, first 2 shown]
	.quad	2101505                         ; 0x201101
	.quad	2167040                         ; 0x211100
	;; [unrolled: 1-line block ×5, first 2 shown]
	.quad	18878720                        ; 0x1201100
	.quad	18878721                        ; 0x1201101
	;; [unrolled: 1-line block ×15, first 2 shown]
	.quad	2101777                         ; 0x201211
	.quad	2167057                         ; 0x211111
	;; [unrolled: 1-line block ×4, first 2 shown]
	.quad	18878480                        ; 0x1201010
	.quad	18878737                        ; 0x1201111
	;; [unrolled: 1-line block ×20, first 2 shown]
	.quad	2101537                         ; 0x201121
	.quad	2166816                         ; 0x211020
	;; [unrolled: 1-line block ×5, first 2 shown]
	.quad	18878497                        ; 0x1201021
	.quad	18879009                        ; 0x1201221
	;; [unrolled: 1-line block ×10, first 2 shown]
	.quad	2105344                         ; 0x202000
	.quad	2105346                         ; 0x202002
	.quad	2105856                         ; 0x202200
	.quad	2105858                         ; 0x202202
	.quad	2171137                         ; 0x212101
	.quad	2236416                         ; 0x222000
	.quad	2236418                         ; 0x222002
	.quad	2236928                         ; 0x222200
	.quad	2236930                         ; 0x222202
	.quad	18882817                        ; 0x1202101
	.quad	18948097                        ; 0x1212001
	;; [unrolled: 1-line block ×12, first 2 shown]
	.quad	2105873                         ; 0x202211
	.quad	2170897                         ; 0x212011
	;; [unrolled: 1-line block ×5, first 2 shown]
	.quad	18882834                        ; 0x1202112
	.quad	18883089                        ; 0x1202211
	.quad	18948114                        ; 0x1212012
	.quad	18948369                        ; 0x1212111
	.quad	19013649                        ; 0x1222011
	.quad	19013904                        ; 0x1222110
	.quad	19013906                        ; 0x1222112
	.quad	19014161                        ; 0x1222211
	.quad	35660049                        ; 0x2202111
	.quad	35725328                        ; 0x2212010
	.quad	35725586                        ; 0x2212112
	.quad	35725841                        ; 0x2212211
	.quad	35791120                        ; 0x2222110
	.quad	35791121                        ; 0x2222111
	.quad	2105376                         ; 0x202020
	.quad	2105378                         ; 0x202022
	;; [unrolled: 1-line block ×8, first 2 shown]
	.quad	18882849                        ; 0x1202121
	.quad	18948129                        ; 0x1212021
	;; [unrolled: 1-line block ×14, first 2 shown]
	.quad	268435713                       ; 0x10000101
	.quad	268500993                       ; 0x10010001
	.quad	268501250                       ; 0x10010102
	.quad	268566785                       ; 0x10020101
	.quad	285213185                       ; 0x11000201
	.quad	285278210                       ; 0x11010002
	.quad	285278465                       ; 0x11010101
	.quad	285278720                       ; 0x11010200
	.quad	285278722                       ; 0x11010202
	.quad	285343745                       ; 0x11020001
	.quad	285344000                       ; 0x11020100
	.quad	285344002                       ; 0x11020102
	.quad	302055680                       ; 0x12010100
	.quad	302055937                       ; 0x12010201
	.quad	302120961                       ; 0x12020001
	.quad	302121218                       ; 0x12020102
	.quad	268435472                       ; 0x10000010
	.quad	268435473                       ; 0x10000011
	.quad	268435728                       ; 0x10000110
	.quad	268435730                       ; 0x10000112
	.quad	268435985                       ; 0x10000211
	.quad	268501010                       ; 0x10010012
	.quad	268501265                       ; 0x10010111
	.quad	268501266                       ; 0x10010112
	.quad	268501520                       ; 0x10010210
	.quad	268501522                       ; 0x10010212
	.quad	268566545                       ; 0x10020011
	.quad	268566802                       ; 0x10020112
	.quad	268567057                       ; 0x10020211
	.quad	285212945                       ; 0x11000111
	.quad	285213200                       ; 0x11000210
	.quad	285213202                       ; 0x11000212
	.quad	285278225                       ; 0x11010011
	.quad	285278480                       ; 0x11010110
	.quad	285278481                       ; 0x11010111
	.quad	285278482                       ; 0x11010112
	.quad	285278737                       ; 0x11010211
	.quad	285278738                       ; 0x11010212
	.quad	285344017                       ; 0x11020111
	.quad	285344272                       ; 0x11020210
	.quad	285344274                       ; 0x11020212
	.quad	301989905                       ; 0x12000011
	.quad	301990160                       ; 0x12000110
	.quad	301990162                       ; 0x12000112
	.quad	302055440                       ; 0x12010010
	.quad	302055442                       ; 0x12010012
	.quad	302055697                       ; 0x12010111
	.quad	302120976                       ; 0x12020010
	.quad	302120977                       ; 0x12020011
	.quad	302120978                       ; 0x12020012
	.quad	268435745                       ; 0x10000121
	.quad	268501025                       ; 0x10010021
	.quad	268501280                       ; 0x10010120
	.quad	268501282                       ; 0x10010122
	.quad	268566817                       ; 0x10020121
	.quad	285212705                       ; 0x11000021
	.quad	285278242                       ; 0x11010022
	.quad	285278497                       ; 0x11010121
	.quad	285278754                       ; 0x11010222
	.quad	285344032                       ; 0x11020120
	.quad	285344289                       ; 0x11020221
	.quad	301990433                       ; 0x12000221
	.quad	302055712                       ; 0x12010120
	.quad	302121249                       ; 0x12020121
	.quad	268439553                       ; 0x10001001
	.quad	268505345                       ; 0x10011101
	.quad	268505601                       ; 0x10011201
	.quad	268571137                       ; 0x10021201
	.quad	285217025                       ; 0x11001101
	.quad	285217280                       ; 0x11001200
	.quad	285217282                       ; 0x11001202
	.quad	285282305                       ; 0x11011001
	.quad	285282560                       ; 0x11011100
	.quad	285282561                       ; 0x11011101
	.quad	285282562                       ; 0x11011102
	.quad	285347841                       ; 0x11021001
	.quad	285347842                       ; 0x11021002
	.quad	285348097                       ; 0x11021101
	.quad	285348352                       ; 0x11021200
	.quad	285348354                       ; 0x11021202
	.quad	301993985                       ; 0x12001001
	.quad	301994242                       ; 0x12001102
	.quad	301994497                       ; 0x12001201
	.quad	302059520                       ; 0x12011000
	.quad	302059522                       ; 0x12011002
	.quad	302059777                       ; 0x12011101
	.quad	302125056                       ; 0x12021000
	.quad	302125057                       ; 0x12021001
	.quad	302125569                       ; 0x12021201
	.quad	268439569                       ; 0x10001011
	.quad	268439570                       ; 0x10001012
	.quad	268439825                       ; 0x10001111
	.quad	268440082                       ; 0x10001212
	.quad	268505105                       ; 0x10011011
	.quad	268505360                       ; 0x10011110
	.quad	268505361                       ; 0x10011111
	.quad	268505362                       ; 0x10011112
	.quad	268505617                       ; 0x10011211
	.quad	268570640                       ; 0x10021010
	.quad	268570897                       ; 0x10021111
	.quad	268571154                       ; 0x10021212
	.quad	285216785                       ; 0x11001011
	.quad	285217040                       ; 0x11001110
	.quad	285217041                       ; 0x11001111
	.quad	285217042                       ; 0x11001112
	.quad	285217297                       ; 0x11001211
	.quad	285282320                       ; 0x11011010
	.quad	285282321                       ; 0x11011011
	.quad	285282576                       ; 0x11011110
	.quad	285282577                       ; 0x11011111
	.quad	285282578                       ; 0x11011112
	.quad	285282832                       ; 0x11011210
	.quad	285282833                       ; 0x11011211
	.quad	285347857                       ; 0x11021011
	.quad	285348112                       ; 0x11021110
	.quad	285348113                       ; 0x11021111
	.quad	285348114                       ; 0x11021112
	.quad	285348369                       ; 0x11021211
	.quad	301994002                       ; 0x12001012
	.quad	301994256                       ; 0x12001110
	.quad	301994257                       ; 0x12001111
	.quad	301994512                       ; 0x12001210
	.quad	302059537                       ; 0x12011011
	.quad	302059792                       ; 0x12011110
	.quad	302059793                       ; 0x12011111
	.quad	302059794                       ; 0x12011112
	.quad	302060049                       ; 0x12011211
	.quad	302060050                       ; 0x12011212
	.quad	302125329                       ; 0x12021111
	.quad	302125584                       ; 0x12021210
	.quad	302125586                       ; 0x12021212
	.quad	268439585                       ; 0x10001021
	.quad	268439841                       ; 0x10001121
	.quad	268440097                       ; 0x10001221
	.quad	268505376                       ; 0x10011120
	.quad	268505377                       ; 0x10011121
	.quad	268505632                       ; 0x10011220
	.quad	268505634                       ; 0x10011222
	.quad	268570657                       ; 0x10021021
	.quad	268570912                       ; 0x10021120
	.quad	268571169                       ; 0x10021221
	.quad	285216800                       ; 0x11001020
	.quad	285216802                       ; 0x11001022
	.quad	285217057                       ; 0x11001121
	.quad	285217312                       ; 0x11001220
	.quad	285282336                       ; 0x11011020
	.quad	285282337                       ; 0x11011021
	.quad	285282338                       ; 0x11011022
	.quad	285282593                       ; 0x11011121
	.quad	285282594                       ; 0x11011122
	.quad	285282849                       ; 0x11011221
	.quad	285347874                       ; 0x11021022
	.quad	285348129                       ; 0x11021121
	.quad	285348384                       ; 0x11021220
	.quad	301994017                       ; 0x12001021
	.quad	301994273                       ; 0x12001121
	.quad	301994530                       ; 0x12001222
	.quad	302059808                       ; 0x12011120
	.quad	302059809                       ; 0x12011121
	.quad	302125089                       ; 0x12021021
	.quad	302125344                       ; 0x12021120
	.quad	302125346                       ; 0x12021122
	.quad	268443905                       ; 0x10002101
	.quad	268509185                       ; 0x10012001
	.quad	268509441                       ; 0x10012101
	.quad	268509698                       ; 0x10012202
	.quad	268574977                       ; 0x10022101
	.quad	285220866                       ; 0x11002002
	.quad	285221377                       ; 0x11002201
	.quad	285286400                       ; 0x11012000
	.quad	285286657                       ; 0x11012101
	.quad	285286912                       ; 0x11012200
	.quad	285351937                       ; 0x11022001
	.quad	285352192                       ; 0x11022100
	.quad	285352194                       ; 0x11022102
	.quad	285352449                       ; 0x11022201
	.quad	301998337                       ; 0x12002101
	.quad	302063617                       ; 0x12012001
	.quad	302063872                       ; 0x12012100
	.quad	302063874                       ; 0x12012102
	.quad	302064129                       ; 0x12012201
	.quad	302129409                       ; 0x12022101
	.quad	268443665                       ; 0x10002011
	.quad	268443921                       ; 0x10002111
	.quad	268443922                       ; 0x10002112
	.quad	268444178                       ; 0x10002212
	.quad	268509200                       ; 0x10012010
	.quad	268509456                       ; 0x10012110
	.quad	268509457                       ; 0x10012111
	.quad	268509712                       ; 0x10012210
	.quad	268574737                       ; 0x10022011
	.quad	268574992                       ; 0x10022110
	.quad	268574994                       ; 0x10022112
	.quad	285220880                       ; 0x11002010
	.quad	285221137                       ; 0x11002111
	.quad	285221394                       ; 0x11002212
	.quad	285286417                       ; 0x11012011
	.quad	285286418                       ; 0x11012012
	.quad	285286672                       ; 0x11012110
	.quad	285286673                       ; 0x11012111
	.quad	285286674                       ; 0x11012112
	.quad	285286929                       ; 0x11012211
	.quad	285351952                       ; 0x11022010
	.quad	285351954                       ; 0x11022012
	.quad	285352209                       ; 0x11022111
	.quad	285352210                       ; 0x11022112
	.quad	285352466                       ; 0x11022212
	.quad	301998354                       ; 0x12002112
	.quad	301998609                       ; 0x12002211
	.quad	302063634                       ; 0x12012012
	.quad	302063889                       ; 0x12012111
	.quad	302063890                       ; 0x12012112
	.quad	302064144                       ; 0x12012210
	.quad	302129169                       ; 0x12022011
	.quad	302129424                       ; 0x12022110
	.quad	302129426                       ; 0x12022112
	.quad	302129681                       ; 0x12022211
	.quad	268509474                       ; 0x10012122
	.quad	285221152                       ; 0x11002120
	.quad	285221154                       ; 0x11002122
	.quad	285221409                       ; 0x11002221
	.quad	285286689                       ; 0x11012121
	.quad	285286944                       ; 0x11012220
	.quad	285286946                       ; 0x11012222
	.quad	285352224                       ; 0x11022120
	.quad	285352481                       ; 0x11022221
	.quad	302063904                       ; 0x12012120
	.quad	302129441                       ; 0x12022121
	.quad	269484033                       ; 0x10100001
	.quad	269484288                       ; 0x10100100
	.quad	269484289                       ; 0x10100101
	.quad	269484290                       ; 0x10100102
	.quad	269484545                       ; 0x10100201
	.quad	269549570                       ; 0x10110002
	.quad	269549825                       ; 0x10110101
	.quad	269550082                       ; 0x10110202
	.quad	269615105                       ; 0x10120001
	.quad	269615360                       ; 0x10120100
	.quad	269615617                       ; 0x10120201
	.quad	286261248                       ; 0x11100000
	.quad	286261505                       ; 0x11100101
	.quad	286261760                       ; 0x11100200
	.quad	286326785                       ; 0x11110001
	.quad	286327040                       ; 0x11110100
	.quad	286327041                       ; 0x11110101
	.quad	286327042                       ; 0x11110102
	.quad	286327297                       ; 0x11110201
	.quad	286392577                       ; 0x11120101
	.quad	286392832                       ; 0x11120200
	.quad	303038722                       ; 0x12100102
	.quad	303038977                       ; 0x12100201
	.quad	303104257                       ; 0x12110101
	.quad	303104512                       ; 0x12110200
	.quad	303169536                       ; 0x12120000
	.quad	303169537                       ; 0x12120001
	.quad	303169794                       ; 0x12120102
	.quad	303170049                       ; 0x12120201
	.quad	269484305                       ; 0x10100111
	.quad	269484560                       ; 0x10100210
	.quad	269484561                       ; 0x10100211
	.quad	269484562                       ; 0x10100212
	.quad	269549585                       ; 0x10110011
	.quad	269549840                       ; 0x10110110
	.quad	269549841                       ; 0x10110111
	.quad	269549842                       ; 0x10110112
	.quad	269550096                       ; 0x10110210
	.quad	269550097                       ; 0x10110211
	.quad	269615120                       ; 0x10120010
	.quad	269615377                       ; 0x10120111
	.quad	269615378                       ; 0x10120112
	.quad	269615632                       ; 0x10120210
	.quad	269615634                       ; 0x10120212
	.quad	286261265                       ; 0x11100011
	.quad	286261520                       ; 0x11100110
	.quad	286261521                       ; 0x11100111
	.quad	286261522                       ; 0x11100112
	.quad	286261777                       ; 0x11100211
	.quad	286326800                       ; 0x11110010
	.quad	286326801                       ; 0x11110011
	.quad	286326802                       ; 0x11110012
	.quad	286327056                       ; 0x11110110
	.quad	286327057                       ; 0x11110111
	.quad	286327058                       ; 0x11110112
	.quad	286327312                       ; 0x11110210
	.quad	286327313                       ; 0x11110211
	.quad	286327314                       ; 0x11110212
	.quad	286392337                       ; 0x11120011
	.quad	286392592                       ; 0x11120110
	.quad	286392593                       ; 0x11120111
	.quad	286392594                       ; 0x11120112
	.quad	286392849                       ; 0x11120211
	.quad	303038482                       ; 0x12100012
	.quad	303038737                       ; 0x12100111
	.quad	303104017                       ; 0x12110011
	.quad	303104272                       ; 0x12110110
	.quad	303104273                       ; 0x12110111
	.quad	303104274                       ; 0x12110112
	.quad	303104529                       ; 0x12110211
	.quad	303169552                       ; 0x12120010
	.quad	303169809                       ; 0x12120111
	.quad	303170066                       ; 0x12120212
	.quad	269484065                       ; 0x10100021
	.quad	269484322                       ; 0x10100122
	.quad	269549602                       ; 0x10110022
	.quad	269549857                       ; 0x10110121
	.quad	269550114                       ; 0x10110222
	.quad	269615137                       ; 0x10120021
	.quad	269615392                       ; 0x10120120
	.quad	286261282                       ; 0x11100022
	.quad	286261537                       ; 0x11100121
	.quad	286261794                       ; 0x11100222
	.quad	286326817                       ; 0x11110021
	.quad	286327072                       ; 0x11110120
	.quad	286327073                       ; 0x11110121
	.quad	286327074                       ; 0x11110122
	.quad	286327329                       ; 0x11110221
	.quad	286392354                       ; 0x11120022
	.quad	286392609                       ; 0x11120121
	.quad	303038753                       ; 0x12100121
	.quad	303104032                       ; 0x12110020
	.quad	303104034                       ; 0x12110022
	.quad	303104289                       ; 0x12110121
	.quad	303104545                       ; 0x12110221
	.quad	303104546                       ; 0x12110222
	.quad	303169824                       ; 0x12120120
	.quad	269488384                       ; 0x10101100
	.quad	269488385                       ; 0x10101101
	.quad	269553665                       ; 0x10111001
	.quad	269553920                       ; 0x10111100
	.quad	269553921                       ; 0x10111101
	.quad	269553922                       ; 0x10111102
	.quad	269554176                       ; 0x10111200
	.quad	269554177                       ; 0x10111201
	.quad	269619201                       ; 0x10121001
	.quad	269619457                       ; 0x10121101
	.quad	269619712                       ; 0x10121200
	.quad	269619714                       ; 0x10121202
	.quad	286265345                       ; 0x11101001
	.quad	286265600                       ; 0x11101100
	.quad	286265601                       ; 0x11101101
	.quad	286265602                       ; 0x11101102
	.quad	286265857                       ; 0x11101201
	.quad	286265858                       ; 0x11101202
	.quad	286330880                       ; 0x11111000
	.quad	286330881                       ; 0x11111001
	.quad	286331136                       ; 0x11111100
	.quad	286331137                       ; 0x11111101
	.quad	286331138                       ; 0x11111102
	.quad	286331392                       ; 0x11111200
	.quad	286331393                       ; 0x11111201
	.quad	286331394                       ; 0x11111202
	.quad	286396417                       ; 0x11121001
	.quad	286396418                       ; 0x11121002
	.quad	286396672                       ; 0x11121100
	.quad	286396673                       ; 0x11121101
	.quad	286396674                       ; 0x11121102
	.quad	286396929                       ; 0x11121201
	.quad	303042560                       ; 0x12101000
	.quad	303043072                       ; 0x12101200
	.quad	303043074                       ; 0x12101202
	.quad	303108097                       ; 0x12111001
	.quad	303108352                       ; 0x12111100
	.quad	303108353                       ; 0x12111101
	.quad	303108354                       ; 0x12111102
	.quad	303108609                       ; 0x12111201
	.quad	303173633                       ; 0x12121001
	.quad	303173888                       ; 0x12121100
	.quad	303173889                       ; 0x12121101
	.quad	303174146                       ; 0x12121202
	.quad	269488145                       ; 0x10101011
	.quad	269488146                       ; 0x10101012
	.quad	269488400                       ; 0x10101110
	.quad	269488401                       ; 0x10101111
	.quad	269488402                       ; 0x10101112
	.quad	269488657                       ; 0x10101211
	.quad	269553680                       ; 0x10111010
	.quad	269553681                       ; 0x10111011
	.quad	269553682                       ; 0x10111012
	.quad	269553936                       ; 0x10111110
	.quad	269553937                       ; 0x10111111
	.quad	269553938                       ; 0x10111112
	.quad	269554193                       ; 0x10111211
	.quad	269554194                       ; 0x10111212
	.quad	269619217                       ; 0x10121011
	.quad	269619472                       ; 0x10121110
	.quad	269619473                       ; 0x10121111
	.quad	269619474                       ; 0x10121112
	.quad	269619729                       ; 0x10121211
	.quad	286265360                       ; 0x11101010
	.quad	286265361                       ; 0x11101011
	.quad	286265362                       ; 0x11101012
	.quad	286265616                       ; 0x11101110
	.quad	286265617                       ; 0x11101111
	.quad	286265618                       ; 0x11101112
	.quad	286265872                       ; 0x11101210
	.quad	286265873                       ; 0x11101211
	.quad	286330896                       ; 0x11111010
	.quad	286330897                       ; 0x11111011
	.quad	286330898                       ; 0x11111012
	.quad	286331152                       ; 0x11111110
	.quad	286331153                       ; 0x11111111
	.quad	286331154                       ; 0x11111112
	.quad	286331408                       ; 0x11111210
	.quad	286331409                       ; 0x11111211
	.quad	286331410                       ; 0x11111212
	.quad	286396432                       ; 0x11121010
	.quad	286396433                       ; 0x11121011
	.quad	286396688                       ; 0x11121110
	.quad	286396689                       ; 0x11121111
	.quad	286396690                       ; 0x11121112
	.quad	286396944                       ; 0x11121210
	.quad	286396945                       ; 0x11121211
	.quad	286396946                       ; 0x11121212
	.quad	303042577                       ; 0x12101011
	.quad	303042832                       ; 0x12101110
	.quad	303042833                       ; 0x12101111
	.quad	303043089                       ; 0x12101211
	.quad	303043090                       ; 0x12101212
	.quad	303108112                       ; 0x12111010
	.quad	303108113                       ; 0x12111011
	.quad	303108368                       ; 0x12111110
	.quad	303108369                       ; 0x12111111
	.quad	303108370                       ; 0x12111112
	.quad	303108624                       ; 0x12111210
	.quad	303108625                       ; 0x12111211
	.quad	303173649                       ; 0x12121011
	.quad	303173904                       ; 0x12121110
	.quad	303173905                       ; 0x12121111
	.quad	303173906                       ; 0x12121112
	.quad	303174161                       ; 0x12121211
	.quad	269488160                       ; 0x10101020
	.quad	269488161                       ; 0x10101021
	.quad	269488162                       ; 0x10101022
	.quad	269488416                       ; 0x10101120
	.quad	269488418                       ; 0x10101122
	.quad	269488672                       ; 0x10101220
	.quad	269488673                       ; 0x10101221
	.quad	269553697                       ; 0x10111021
	.quad	269553952                       ; 0x10111120
	.quad	269553953                       ; 0x10111121
	.quad	269554208                       ; 0x10111220
	.quad	269554209                       ; 0x10111221
	.quad	269619232                       ; 0x10121020
	.quad	269619233                       ; 0x10121021
	.quad	269619234                       ; 0x10121022
	.quad	269619488                       ; 0x10121120
	.quad	269619489                       ; 0x10121121
	.quad	269619490                       ; 0x10121122
	.quad	269619744                       ; 0x10121220
	.quad	269619745                       ; 0x10121221
	.quad	286265377                       ; 0x11101021
	.quad	286265633                       ; 0x11101121
	.quad	286265634                       ; 0x11101122
	.quad	286265888                       ; 0x11101220
	.quad	286265889                       ; 0x11101221
	.quad	286265890                       ; 0x11101222
	.quad	286330912                       ; 0x11111020
	.quad	286330913                       ; 0x11111021
	.quad	286330914                       ; 0x11111022
	.quad	286331168                       ; 0x11111120
	.quad	286331169                       ; 0x11111121
	.quad	286331170                       ; 0x11111122
	.quad	286331424                       ; 0x11111220
	.quad	286331425                       ; 0x11111221
	.quad	286331426                       ; 0x11111222
	.quad	286396449                       ; 0x11121021
	.quad	286396704                       ; 0x11121120
	.quad	286396705                       ; 0x11121121
	.quad	286396961                       ; 0x11121221
	.quad	303042594                       ; 0x12101022
	.quad	303042849                       ; 0x12101121
	.quad	303042850                       ; 0x12101122
	.quad	303043104                       ; 0x12101220
	.quad	303043105                       ; 0x12101221
	.quad	303043106                       ; 0x12101222
	.quad	303108129                       ; 0x12111021
	.quad	303108385                       ; 0x12111121
	.quad	303108642                       ; 0x12111222
	.quad	303173666                       ; 0x12121022
	.quad	303173921                       ; 0x12121121
	.quad	303173922                       ; 0x12121122
	.quad	303174176                       ; 0x12121220
	.quad	303174177                       ; 0x12121221
	.quad	269492480                       ; 0x10102100
	.quad	269492481                       ; 0x10102101
	.quad	269492482                       ; 0x10102102
	.quad	269492737                       ; 0x10102201
	.quad	269557760                       ; 0x10112000
	.quad	269558017                       ; 0x10112101
	.quad	269558272                       ; 0x10112200
	.quad	269623297                       ; 0x10122001
	.quad	269623810                       ; 0x10122202
	.quad	286269697                       ; 0x11102101
	.quad	286269952                       ; 0x11102200
	.quad	286269954                       ; 0x11102202
	.quad	286334977                       ; 0x11112001
	.quad	286335232                       ; 0x11112100
	.quad	286335233                       ; 0x11112101
	.quad	286335234                       ; 0x11112102
	.quad	286335488                       ; 0x11112200
	.quad	286335489                       ; 0x11112201
	.quad	286400512                       ; 0x11122000
	.quad	286400514                       ; 0x11122002
	.quad	286400768                       ; 0x11122100
	.quad	286400769                       ; 0x11122101
	.quad	303046658                       ; 0x12102002
	.quad	303047169                       ; 0x12102201
	.quad	303112192                       ; 0x12112000
	.quad	303112194                       ; 0x12112002
	.quad	303112449                       ; 0x12112101
	.quad	303112704                       ; 0x12112200
	.quad	303177729                       ; 0x12122001
	.quad	303178241                       ; 0x12122201
	.quad	269492241                       ; 0x10102011
	.quad	269492242                       ; 0x10102012
	.quad	269492497                       ; 0x10102111
	.quad	269492754                       ; 0x10102212
	.quad	269557777                       ; 0x10112011
	.quad	269558032                       ; 0x10112110
	.quad	269558033                       ; 0x10112111
	.quad	269558034                       ; 0x10112112
	.quad	269558289                       ; 0x10112211
	.quad	269623569                       ; 0x10122111
	.quad	286269457                       ; 0x11102011
	.quad	286269712                       ; 0x11102110
	.quad	286269713                       ; 0x11102111
	.quad	286269714                       ; 0x11102112
	.quad	286269969                       ; 0x11102211
	.quad	286334992                       ; 0x11112010
	.quad	286334993                       ; 0x11112011
	.quad	286334994                       ; 0x11112012
	.quad	286335248                       ; 0x11112110
	.quad	286335249                       ; 0x11112111
	.quad	286335250                       ; 0x11112112
	.quad	286335504                       ; 0x11112210
	.quad	286335505                       ; 0x11112211
	.quad	286335506                       ; 0x11112212
	.quad	286400529                       ; 0x11122011
	.quad	286400784                       ; 0x11122110
	.quad	286400785                       ; 0x11122111
	.quad	286400786                       ; 0x11122112
	.quad	286401041                       ; 0x11122211
	.quad	303046673                       ; 0x12102011
	.quad	303046929                       ; 0x12102111
	.quad	303047185                       ; 0x12102211
	.quad	303112209                       ; 0x12112011
	.quad	303112464                       ; 0x12112110
	.quad	303112465                       ; 0x12112111
	.quad	303112466                       ; 0x12112112
	.quad	303112720                       ; 0x12112210
	.quad	303112721                       ; 0x12112211
	.quad	303178001                       ; 0x12122111
	.quad	269492512                       ; 0x10102120
	.quad	269492768                       ; 0x10102220
	.quad	269558049                       ; 0x10112121
	.quad	269558306                       ; 0x10112222
	.quad	269623328                       ; 0x10122020
	.quad	269623585                       ; 0x10122121
	.quad	269623586                       ; 0x10122122
	.quad	269623841                       ; 0x10122221
	.quad	286269729                       ; 0x11102121
	.quad	286269984                       ; 0x11102220
	.quad	286269985                       ; 0x11102221
	.quad	286335009                       ; 0x11112021
	.quad	286335265                       ; 0x11112121
	.quad	286335266                       ; 0x11112122
	.quad	286335520                       ; 0x11112220
	.quad	286335521                       ; 0x11112221
	.quad	286400546                       ; 0x11122022
	.quad	286400801                       ; 0x11122121
	.quad	286401056                       ; 0x11122220
	.quad	286401058                       ; 0x11122222
	.quad	303046689                       ; 0x12102021
	.quad	303047202                       ; 0x12102222
	.quad	303112226                       ; 0x12112022
	.quad	303112481                       ; 0x12112121
	.quad	303112482                       ; 0x12112122
	.quad	303112736                       ; 0x12112220
	.quad	303112738                       ; 0x12112222
	.quad	303177761                       ; 0x12122021
	.quad	270532865                       ; 0x10200101
	.quad	270598400                       ; 0x10210100
	.quad	270598402                       ; 0x10210102
	.quad	270598657                       ; 0x10210201
	.quad	270663937                       ; 0x10220101
	.quad	287310080                       ; 0x11200100
	.quad	287375360                       ; 0x11210000
	.quad	287375617                       ; 0x11210101
	.quad	287375618                       ; 0x11210102
	.quad	287375872                       ; 0x11210200
	.quad	287375874                       ; 0x11210202
	.quad	287440897                       ; 0x11220001
	.quad	287441152                       ; 0x11220100
	.quad	287441154                       ; 0x11220102
	.quad	287441409                       ; 0x11220201
	.quad	304087041                       ; 0x12200001
	.quad	304152834                       ; 0x12210102
	.quad	304218369                       ; 0x12220101
	.quad	270532625                       ; 0x10200011
	.quad	270532880                       ; 0x10200110
	.quad	270532882                       ; 0x10200112
	.quad	270533137                       ; 0x10200211
	.quad	270598162                       ; 0x10210012
	.quad	270598417                       ; 0x10210111
	.quad	270663697                       ; 0x10220011
	.quad	270663698                       ; 0x10220012
	.quad	270663954                       ; 0x10220112
	.quad	270664209                       ; 0x10220211
	.quad	287310097                       ; 0x11200111
	.quad	287310353                       ; 0x11200211
	.quad	287375377                       ; 0x11210011
	.quad	287375633                       ; 0x11210111
	.quad	287375634                       ; 0x11210112
	.quad	287375889                       ; 0x11210211
	.quad	287441169                       ; 0x11220111
	.quad	287441170                       ; 0x11220112
	.quad	287441426                       ; 0x11220212
	.quad	304087312                       ; 0x12200110
	.quad	304087570                       ; 0x12200212
	.quad	304152594                       ; 0x12210012
	.quad	304152849                       ; 0x12210111
	.quad	304218129                       ; 0x12220011
	.quad	304218386                       ; 0x12220112
	.quad	304218641                       ; 0x12220211
	.quad	270598177                       ; 0x10210021
	.quad	270598434                       ; 0x10210122
	.quad	270598689                       ; 0x10210221
	.quad	287309856                       ; 0x11200020
	.quad	287309857                       ; 0x11200021
	.quad	287310114                       ; 0x11200122
	.quad	287375649                       ; 0x11210121
	.quad	287375650                       ; 0x11210122
	.quad	287375904                       ; 0x11210220
	.quad	287440928                       ; 0x11220020
	.quad	304087329                       ; 0x12200121
	.quad	304152609                       ; 0x12210021
	.quad	304152866                       ; 0x12210122
	.quad	304218401                       ; 0x12220121
	.quad	270602241                       ; 0x10211001
	.quad	270602242                       ; 0x10211002
	.quad	270602497                       ; 0x10211101
	.quad	270602498                       ; 0x10211102
	.quad	270602754                       ; 0x10211202
	.quad	270667777                       ; 0x10221001
	.quad	270668034                       ; 0x10221102
	.quad	270668289                       ; 0x10221201
	.quad	287313920                       ; 0x11201000
	.quad	287313922                       ; 0x11201002
	.quad	287314177                       ; 0x11201101
	.quad	287314432                       ; 0x11201200
	.quad	287314434                       ; 0x11201202
	.quad	287379457                       ; 0x11211001
	.quad	287379712                       ; 0x11211100
	.quad	287379713                       ; 0x11211101
	.quad	287379714                       ; 0x11211102
	.quad	287379969                       ; 0x11211201
	.quad	287379970                       ; 0x11211202
	.quad	287444992                       ; 0x11221000
	.quad	287444994                       ; 0x11221002
	.quad	287445249                       ; 0x11221101
	.quad	304091392                       ; 0x12201100
	.quad	304091393                       ; 0x12201101
	.quad	304091649                       ; 0x12201201
	.quad	304156672                       ; 0x12211000
	.quad	304156674                       ; 0x12211002
	.quad	304156928                       ; 0x12211100
	.quad	304156929                       ; 0x12211101
	.quad	304156930                       ; 0x12211102
	.quad	304157184                       ; 0x12211200
	.quad	304157186                       ; 0x12211202
	.quad	304222209                       ; 0x12221001
	.quad	304222464                       ; 0x12221100
	.quad	304222721                       ; 0x12221201
	.quad	270536977                       ; 0x10201111
	.quad	270537232                       ; 0x10201210
	.quad	270537234                       ; 0x10201212
	.quad	270602257                       ; 0x10211011
	.quad	270602513                       ; 0x10211111
	.quad	270602514                       ; 0x10211112
	.quad	270602769                       ; 0x10211211
	.quad	287314192                       ; 0x11201110
	.quad	287314193                       ; 0x11201111
	.quad	287314194                       ; 0x11201112
	.quad	287314449                       ; 0x11201211
	.quad	287379472                       ; 0x11211010
	.quad	287379473                       ; 0x11211011
	.quad	287379728                       ; 0x11211110
	.quad	287379729                       ; 0x11211111
	.quad	287379730                       ; 0x11211112
	.quad	287379985                       ; 0x11211211
	.quad	287445009                       ; 0x11221011
	.quad	287445264                       ; 0x11221110
	.quad	287445265                       ; 0x11221111
	.quad	287445266                       ; 0x11221112
	.quad	287445521                       ; 0x11221211
	.quad	304091410                       ; 0x12201112
	.quad	304091665                       ; 0x12201211
	.quad	304091666                       ; 0x12201212
	.quad	304156689                       ; 0x12211011
	.quad	304156945                       ; 0x12211111
	.quad	304156946                       ; 0x12211112
	.quad	304157201                       ; 0x12211211
	.quad	304157202                       ; 0x12211212
	.quad	304222226                       ; 0x12221012
	.quad	304222481                       ; 0x12221111
	.quad	304222482                       ; 0x12221112
	.quad	304222736                       ; 0x12221210
	.quad	270536738                       ; 0x10201022
	.quad	270537249                       ; 0x10201221
	.quad	270602529                       ; 0x10211121
	.quad	270667808                       ; 0x10221020
	.quad	270668066                       ; 0x10221122
	.quad	270668320                       ; 0x10221220
	.quad	270668321                       ; 0x10221221
	.quad	287313952                       ; 0x11201020
	.quad	287314209                       ; 0x11201121
	.quad	287314464                       ; 0x11201220
	.quad	287314466                       ; 0x11201222
	.quad	287379489                       ; 0x11211021
	.quad	287379744                       ; 0x11211120
	.quad	287379745                       ; 0x11211121
	.quad	287379746                       ; 0x11211122
	.quad	287380000                       ; 0x11211220
	.quad	287380002                       ; 0x11211222
	.quad	287445024                       ; 0x11221020
	.quad	287445281                       ; 0x11221121
	.quad	287445536                       ; 0x11221220
	.quad	304091168                       ; 0x12201020
	.quad	304091170                       ; 0x12201022
	.quad	304091425                       ; 0x12201121
	.quad	304091682                       ; 0x12201222
	.quad	304156960                       ; 0x12211120
	.quad	304156962                       ; 0x12211122
	.quad	304157216                       ; 0x12211220
	.quad	304157217                       ; 0x12211221
	.quad	304222240                       ; 0x12221020
	.quad	304222496                       ; 0x12221120
	.quad	304222498                       ; 0x12221122
	.quad	304222754                       ; 0x12221222
	.quad	270606594                       ; 0x10212102
	.quad	270606849                       ; 0x10212201
	.quad	270672129                       ; 0x10222101
	.quad	287318017                       ; 0x11202001
	.quad	287383554                       ; 0x11212002
	.quad	287383809                       ; 0x11212101
	.quad	287384066                       ; 0x11212202
	.quad	287449089                       ; 0x11222001
	.quad	287449601                       ; 0x11222201
	.quad	304095489                       ; 0x12202101
	.quad	304160769                       ; 0x12212001
	.quad	304161280                       ; 0x12212200
	.quad	304226562                       ; 0x12222102
	.quad	270540817                       ; 0x10202011
	.quad	270541072                       ; 0x10202110
	.quad	270606352                       ; 0x10212010
	.quad	270606609                       ; 0x10212111
	.quad	270671889                       ; 0x10222011
	.quad	270672144                       ; 0x10222110
	.quad	270672146                       ; 0x10222112
	.quad	270672401                       ; 0x10222211
	.quad	287318032                       ; 0x11202010
	.quad	287318033                       ; 0x11202011
	.quad	287318289                       ; 0x11202111
	.quad	287318290                       ; 0x11202112
	.quad	287318544                       ; 0x11202210
	.quad	287383569                       ; 0x11212011
	.quad	287383824                       ; 0x11212110
	.quad	287383825                       ; 0x11212111
	.quad	287383826                       ; 0x11212112
	.quad	287384081                       ; 0x11212211
	.quad	287449104                       ; 0x11222010
	.quad	287449361                       ; 0x11222111
	.quad	287449618                       ; 0x11222212
	.quad	304095250                       ; 0x12202012
	.quad	304095504                       ; 0x12202110
	.quad	304095762                       ; 0x12202212
	.quad	304161041                       ; 0x12212111
	.quad	304226321                       ; 0x12222011
	.quad	304226576                       ; 0x12222110
	.quad	304226577                       ; 0x12222111
	.quad	304226833                       ; 0x12222211
	.quad	270606369                       ; 0x10212021
	.quad	270606626                       ; 0x10212122
	.quad	270606880                       ; 0x10212220
	.quad	287318049                       ; 0x11202021
	.quad	287318304                       ; 0x11202120
	.quad	287318561                       ; 0x11202221
	.quad	287383584                       ; 0x11212020
	.quad	287383841                       ; 0x11212121
	.quad	287384096                       ; 0x11212220
	.quad	287384098                       ; 0x11212222
	.quad	287449376                       ; 0x11222120
	.quad	287449377                       ; 0x11222121
	.quad	287449633                       ; 0x11222221
	.quad	304095522                       ; 0x12202122
	.quad	304161056                       ; 0x12212120
	.quad	304161312                       ; 0x12212220
	.quad	304161314                       ; 0x12212222
	.quad	304226594                       ; 0x12222122
	.quad	536870912                       ; 0x20000000
	.quad	536870914                       ; 0x20000002
	.quad	536871424                       ; 0x20000200
	.quad	536871426                       ; 0x20000202
	.quad	537001984                       ; 0x20020000
	.quad	537001986                       ; 0x20020002
	.quad	537002496                       ; 0x20020200
	.quad	537002498                       ; 0x20020202
	.quad	553648385                       ; 0x21000101
	.quad	553713664                       ; 0x21010000
	.quad	553713665                       ; 0x21010001
	.quad	553713920                       ; 0x21010100
	.quad	553713922                       ; 0x21010102
	.quad	553714177                       ; 0x21010201
	.quad	553779457                       ; 0x21020101
	.quad	570425344                       ; 0x22000000
	.quad	570425346                       ; 0x22000002
	.quad	570425856                       ; 0x22000200
	.quad	570425858                       ; 0x22000202
	.quad	570491137                       ; 0x22010101
	.quad	570556416                       ; 0x22020000
	.quad	570556418                       ; 0x22020002
	.quad	570556928                       ; 0x22020200
	.quad	570556930                       ; 0x22020202
	.quad	536871185                       ; 0x20000111
	.quad	536936465                       ; 0x20010011
	.quad	536936720                       ; 0x20010110
	.quad	536936722                       ; 0x20010112
	.quad	536936977                       ; 0x20010211
	.quad	537002257                       ; 0x20020111
	.quad	553648145                       ; 0x21000011
	.quad	553648400                       ; 0x21000110
	.quad	553648657                       ; 0x21000211
	.quad	553713680                       ; 0x21010010
	.quad	553713682                       ; 0x21010012
	.quad	553713937                       ; 0x21010111
	.quad	553713938                       ; 0x21010112
	.quad	553714192                       ; 0x21010210
	.quad	553714193                       ; 0x21010211
	.quad	553779472                       ; 0x21020110
	.quad	553779474                       ; 0x21020112
	.quad	553779729                       ; 0x21020211
	.quad	570425617                       ; 0x22000111
	.quad	570425873                       ; 0x22000211
	.quad	570491152                       ; 0x22010110
	.quad	570491154                       ; 0x22010112
	.quad	570491409                       ; 0x22010211
	.quad	570556689                       ; 0x22020111
	.quad	536870944                       ; 0x20000020
	.quad	536870946                       ; 0x20000022
	.quad	536871456                       ; 0x20000220
	.quad	536871458                       ; 0x20000222
	.quad	536936737                       ; 0x20010121
	.quad	537002016                       ; 0x20020020
	.quad	537002018                       ; 0x20020022
	.quad	537002528                       ; 0x20020220
	.quad	537002530                       ; 0x20020222
	.quad	553713697                       ; 0x21010021
	.quad	553713952                       ; 0x21010120
	.quad	553714209                       ; 0x21010221
	.quad	553779489                       ; 0x21020121
	.quad	570425376                       ; 0x22000020
	.quad	570425378                       ; 0x22000022
	.quad	570425888                       ; 0x22000220
	.quad	570425890                       ; 0x22000222
	.quad	570491169                       ; 0x22010121
	.quad	570556448                       ; 0x22020020
	.quad	570556450                       ; 0x22020022
	.quad	570556960                       ; 0x22020220
	.quad	570556962                       ; 0x22020222
	.quad	536940800                       ; 0x20011100
	.quad	536941057                       ; 0x20011201
	.quad	553652225                       ; 0x21001001
	.quad	553652480                       ; 0x21001100
	.quad	553717761                       ; 0x21011001
	.quad	553718017                       ; 0x21011101
	.quad	553718274                       ; 0x21011202
	.quad	553783297                       ; 0x21021001
	.quad	553783552                       ; 0x21021100
	.quad	553783809                       ; 0x21021201
	.quad	570495232                       ; 0x22011100
	.quad	570495489                       ; 0x22011201
	.quad	536875025                       ; 0x20001011
	.quad	536875537                       ; 0x20001211
	.quad	536940562                       ; 0x20011012
	.quad	536940817                       ; 0x20011111
	.quad	536941074                       ; 0x20011212
	.quad	537006354                       ; 0x20021112
	.quad	537006609                       ; 0x20021211
	.quad	553652240                       ; 0x21001010
	.quad	553652241                       ; 0x21001011
	.quad	553652497                       ; 0x21001111
	.quad	553652752                       ; 0x21001210
	.quad	553717777                       ; 0x21011011
	.quad	553718032                       ; 0x21011110
	.quad	553718033                       ; 0x21011111
	.quad	553718034                       ; 0x21011112
	.quad	553718289                       ; 0x21011211
	.quad	553718290                       ; 0x21011212
	.quad	553783569                       ; 0x21021111
	.quad	553783570                       ; 0x21021112
	.quad	553783824                       ; 0x21021210
	.quad	553783826                       ; 0x21021212
	.quad	570429457                       ; 0x22001011
	.quad	570429712                       ; 0x22001110
	.quad	570429714                       ; 0x22001112
	.quad	570429969                       ; 0x22001211
	.quad	570494992                       ; 0x22011010
	.quad	570494994                       ; 0x22011012
	.quad	570495249                       ; 0x22011111
	.quad	570495504                       ; 0x22011210
	.quad	570560786                       ; 0x22021112
	.quad	536940577                       ; 0x20011021
	.quad	536940834                       ; 0x20011122
	.quad	536941089                       ; 0x20011221
	.quad	537006369                       ; 0x20021121
	.quad	553652257                       ; 0x21001021
	.quad	553652512                       ; 0x21001120
	.quad	553652769                       ; 0x21001221
	.quad	553652770                       ; 0x21001222
	.quad	553717792                       ; 0x21011020
	.quad	553718049                       ; 0x21011121
	.quad	553718305                       ; 0x21011221
	.quad	553718306                       ; 0x21011222
	.quad	553783329                       ; 0x21021021
	.quad	553783586                       ; 0x21021122
	.quad	553783842                       ; 0x21021222
	.quad	570429729                       ; 0x22001121
	.quad	570495009                       ; 0x22011021
	.quad	570495522                       ; 0x22011222
	.quad	570560800                       ; 0x22021120
	.quad	536879104                       ; 0x20002000
	.quad	536879106                       ; 0x20002002
	.quad	536879616                       ; 0x20002200
	.quad	536879618                       ; 0x20002202
	.quad	536944897                       ; 0x20012101
	.quad	537010176                       ; 0x20022000
	.quad	537010178                       ; 0x20022002
	.quad	537010688                       ; 0x20022200
	.quad	537010690                       ; 0x20022202
	.quad	553656321                       ; 0x21002001
	.quad	553656577                       ; 0x21002101
	.quad	553721857                       ; 0x21012001
	.quad	553722112                       ; 0x21012100
	.quad	553722369                       ; 0x21012201
	.quad	553787649                       ; 0x21022101
	.quad	553787905                       ; 0x21022201
	.quad	570433536                       ; 0x22002000
	.quad	570433538                       ; 0x22002002
	.quad	570434048                       ; 0x22002200
	.quad	570434050                       ; 0x22002202
	.quad	570499329                       ; 0x22012101
	.quad	570564608                       ; 0x22022000
	.quad	570564610                       ; 0x22022002
	.quad	570565120                       ; 0x22022200
	.quad	570565122                       ; 0x22022202
	.quad	536879377                       ; 0x20002111
	.quad	536879378                       ; 0x20002112
	.quad	536944657                       ; 0x20012011
	.quad	536944912                       ; 0x20012110
	.quad	536944914                       ; 0x20012112
	.quad	537010449                       ; 0x20022111
	.quad	553656337                       ; 0x21002011
	.quad	553656592                       ; 0x21002110
	.quad	553656594                       ; 0x21002112
	.quad	553656849                       ; 0x21002211
	.quad	553721872                       ; 0x21012010
	.quad	553721874                       ; 0x21012012
	.quad	553722129                       ; 0x21012111
	.quad	553722386                       ; 0x21012212
	.quad	553787409                       ; 0x21022011
	.quad	553787664                       ; 0x21022110
	.quad	570433809                       ; 0x22002111
	.quad	570499346                       ; 0x22012112
	.quad	570499601                       ; 0x22012211
	.quad	570564881                       ; 0x22022111
	.quad	536879136                       ; 0x20002020
	.quad	536879138                       ; 0x20002022
	.quad	536879648                       ; 0x20002220
	.quad	536879650                       ; 0x20002222
	.quad	536944929                       ; 0x20012121
	.quad	537010208                       ; 0x20022020
	.quad	537010210                       ; 0x20022022
	.quad	537010720                       ; 0x20022220
	.quad	537010722                       ; 0x20022222
	.quad	553656609                       ; 0x21002121
	.quad	553721889                       ; 0x21012021
	.quad	553722144                       ; 0x21012120
	.quad	553722146                       ; 0x21012122
	.quad	570433568                       ; 0x22002020
	.quad	570433570                       ; 0x22002022
	.quad	570434080                       ; 0x22002220
	.quad	570434082                       ; 0x22002222
	.quad	570499361                       ; 0x22012121
	.quad	570564640                       ; 0x22022020
	.quad	570564642                       ; 0x22022022
	.quad	570565152                       ; 0x22022220
	.quad	570565154                       ; 0x22022222
	.quad	537919745                       ; 0x20100101
	.quad	537985025                       ; 0x20110001
	.quad	537985282                       ; 0x20110102
	.quad	537985536                       ; 0x20110200
	.quad	537985537                       ; 0x20110201
	.quad	538050817                       ; 0x20120101
	.quad	554696705                       ; 0x21100001
	.quad	554696962                       ; 0x21100102
	.quad	554697217                       ; 0x21100201
	.quad	554762497                       ; 0x21110101
	.quad	554762752                       ; 0x21110200
	.quad	554762754                       ; 0x21110202
	.quad	554828289                       ; 0x21120201
	.quad	554828290                       ; 0x21120202
	.quad	571474177                       ; 0x22100101
	.quad	571539457                       ; 0x22110001
	.quad	571539712                       ; 0x22110100
	.quad	571539714                       ; 0x22110102
	.quad	571539969                       ; 0x22110201
	.quad	571605249                       ; 0x22120101
	.quad	537919505                       ; 0x20100011
	.quad	537919760                       ; 0x20100110
	.quad	537919762                       ; 0x20100112
	.quad	537920017                       ; 0x20100211
	.quad	537985040                       ; 0x20110010
	.quad	537985297                       ; 0x20110111
	.quad	537985552                       ; 0x20110210
	.quad	537985554                       ; 0x20110212
	.quad	538050577                       ; 0x20120011
	.quad	538050832                       ; 0x20120110
	.quad	538050834                       ; 0x20120112
	.quad	538051089                       ; 0x20120211
	.quad	554696720                       ; 0x21100010
	.quad	554696977                       ; 0x21100111
	.quad	554762256                       ; 0x21110010
	.quad	554762257                       ; 0x21110011
	.quad	554762512                       ; 0x21110110
	.quad	554762513                       ; 0x21110111
	.quad	554762514                       ; 0x21110112
	.quad	554762769                       ; 0x21110211
	.quad	554827794                       ; 0x21120012
	.quad	554828049                       ; 0x21120111
	.quad	571474192                       ; 0x22100110
	.quad	571474194                       ; 0x22100112
	.quad	571539474                       ; 0x22110012
	.quad	571539729                       ; 0x22110111
	.quad	571539984                       ; 0x22110210
	.quad	571605009                       ; 0x22120011
	.quad	571605264                       ; 0x22120110
	.quad	571605266                       ; 0x22120112
	.quad	571605521                       ; 0x22120211
	.quad	537919777                       ; 0x20100121
	.quad	537985057                       ; 0x20110021
	.quad	537985312                       ; 0x20110120
	.quad	537985569                       ; 0x20110221
	.quad	538050849                       ; 0x20120121
	.quad	554696992                       ; 0x21100120
	.quad	554696994                       ; 0x21100122
	.quad	554697249                       ; 0x21100221
	.quad	554762272                       ; 0x21110020
	.quad	554762274                       ; 0x21110022
	.quad	554762529                       ; 0x21110121
	.quad	554762784                       ; 0x21110220
	.quad	554828066                       ; 0x21120122
	.quad	554828321                       ; 0x21120221
	.quad	571474209                       ; 0x22100121
	.quad	571539744                       ; 0x22110120
	.quad	571539746                       ; 0x22110122
	.quad	571605537                       ; 0x22120221
	.quad	537923585                       ; 0x20101001
	.quad	537923840                       ; 0x20101100
	.quad	537923842                       ; 0x20101102
	.quad	537989120                       ; 0x20111000
	.quad	537989377                       ; 0x20111101
	.quad	537989632                       ; 0x20111200
	.quad	538054914                       ; 0x20121102
	.quad	554700800                       ; 0x21101000
	.quad	554701314                       ; 0x21101202
	.quad	554766337                       ; 0x21111001
	.quad	554766592                       ; 0x21111100
	.quad	554766593                       ; 0x21111101
	.quad	554766594                       ; 0x21111102
	.quad	554766848                       ; 0x21111200
	.quad	554766849                       ; 0x21111201
	.quad	554831872                       ; 0x21121000
	.quad	554831873                       ; 0x21121001
	.quad	554831874                       ; 0x21121002
	.quad	554832129                       ; 0x21121101
	.quad	571478272                       ; 0x22101100
	.quad	571478274                       ; 0x22101102
	.quad	571543554                       ; 0x22111002
	.quad	571543808                       ; 0x22111100
	.quad	571543809                       ; 0x22111101
	.quad	571544064                       ; 0x22111200
	.quad	571609089                       ; 0x22121001
	.quad	571609601                       ; 0x22121201
	.quad	537923600                       ; 0x20101010
	.quad	537923857                       ; 0x20101111
	.quad	537924112                       ; 0x20101210
	.quad	537924114                       ; 0x20101212
	.quad	537989136                       ; 0x20111010
	.quad	537989137                       ; 0x20111011
	.quad	537989392                       ; 0x20111110
	.quad	537989393                       ; 0x20111111
	.quad	537989394                       ; 0x20111112
	.quad	537989649                       ; 0x20111211
	.quad	538054673                       ; 0x20121011
	.quad	538054929                       ; 0x20121111
	.quad	538055185                       ; 0x20121211
	.quad	538055186                       ; 0x20121212
	.quad	554700817                       ; 0x21101011
	.quad	554701072                       ; 0x21101110
	.quad	554701073                       ; 0x21101111
	.quad	554701074                       ; 0x21101112
	.quad	554701329                       ; 0x21101211
	.quad	554766352                       ; 0x21111010
	.quad	554766353                       ; 0x21111011
	.quad	554766354                       ; 0x21111012
	.quad	554766608                       ; 0x21111110
	.quad	554766609                       ; 0x21111111
	.quad	554766610                       ; 0x21111112
	.quad	554766864                       ; 0x21111210
	.quad	554766865                       ; 0x21111211
	.quad	554766866                       ; 0x21111212
	.quad	554831889                       ; 0x21121011
	.quad	554832144                       ; 0x21121110
	.quad	554832145                       ; 0x21121111
	.quad	554832146                       ; 0x21121112
	.quad	554832401                       ; 0x21121211
	.quad	571478033                       ; 0x22101011
	.quad	571478289                       ; 0x22101111
	.quad	571478544                       ; 0x22101210
	.quad	571543569                       ; 0x22111011
	.quad	571543570                       ; 0x22111012
	.quad	571543824                       ; 0x22111110
	.quad	571543825                       ; 0x22111111
	.quad	571543826                       ; 0x22111112
	.quad	571544081                       ; 0x22111211
	.quad	571544082                       ; 0x22111212
	.quad	571609104                       ; 0x22121010
	.quad	571609106                       ; 0x22121012
	.quad	571609361                       ; 0x22121111
	.quad	571609616                       ; 0x22121210
	.quad	571609618                       ; 0x22121212
	.quad	537923617                       ; 0x20101021
	.quad	537923872                       ; 0x20101120
	.quad	537989152                       ; 0x20111020
	.quad	537989409                       ; 0x20111121
	.quad	537989665                       ; 0x20111221
	.quad	538054688                       ; 0x20121020
	.quad	538054946                       ; 0x20121122
	.quad	538055201                       ; 0x20121221
	.quad	554701089                       ; 0x21101121
	.quad	554701344                       ; 0x21101220
	.quad	554701345                       ; 0x21101221
	.quad	554766369                       ; 0x21111021
	.quad	554766370                       ; 0x21111022
	.quad	554766625                       ; 0x21111121
	.quad	554766626                       ; 0x21111122
	.quad	554766881                       ; 0x21111221
	.quad	554832161                       ; 0x21121121
	.quad	554832416                       ; 0x21121220
	.quad	571478050                       ; 0x22101022
	.quad	571478304                       ; 0x22101120
	.quad	571478561                       ; 0x22101221
	.quad	571478562                       ; 0x22101222
	.quad	571543586                       ; 0x22111022
	.quad	571543840                       ; 0x22111120
	.quad	571543841                       ; 0x22111121
	.quad	571609376                       ; 0x22121120
	.quad	571609378                       ; 0x22121122
	.quad	571609633                       ; 0x22121221
	.quad	537927937                       ; 0x20102101
	.quad	537993474                       ; 0x20112102
	.quad	537993729                       ; 0x20112201
	.quad	538059009                       ; 0x20122101
	.quad	554704897                       ; 0x21102001
	.quad	554705154                       ; 0x21102102
	.quad	554770432                       ; 0x21112000
	.quad	554770434                       ; 0x21112002
	.quad	554770689                       ; 0x21112101
	.quad	554770690                       ; 0x21112102
	.quad	554770946                       ; 0x21112202
	.quad	554836224                       ; 0x21122100
	.quad	554836225                       ; 0x21122101
	.quad	571482369                       ; 0x22102101
	.quad	571547649                       ; 0x22112001
	.quad	571547906                       ; 0x22112102
	.quad	571548161                       ; 0x22112201
	.quad	571613441                       ; 0x22122101
	.quad	537927952                       ; 0x20102110
	.quad	537927954                       ; 0x20102112
	.quad	537928209                       ; 0x20102211
	.quad	537993232                       ; 0x20112010
	.quad	537993234                       ; 0x20112012
	.quad	537993489                       ; 0x20112111
	.quad	537993744                       ; 0x20112210
	.quad	537993746                       ; 0x20112212
	.quad	538058768                       ; 0x20122010
	.quad	538058769                       ; 0x20122011
	.quad	538059024                       ; 0x20122110
	.quad	538059026                       ; 0x20122112
	.quad	554704912                       ; 0x21102010
	.quad	554704914                       ; 0x21102012
	.quad	554705169                       ; 0x21102111
	.quad	554705424                       ; 0x21102210
	.quad	554705426                       ; 0x21102212
	.quad	554770449                       ; 0x21112011
	.quad	554770704                       ; 0x21112110
	.quad	554770705                       ; 0x21112111
	.quad	554770706                       ; 0x21112112
	.quad	554770961                       ; 0x21112211
	.quad	554835986                       ; 0x21122012
	.quad	554836241                       ; 0x21122111
	.quad	554836242                       ; 0x21122112
	.quad	554836498                       ; 0x21122212
	.quad	571482129                       ; 0x22102011
	.quad	571482384                       ; 0x22102110
	.quad	571547664                       ; 0x22112010
	.quad	571547666                       ; 0x22112012
	.quad	571547921                       ; 0x22112111
	.quad	571548178                       ; 0x22112212
	.quad	571613201                       ; 0x22122011
	.quad	571613458                       ; 0x22122112
	.quad	537927969                       ; 0x20102121
	.quad	537993505                       ; 0x20112121
	.quad	538059041                       ; 0x20122121
	.quad	554705184                       ; 0x21102120
	.quad	554705186                       ; 0x21102122
	.quad	554705441                       ; 0x21102221
	.quad	554770464                       ; 0x21112020
	.quad	554770721                       ; 0x21112121
	.quad	554770976                       ; 0x21112220
	.quad	554836001                       ; 0x21122021
	.quad	571482401                       ; 0x22102121
	.quad	571547681                       ; 0x22112021
	.quad	571547936                       ; 0x22112120
	.quad	571547937                       ; 0x22112121
	.quad	571547938                       ; 0x22112122
	.quad	538968064                       ; 0x20200000
	.quad	538968066                       ; 0x20200002
	.quad	538968576                       ; 0x20200200
	.quad	538968578                       ; 0x20200202
	.quad	539033857                       ; 0x20210101
	.quad	539099136                       ; 0x20220000
	.quad	539099138                       ; 0x20220002
	.quad	539099648                       ; 0x20220200
	.quad	539099650                       ; 0x20220202
	.quad	555745537                       ; 0x21200101
	.quad	555810817                       ; 0x21210001
	.quad	555811072                       ; 0x21210100
	.quad	555811074                       ; 0x21210102
	.quad	555811329                       ; 0x21210201
	.quad	572522496                       ; 0x22200000
	.quad	572522498                       ; 0x22200002
	.quad	572523008                       ; 0x22200200
	.quad	572523010                       ; 0x22200202
	.quad	572588289                       ; 0x22210101
	.quad	572653568                       ; 0x22220000
	.quad	572653570                       ; 0x22220002
	.quad	572654080                       ; 0x22220200
	.quad	572654082                       ; 0x22220202
	.quad	538968337                       ; 0x20200111
	.quad	538968593                       ; 0x20200211
	.quad	539033617                       ; 0x20210011
	.quad	539033872                       ; 0x20210110
	.quad	539033874                       ; 0x20210112
	.quad	539034129                       ; 0x20210211
	.quad	539034130                       ; 0x20210212
	.quad	555745554                       ; 0x21200112
	.quad	555745809                       ; 0x21200211
	.quad	555810833                       ; 0x21210011
	.quad	555811089                       ; 0x21210111
	.quad	555811344                       ; 0x21210210
	.quad	555811346                       ; 0x21210212
	.quad	555876369                       ; 0x21220011
	.quad	555876624                       ; 0x21220110
	.quad	572522769                       ; 0x22200111
	.quad	572588048                       ; 0x22210010
	.quad	572588050                       ; 0x22210012
	.quad	572588306                       ; 0x22210112
	.quad	572588561                       ; 0x22210211
	.quad	538968098                       ; 0x20200022
	.quad	538968608                       ; 0x20200220
	.quad	538968610                       ; 0x20200222
	.quad	539033632                       ; 0x20210020
	.quad	539034145                       ; 0x20210221
	.quad	539099170                       ; 0x20220022
	.quad	539099680                       ; 0x20220220
	.quad	539099682                       ; 0x20220222
	.quad	555745569                       ; 0x21200121
	.quad	555810849                       ; 0x21210021
	.quad	555811106                       ; 0x21210122
	.quad	555811361                       ; 0x21210221
	.quad	555876641                       ; 0x21220121
	.quad	572522528                       ; 0x22200020
	.quad	572522530                       ; 0x22200022
	.quad	572523040                       ; 0x22200220
	.quad	572523042                       ; 0x22200222
	.quad	572588321                       ; 0x22210121
	.quad	572653600                       ; 0x22220020
	.quad	572653602                       ; 0x22220022
	.quad	572654112                       ; 0x22220220
	.quad	572654114                       ; 0x22220222
	.quad	539038209                       ; 0x20211201
	.quad	539103489                       ; 0x20221101
	.quad	555749377                       ; 0x21201001
	.quad	555749632                       ; 0x21201100
	.quad	555814912                       ; 0x21211000
	.quad	555815168                       ; 0x21211100
	.quad	555815169                       ; 0x21211101
	.quad	555815424                       ; 0x21211200
	.quad	555815426                       ; 0x21211202
	.quad	555880449                       ; 0x21221001
	.quad	555880705                       ; 0x21221101
	.quad	555880706                       ; 0x21221102
	.quad	555880960                       ; 0x21221200
	.quad	555880961                       ; 0x21221201
	.quad	572526849                       ; 0x22201101
	.quad	538972434                       ; 0x20201112
	.quad	538972689                       ; 0x20201211
	.quad	539037712                       ; 0x20211010
	.quad	539037714                       ; 0x20211012
	.quad	539037969                       ; 0x20211111
	.quad	539038224                       ; 0x20211210
	.quad	539103506                       ; 0x20221112
	.quad	539103761                       ; 0x20221211
	.quad	555749394                       ; 0x21201012
	.quad	555749649                       ; 0x21201111
	.quad	555814929                       ; 0x21211011
	.quad	555815184                       ; 0x21211110
	.quad	555815185                       ; 0x21211111
	.quad	555815186                       ; 0x21211112
	.quad	555815441                       ; 0x21211211
	.quad	555880721                       ; 0x21221111
	.quad	555880978                       ; 0x21221212
	.quad	572526609                       ; 0x22201011
	.quad	572526864                       ; 0x22201110
	.quad	572526865                       ; 0x22201111
	.quad	572526866                       ; 0x22201112
	.quad	572527121                       ; 0x22201211
	.quad	572592146                       ; 0x22211012
	.quad	572592401                       ; 0x22211111
	.quad	572592656                       ; 0x22211210
	.quad	538972449                       ; 0x20201121
	.quad	539037729                       ; 0x20211021
	.quad	539037986                       ; 0x20211122
	.quad	539038242                       ; 0x20211222
	.quad	539103265                       ; 0x20221021
	.quad	539103521                       ; 0x20221121
	.quad	555749664                       ; 0x21201120
	.quad	555749666                       ; 0x21201122
	.quad	555749922                       ; 0x21201222
	.quad	555814946                       ; 0x21211022
	.quad	555815201                       ; 0x21211121
	.quad	555815202                       ; 0x21211122
	.quad	555815456                       ; 0x21211220
	.quad	555880480                       ; 0x21221020
	.quad	555880482                       ; 0x21221022
	.quad	572526882                       ; 0x22201122
	.quad	572592160                       ; 0x22211020
	.quad	572592417                       ; 0x22211121
	.quad	572592418                       ; 0x22211122
	.quad	572592673                       ; 0x22211221
	.quad	572657697                       ; 0x22221021
	.quad	572657952                       ; 0x22221120
	.quad	572657954                       ; 0x22221122
	.quad	538976256                       ; 0x20202000
	.quad	538976258                       ; 0x20202002
	.quad	538976768                       ; 0x20202200
	.quad	538976770                       ; 0x20202202
	.quad	539107328                       ; 0x20222000
	.quad	539107330                       ; 0x20222002
	.quad	539107840                       ; 0x20222200
	.quad	539107842                       ; 0x20222202
	.quad	555819009                       ; 0x21212001
	.quad	555819264                       ; 0x21212100
	.quad	555819266                       ; 0x21212102
	.quad	555819521                       ; 0x21212201
	.quad	572530688                       ; 0x22202000
	.quad	572530690                       ; 0x22202002
	.quad	572531200                       ; 0x22202200
	.quad	572531202                       ; 0x22202202
	.quad	572596481                       ; 0x22212101
	.quad	572661760                       ; 0x22222000
	.quad	572661762                       ; 0x22222002
	.quad	572662272                       ; 0x22222200
	.quad	572662274                       ; 0x22222202
	.quad	538976529                       ; 0x20202111
	.quad	539042064                       ; 0x20212110
	.quad	539042321                       ; 0x20212211
	.quad	539107345                       ; 0x20222011
	.quad	539107601                       ; 0x20222111
	.quad	555753489                       ; 0x21202011
	.quad	555819024                       ; 0x21212010
	.quad	555819281                       ; 0x21212111
	.quad	555819538                       ; 0x21212212
	.quad	555884561                       ; 0x21222011
	.quad	555884818                       ; 0x21222112
	.quad	555885073                       ; 0x21222211
	.quad	572596240                       ; 0x22212010
	.quad	572596498                       ; 0x22212112
	.quad	538976288                       ; 0x20202020
	.quad	538976290                       ; 0x20202022
	.quad	538976800                       ; 0x20202220
	.quad	538976802                       ; 0x20202222
	.quad	539107360                       ; 0x20222020
	.quad	539107362                       ; 0x20222022
	.quad	539107872                       ; 0x20222220
	.quad	539107874                       ; 0x20222222
	.quad	555819041                       ; 0x21212021
	.quad	555819296                       ; 0x21212120
	.quad	555819298                       ; 0x21212122
	.quad	572530720                       ; 0x22202020
	.quad	572530722                       ; 0x22202022
	.quad	572531232                       ; 0x22202220
	.quad	572531234                       ; 0x22202222
	.quad	572596513                       ; 0x22212121
	.quad	572661792                       ; 0x22222020
	.quad	572661794                       ; 0x22222022
	.quad	572662304                       ; 0x22222220
	.quad	572662306                       ; 0x22222222
	.size	_ZL13iq1s_grid_gpu, 16384

	.type	_ZL13kvalues_iq4nl,@object      ; @_ZL13kvalues_iq4nl
	.section	.rodata.cst16,"aM",@progbits,16
	.p2align	4, 0x0
_ZL13kvalues_iq4nl:
	.ascii	"\201\230\255\277\317\335\352\366\001\r\031&5EYq"
	.size	_ZL13kvalues_iq4nl, 16

	.type	_ZL10iq3xs_grid,@object         ; @_ZL10iq3xs_grid
	.section	.rodata,"a",@progbits
	.p2align	4, 0x0
_ZL10iq3xs_grid:
	.long	67372036                        ; 0x4040404
	.long	67372044                        ; 0x404040c
	;; [unrolled: 1-line block ×109, first 2 shown]
	.long	201589764                       ; 0xc040404
	.long	201589772                       ; 0xc04040c
	;; [unrolled: 1-line block ×368, first 2 shown]
	.long	1040450564                      ; 0x3e040404
	.long	1040450596                      ; 0x3e040424
	;; [unrolled: 1-line block ×35, first 2 shown]
	.size	_ZL10iq3xs_grid, 2048

	.type	_ZL9iq2s_grid,@object           ; @_ZL9iq2s_grid
	.p2align	4, 0x0
_ZL9iq2s_grid:
	.quad	578721382704613384              ; 0x808080808080808
	.quad	578721382704613419              ; 0x80808080808082b
	;; [unrolled: 1-line block ×471, first 2 shown]
	.quad	1803700481349388313             ; 0x1908080808080819
	.quad	1803700481349392648             ; 0x1908080808081908
	;; [unrolled: 1-line block ×553, first 2 shown]
	.size	_ZL9iq2s_grid, 8192

	.type	_ZL8ksigns64,@object            ; @_ZL8ksigns64
	.p2align	4, 0x0
_ZL8ksigns64:
	.quad	0                               ; 0x0
	.quad	-72057594037927681              ; 0xff000000000000ff
	.quad	-72057594037862656              ; 0xff0000000000ff00
	.quad	65535                           ; 0xffff
	.quad	-72057594021216256              ; 0xff00000000ff0000
	.quad	16711935                        ; 0xff00ff
	.quad	16776960                        ; 0xffff00
	.quad	-72057594021150721              ; 0xff00000000ffffff
	.quad	-72057589759737856              ; 0xff000000ff000000
	.quad	4278190335                      ; 0xff0000ff
	.quad	4278255360                      ; 0xff00ff00
	.quad	-72057589759672321              ; 0xff000000ff00ffff
	.quad	4294901760                      ; 0xffff0000
	.quad	-72057589743025921              ; 0xff000000ffff00ff
	.quad	-72057589742960896              ; 0xff000000ffffff00
	.quad	4294967295                      ; 0xffffffff
	.quad	-72056498821267456              ; 0xff0000ff00000000
	.quad	1095216660735                   ; 0xff000000ff
	.quad	1095216725760                   ; 0xff0000ff00
	.quad	-72056498821201921              ; 0xff0000ff0000ffff
	.quad	1095233372160                   ; 0xff00ff0000
	.quad	-72056498804555521              ; 0xff0000ff00ff00ff
	.quad	-72056498804490496              ; 0xff0000ff00ffff00
	.quad	1095233437695                   ; 0xff00ffffff
	.quad	1099494850560                   ; 0xffff000000
	.quad	-72056494543077121              ; 0xff0000ffff0000ff
	.quad	-72056494543012096              ; 0xff0000ffff00ff00
	.quad	1099494916095                   ; 0xffff00ffff
	.quad	-72056494526365696              ; 0xff0000ffffff0000
	.quad	1099511562495                   ; 0xffffff00ff
	.quad	1099511627520                   ; 0xffffffff00
	.quad	-72056494526300161              ; 0xff0000ffffffffff
	.quad	-71777218572845056              ; 0xff00ff0000000000
	.quad	280375465083135                 ; 0xff00000000ff
	.quad	280375465148160                 ; 0xff000000ff00
	.quad	-71777218572779521              ; 0xff00ff000000ffff
	.quad	280375481794560                 ; 0xff0000ff0000
	.quad	-71777218556133121              ; 0xff00ff0000ff00ff
	.quad	-71777218556068096              ; 0xff00ff0000ffff00
	.quad	280375481860095                 ; 0xff0000ffffff
	.quad	280379743272960                 ; 0xff00ff000000
	.quad	-71777214294654721              ; 0xff00ff00ff0000ff
	.quad	-71777214294589696              ; 0xff00ff00ff00ff00
	.quad	280379743338495                 ; 0xff00ff00ffff
	.quad	-71777214277943296              ; 0xff00ff00ffff0000
	.quad	280379759984895                 ; 0xff00ffff00ff
	.quad	280379760049920                 ; 0xff00ffffff00
	.quad	-71777214277877761              ; 0xff00ff00ffffffff
	.quad	281470681743360                 ; 0xffff00000000
	.quad	-71776123356184321              ; 0xff00ffff000000ff
	.quad	-71776123356119296              ; 0xff00ffff0000ff00
	.quad	281470681808895                 ; 0xffff0000ffff
	.quad	-71776123339472896              ; 0xff00ffff00ff0000
	.quad	281470698455295                 ; 0xffff00ff00ff
	.quad	281470698520320                 ; 0xffff00ffff00
	.quad	-71776123339407361              ; 0xff00ffff00ffffff
	.quad	-71776119077994496              ; 0xff00ffffff000000
	.quad	281474959933695                 ; 0xffffff0000ff
	.quad	281474959998720                 ; 0xffffff00ff00
	.quad	-71776119077928961              ; 0xff00ffffff00ffff
	.quad	281474976645120                 ; 0xffffffff0000
	.quad	-71776119061282561              ; 0xff00ffffffff00ff
	.quad	-71776119061217536              ; 0xff00ffffffffff00
	.quad	281474976710655                 ; 0xffffffffffff
	.quad	-281474976710656                ; 0xffff000000000000
	.quad	71776119061217535               ; 0xff0000000000ff
	.quad	71776119061282560               ; 0xff00000000ff00
	.quad	-281474976645121                ; 0xffff00000000ffff
	.quad	71776119077928960               ; 0xff000000ff0000
	.quad	-281474959998721                ; 0xffff000000ff00ff
	.quad	-281474959933696                ; 0xffff000000ffff00
	.quad	71776119077994495               ; 0xff000000ffffff
	.quad	71776123339407360               ; 0xff0000ff000000
	.quad	-281470698520321                ; 0xffff0000ff0000ff
	.quad	-281470698455296                ; 0xffff0000ff00ff00
	.quad	71776123339472895               ; 0xff0000ff00ffff
	.quad	-281470681808896                ; 0xffff0000ffff0000
	.quad	71776123356119295               ; 0xff0000ffff00ff
	.quad	71776123356184320               ; 0xff0000ffffff00
	.quad	-281470681743361                ; 0xffff0000ffffffff
	.quad	71777214277877760               ; 0xff00ff00000000
	.quad	-280379760049921                ; 0xffff00ff000000ff
	.quad	-280379759984896                ; 0xffff00ff0000ff00
	.quad	71777214277943295               ; 0xff00ff0000ffff
	.quad	-280379743338496                ; 0xffff00ff00ff0000
	.quad	71777214294589695               ; 0xff00ff00ff00ff
	.quad	71777214294654720               ; 0xff00ff00ffff00
	.quad	-280379743272961                ; 0xffff00ff00ffffff
	.quad	-280375481860096                ; 0xffff00ffff000000
	.quad	71777218556068095               ; 0xff00ffff0000ff
	.quad	71777218556133120               ; 0xff00ffff00ff00
	.quad	-280375481794561                ; 0xffff00ffff00ffff
	.quad	71777218572779520               ; 0xff00ffffff0000
	.quad	-280375465148161                ; 0xffff00ffffff00ff
	.quad	-280375465083136                ; 0xffff00ffffffff00
	.quad	71777218572845055               ; 0xff00ffffffffff
	.quad	72056494526300160               ; 0xffff0000000000
	.quad	-1099511627521                  ; 0xffffff00000000ff
	.quad	-1099511562496                  ; 0xffffff000000ff00
	.quad	72056494526365695               ; 0xffff000000ffff
	.quad	-1099494916096                  ; 0xffffff0000ff0000
	.quad	72056494543012095               ; 0xffff0000ff00ff
	.quad	72056494543077120               ; 0xffff0000ffff00
	.quad	-1099494850561                  ; 0xffffff0000ffffff
	.quad	-1095233437696                  ; 0xffffff00ff000000
	.quad	72056498804490495               ; 0xffff00ff0000ff
	.quad	72056498804555520               ; 0xffff00ff00ff00
	.quad	-1095233372161                  ; 0xffffff00ff00ffff
	.quad	72056498821201920               ; 0xffff00ffff0000
	.quad	-1095216725761                  ; 0xffffff00ffff00ff
	.quad	-1095216660736                  ; 0xffffff00ffffff00
	.quad	72056498821267455               ; 0xffff00ffffffff
	.quad	-4294967296                     ; 0xffffffff00000000
	.quad	72057589742960895               ; 0xffffff000000ff
	.quad	72057589743025920               ; 0xffffff0000ff00
	.quad	-4294901761                     ; 0xffffffff0000ffff
	.quad	72057589759672320               ; 0xffffff00ff0000
	.quad	-4278255361                     ; 0xffffffff00ff00ff
	.quad	-4278190336                     ; 0xffffffff00ffff00
	.quad	72057589759737855               ; 0xffffff00ffffff
	.quad	72057594021150720               ; 0xffffffff000000
	.quad	-16776961                       ; 0xffffffffff0000ff
	.quad	-16711936                       ; 0xffffffffff00ff00
	.quad	72057594021216255               ; 0xffffffff00ffff
	.quad	-65536                          ; 0xffffffffffff0000
	.quad	72057594037862655               ; 0xffffffffff00ff
	.quad	72057594037927680               ; 0xffffffffffff00
	.quad	-1                              ; 0xffffffffffffffff
	.size	_ZL8ksigns64, 1024

	.type	__hip_cuid_bcdbb163f99c07d5,@object ; @__hip_cuid_bcdbb163f99c07d5
	.section	.bss,"aw",@nobits
	.globl	__hip_cuid_bcdbb163f99c07d5
__hip_cuid_bcdbb163f99c07d5:
	.byte	0                               ; 0x0
	.size	__hip_cuid_bcdbb163f99c07d5, 1

	.ident	"AMD clang version 19.0.0git (https://github.com/RadeonOpenCompute/llvm-project roc-6.4.0 25133 c7fe45cf4b819c5991fe208aaa96edf142730f1d)"
	.section	".note.GNU-stack","",@progbits
	.addrsig
	.addrsig_sym __hip_cuid_bcdbb163f99c07d5
	.amdgpu_metadata
---
amdhsa.kernels:
  - .agpr_count:     0
    .args:
      - .actual_access:  read_only
        .address_space:  global
        .offset:         0
        .size:           8
        .value_kind:     global_buffer
      - .actual_access:  write_only
        .address_space:  global
        .offset:         8
        .size:           8
        .value_kind:     global_buffer
      - .offset:         16
        .size:           4
        .value_kind:     by_value
      - .offset:         24
        .size:           4
        .value_kind:     hidden_block_count_x
      - .offset:         28
        .size:           4
        .value_kind:     hidden_block_count_y
      - .offset:         32
        .size:           4
        .value_kind:     hidden_block_count_z
      - .offset:         36
        .size:           2
        .value_kind:     hidden_group_size_x
      - .offset:         38
        .size:           2
        .value_kind:     hidden_group_size_y
      - .offset:         40
        .size:           2
        .value_kind:     hidden_group_size_z
      - .offset:         42
        .size:           2
        .value_kind:     hidden_remainder_x
      - .offset:         44
        .size:           2
        .value_kind:     hidden_remainder_y
      - .offset:         46
        .size:           2
        .value_kind:     hidden_remainder_z
      - .offset:         64
        .size:           8
        .value_kind:     hidden_global_offset_x
      - .offset:         72
        .size:           8
        .value_kind:     hidden_global_offset_y
      - .offset:         80
        .size:           8
        .value_kind:     hidden_global_offset_z
      - .offset:         88
        .size:           2
        .value_kind:     hidden_grid_dims
    .group_segment_fixed_size: 0
    .kernarg_segment_align: 8
    .kernarg_segment_size: 280
    .language:       OpenCL C
    .language_version:
      - 2
      - 0
    .max_flat_workgroup_size: 1024
    .name:           _ZL16dequantize_blockILi32ELi2EXadL_ZL15dequantize_q4_0PKviiR7__half2EEfEvS1_PT2_i
    .private_segment_fixed_size: 0
    .sgpr_count:     11
    .sgpr_spill_count: 0
    .symbol:         _ZL16dequantize_blockILi32ELi2EXadL_ZL15dequantize_q4_0PKviiR7__half2EEfEvS1_PT2_i.kd
    .uniform_work_group_size: 1
    .uses_dynamic_stack: false
    .vgpr_count:     8
    .vgpr_spill_count: 0
    .wavefront_size: 64
  - .agpr_count:     0
    .args:
      - .actual_access:  read_only
        .address_space:  global
        .offset:         0
        .size:           8
        .value_kind:     global_buffer
      - .actual_access:  write_only
        .address_space:  global
        .offset:         8
        .size:           8
        .value_kind:     global_buffer
      - .offset:         16
        .size:           4
        .value_kind:     by_value
      - .offset:         24
        .size:           4
        .value_kind:     hidden_block_count_x
      - .offset:         28
        .size:           4
        .value_kind:     hidden_block_count_y
      - .offset:         32
        .size:           4
        .value_kind:     hidden_block_count_z
      - .offset:         36
        .size:           2
        .value_kind:     hidden_group_size_x
      - .offset:         38
        .size:           2
        .value_kind:     hidden_group_size_y
      - .offset:         40
        .size:           2
        .value_kind:     hidden_group_size_z
      - .offset:         42
        .size:           2
        .value_kind:     hidden_remainder_x
      - .offset:         44
        .size:           2
        .value_kind:     hidden_remainder_y
      - .offset:         46
        .size:           2
        .value_kind:     hidden_remainder_z
      - .offset:         64
        .size:           8
        .value_kind:     hidden_global_offset_x
      - .offset:         72
        .size:           8
        .value_kind:     hidden_global_offset_y
      - .offset:         80
        .size:           8
        .value_kind:     hidden_global_offset_z
      - .offset:         88
        .size:           2
        .value_kind:     hidden_grid_dims
    .group_segment_fixed_size: 0
    .kernarg_segment_align: 8
    .kernarg_segment_size: 280
    .language:       OpenCL C
    .language_version:
      - 2
      - 0
    .max_flat_workgroup_size: 1024
    .name:           _ZL16dequantize_blockILi32ELi2EXadL_ZL15dequantize_q4_1PKviiR7__half2EEfEvS1_PT2_i
    .private_segment_fixed_size: 0
    .sgpr_count:     11
    .sgpr_spill_count: 0
    .symbol:         _ZL16dequantize_blockILi32ELi2EXadL_ZL15dequantize_q4_1PKviiR7__half2EEfEvS1_PT2_i.kd
    .uniform_work_group_size: 1
    .uses_dynamic_stack: false
    .vgpr_count:     8
    .vgpr_spill_count: 0
    .wavefront_size: 64
  - .agpr_count:     0
    .args:
      - .actual_access:  read_only
        .address_space:  global
        .offset:         0
        .size:           8
        .value_kind:     global_buffer
      - .actual_access:  write_only
        .address_space:  global
        .offset:         8
        .size:           8
        .value_kind:     global_buffer
      - .offset:         16
        .size:           4
        .value_kind:     by_value
      - .offset:         24
        .size:           4
        .value_kind:     hidden_block_count_x
      - .offset:         28
        .size:           4
        .value_kind:     hidden_block_count_y
      - .offset:         32
        .size:           4
        .value_kind:     hidden_block_count_z
      - .offset:         36
        .size:           2
        .value_kind:     hidden_group_size_x
      - .offset:         38
        .size:           2
        .value_kind:     hidden_group_size_y
      - .offset:         40
        .size:           2
        .value_kind:     hidden_group_size_z
      - .offset:         42
        .size:           2
        .value_kind:     hidden_remainder_x
      - .offset:         44
        .size:           2
        .value_kind:     hidden_remainder_y
      - .offset:         46
        .size:           2
        .value_kind:     hidden_remainder_z
      - .offset:         64
        .size:           8
        .value_kind:     hidden_global_offset_x
      - .offset:         72
        .size:           8
        .value_kind:     hidden_global_offset_y
      - .offset:         80
        .size:           8
        .value_kind:     hidden_global_offset_z
      - .offset:         88
        .size:           2
        .value_kind:     hidden_grid_dims
    .group_segment_fixed_size: 0
    .kernarg_segment_align: 8
    .kernarg_segment_size: 280
    .language:       OpenCL C
    .language_version:
      - 2
      - 0
    .max_flat_workgroup_size: 1024
    .name:           _ZL16dequantize_blockILi32ELi2EXadL_ZL15dequantize_q5_0PKviiR7__half2EEfEvS1_PT2_i
    .private_segment_fixed_size: 0
    .sgpr_count:     11
    .sgpr_spill_count: 0
    .symbol:         _ZL16dequantize_blockILi32ELi2EXadL_ZL15dequantize_q5_0PKviiR7__half2EEfEvS1_PT2_i.kd
    .uniform_work_group_size: 1
    .uses_dynamic_stack: false
    .vgpr_count:     7
    .vgpr_spill_count: 0
    .wavefront_size: 64
  - .agpr_count:     0
    .args:
      - .actual_access:  read_only
        .address_space:  global
        .offset:         0
        .size:           8
        .value_kind:     global_buffer
      - .actual_access:  write_only
        .address_space:  global
        .offset:         8
        .size:           8
        .value_kind:     global_buffer
      - .offset:         16
        .size:           4
        .value_kind:     by_value
      - .offset:         24
        .size:           4
        .value_kind:     hidden_block_count_x
      - .offset:         28
        .size:           4
        .value_kind:     hidden_block_count_y
      - .offset:         32
        .size:           4
        .value_kind:     hidden_block_count_z
      - .offset:         36
        .size:           2
        .value_kind:     hidden_group_size_x
      - .offset:         38
        .size:           2
        .value_kind:     hidden_group_size_y
      - .offset:         40
        .size:           2
        .value_kind:     hidden_group_size_z
      - .offset:         42
        .size:           2
        .value_kind:     hidden_remainder_x
      - .offset:         44
        .size:           2
        .value_kind:     hidden_remainder_y
      - .offset:         46
        .size:           2
        .value_kind:     hidden_remainder_z
      - .offset:         64
        .size:           8
        .value_kind:     hidden_global_offset_x
      - .offset:         72
        .size:           8
        .value_kind:     hidden_global_offset_y
      - .offset:         80
        .size:           8
        .value_kind:     hidden_global_offset_z
      - .offset:         88
        .size:           2
        .value_kind:     hidden_grid_dims
    .group_segment_fixed_size: 0
    .kernarg_segment_align: 8
    .kernarg_segment_size: 280
    .language:       OpenCL C
    .language_version:
      - 2
      - 0
    .max_flat_workgroup_size: 1024
    .name:           _ZL16dequantize_blockILi32ELi2EXadL_ZL15dequantize_q5_1PKviiR7__half2EEfEvS1_PT2_i
    .private_segment_fixed_size: 0
    .sgpr_count:     11
    .sgpr_spill_count: 0
    .symbol:         _ZL16dequantize_blockILi32ELi2EXadL_ZL15dequantize_q5_1PKviiR7__half2EEfEvS1_PT2_i.kd
    .uniform_work_group_size: 1
    .uses_dynamic_stack: false
    .vgpr_count:     10
    .vgpr_spill_count: 0
    .wavefront_size: 64
  - .agpr_count:     0
    .args:
      - .actual_access:  read_only
        .address_space:  global
        .offset:         0
        .size:           8
        .value_kind:     global_buffer
      - .actual_access:  write_only
        .address_space:  global
        .offset:         8
        .size:           8
        .value_kind:     global_buffer
      - .offset:         16
        .size:           4
        .value_kind:     by_value
      - .offset:         24
        .size:           4
        .value_kind:     hidden_block_count_x
      - .offset:         28
        .size:           4
        .value_kind:     hidden_block_count_y
      - .offset:         32
        .size:           4
        .value_kind:     hidden_block_count_z
      - .offset:         36
        .size:           2
        .value_kind:     hidden_group_size_x
      - .offset:         38
        .size:           2
        .value_kind:     hidden_group_size_y
      - .offset:         40
        .size:           2
        .value_kind:     hidden_group_size_z
      - .offset:         42
        .size:           2
        .value_kind:     hidden_remainder_x
      - .offset:         44
        .size:           2
        .value_kind:     hidden_remainder_y
      - .offset:         46
        .size:           2
        .value_kind:     hidden_remainder_z
      - .offset:         64
        .size:           8
        .value_kind:     hidden_global_offset_x
      - .offset:         72
        .size:           8
        .value_kind:     hidden_global_offset_y
      - .offset:         80
        .size:           8
        .value_kind:     hidden_global_offset_z
      - .offset:         88
        .size:           2
        .value_kind:     hidden_grid_dims
    .group_segment_fixed_size: 0
    .kernarg_segment_align: 8
    .kernarg_segment_size: 280
    .language:       OpenCL C
    .language_version:
      - 2
      - 0
    .max_flat_workgroup_size: 1024
    .name:           _ZL16dequantize_blockILi32ELi1EXadL_ZL15dequantize_q8_0PKviiR7__half2EEfEvS1_PT2_i
    .private_segment_fixed_size: 0
    .sgpr_count:     11
    .sgpr_spill_count: 0
    .symbol:         _ZL16dequantize_blockILi32ELi1EXadL_ZL15dequantize_q8_0PKviiR7__half2EEfEvS1_PT2_i.kd
    .uniform_work_group_size: 1
    .uses_dynamic_stack: false
    .vgpr_count:     8
    .vgpr_spill_count: 0
    .wavefront_size: 64
  - .agpr_count:     0
    .args:
      - .actual_access:  read_only
        .address_space:  global
        .offset:         0
        .size:           8
        .value_kind:     global_buffer
      - .actual_access:  write_only
        .address_space:  global
        .offset:         8
        .size:           8
        .value_kind:     global_buffer
    .group_segment_fixed_size: 0
    .kernarg_segment_align: 8
    .kernarg_segment_size: 16
    .language:       OpenCL C
    .language_version:
      - 2
      - 0
    .max_flat_workgroup_size: 1024
    .name:           _ZL21dequantize_block_q2_KIfEvPKvPT_
    .private_segment_fixed_size: 0
    .sgpr_count:     14
    .sgpr_spill_count: 0
    .symbol:         _ZL21dequantize_block_q2_KIfEvPKvPT_.kd
    .uniform_work_group_size: 1
    .uses_dynamic_stack: false
    .vgpr_count:     14
    .vgpr_spill_count: 0
    .wavefront_size: 64
  - .agpr_count:     0
    .args:
      - .actual_access:  read_only
        .address_space:  global
        .offset:         0
        .size:           8
        .value_kind:     global_buffer
      - .actual_access:  write_only
        .address_space:  global
        .offset:         8
        .size:           8
        .value_kind:     global_buffer
    .group_segment_fixed_size: 0
    .kernarg_segment_align: 8
    .kernarg_segment_size: 16
    .language:       OpenCL C
    .language_version:
      - 2
      - 0
    .max_flat_workgroup_size: 1024
    .name:           _ZL21dequantize_block_q3_KIfEvPKvPT_
    .private_segment_fixed_size: 0
    .sgpr_count:     22
    .sgpr_spill_count: 0
    .symbol:         _ZL21dequantize_block_q3_KIfEvPKvPT_.kd
    .uniform_work_group_size: 1
    .uses_dynamic_stack: false
    .vgpr_count:     20
    .vgpr_spill_count: 0
    .wavefront_size: 64
  - .agpr_count:     0
    .args:
      - .actual_access:  read_only
        .address_space:  global
        .offset:         0
        .size:           8
        .value_kind:     global_buffer
      - .actual_access:  write_only
        .address_space:  global
        .offset:         8
        .size:           8
        .value_kind:     global_buffer
    .group_segment_fixed_size: 0
    .kernarg_segment_align: 8
    .kernarg_segment_size: 16
    .language:       OpenCL C
    .language_version:
      - 2
      - 0
    .max_flat_workgroup_size: 1024
    .name:           _ZL21dequantize_block_q4_KIfEvPKvPT_
    .private_segment_fixed_size: 0
    .sgpr_count:     14
    .sgpr_spill_count: 0
    .symbol:         _ZL21dequantize_block_q4_KIfEvPKvPT_.kd
    .uniform_work_group_size: 1
    .uses_dynamic_stack: false
    .vgpr_count:     18
    .vgpr_spill_count: 0
    .wavefront_size: 64
  - .agpr_count:     0
    .args:
      - .actual_access:  read_only
        .address_space:  global
        .offset:         0
        .size:           8
        .value_kind:     global_buffer
      - .actual_access:  write_only
        .address_space:  global
        .offset:         8
        .size:           8
        .value_kind:     global_buffer
    .group_segment_fixed_size: 0
    .kernarg_segment_align: 8
    .kernarg_segment_size: 16
    .language:       OpenCL C
    .language_version:
      - 2
      - 0
    .max_flat_workgroup_size: 1024
    .name:           _ZL21dequantize_block_q5_KIfEvPKvPT_
    .private_segment_fixed_size: 0
    .sgpr_count:     14
    .sgpr_spill_count: 0
    .symbol:         _ZL21dequantize_block_q5_KIfEvPKvPT_.kd
    .uniform_work_group_size: 1
    .uses_dynamic_stack: false
    .vgpr_count:     17
    .vgpr_spill_count: 0
    .wavefront_size: 64
  - .agpr_count:     0
    .args:
      - .actual_access:  read_only
        .address_space:  global
        .offset:         0
        .size:           8
        .value_kind:     global_buffer
      - .actual_access:  write_only
        .address_space:  global
        .offset:         8
        .size:           8
        .value_kind:     global_buffer
    .group_segment_fixed_size: 0
    .kernarg_segment_align: 8
    .kernarg_segment_size: 16
    .language:       OpenCL C
    .language_version:
      - 2
      - 0
    .max_flat_workgroup_size: 1024
    .name:           _ZL21dequantize_block_q6_KIfEvPKvPT_
    .private_segment_fixed_size: 0
    .sgpr_count:     14
    .sgpr_spill_count: 0
    .symbol:         _ZL21dequantize_block_q6_KIfEvPKvPT_.kd
    .uniform_work_group_size: 1
    .uses_dynamic_stack: false
    .vgpr_count:     16
    .vgpr_spill_count: 0
    .wavefront_size: 64
  - .agpr_count:     0
    .args:
      - .actual_access:  read_only
        .address_space:  global
        .offset:         0
        .size:           8
        .value_kind:     global_buffer
      - .actual_access:  write_only
        .address_space:  global
        .offset:         8
        .size:           8
        .value_kind:     global_buffer
    .group_segment_fixed_size: 0
    .kernarg_segment_align: 8
    .kernarg_segment_size: 16
    .language:       OpenCL C
    .language_version:
      - 2
      - 0
    .max_flat_workgroup_size: 1024
    .name:           _ZL24dequantize_block_iq2_xxsIfEvPKvPT_
    .private_segment_fixed_size: 0
    .sgpr_count:     14
    .sgpr_spill_count: 0
    .symbol:         _ZL24dequantize_block_iq2_xxsIfEvPKvPT_.kd
    .uniform_work_group_size: 1
    .uses_dynamic_stack: false
    .vgpr_count:     21
    .vgpr_spill_count: 0
    .wavefront_size: 64
  - .agpr_count:     0
    .args:
      - .actual_access:  read_only
        .address_space:  global
        .offset:         0
        .size:           8
        .value_kind:     global_buffer
      - .actual_access:  write_only
        .address_space:  global
        .offset:         8
        .size:           8
        .value_kind:     global_buffer
    .group_segment_fixed_size: 0
    .kernarg_segment_align: 8
    .kernarg_segment_size: 16
    .language:       OpenCL C
    .language_version:
      - 2
      - 0
    .max_flat_workgroup_size: 1024
    .name:           _ZL23dequantize_block_iq2_xsIfEvPKvPT_
    .private_segment_fixed_size: 0
    .sgpr_count:     14
    .sgpr_spill_count: 0
    .symbol:         _ZL23dequantize_block_iq2_xsIfEvPKvPT_.kd
    .uniform_work_group_size: 1
    .uses_dynamic_stack: false
    .vgpr_count:     21
    .vgpr_spill_count: 0
    .wavefront_size: 64
  - .agpr_count:     0
    .args:
      - .actual_access:  read_only
        .address_space:  global
        .offset:         0
        .size:           8
        .value_kind:     global_buffer
      - .actual_access:  write_only
        .address_space:  global
        .offset:         8
        .size:           8
        .value_kind:     global_buffer
    .group_segment_fixed_size: 0
    .kernarg_segment_align: 8
    .kernarg_segment_size: 16
    .language:       OpenCL C
    .language_version:
      - 2
      - 0
    .max_flat_workgroup_size: 1024
    .name:           _ZL24dequantize_block_iq3_xxsIfEvPKvPT_
    .private_segment_fixed_size: 0
    .sgpr_count:     14
    .sgpr_spill_count: 0
    .symbol:         _ZL24dequantize_block_iq3_xxsIfEvPKvPT_.kd
    .uniform_work_group_size: 1
    .uses_dynamic_stack: false
    .vgpr_count:     21
    .vgpr_spill_count: 0
    .wavefront_size: 64
  - .agpr_count:     0
    .args:
      - .actual_access:  read_only
        .address_space:  global
        .offset:         0
        .size:           8
        .value_kind:     global_buffer
      - .actual_access:  write_only
        .address_space:  global
        .offset:         8
        .size:           8
        .value_kind:     global_buffer
    .group_segment_fixed_size: 0
    .kernarg_segment_align: 8
    .kernarg_segment_size: 16
    .language:       OpenCL C
    .language_version:
      - 2
      - 0
    .max_flat_workgroup_size: 1024
    .name:           _ZL22dequantize_block_iq1_sIfEvPKvPT_
    .private_segment_fixed_size: 0
    .sgpr_count:     14
    .sgpr_spill_count: 0
    .symbol:         _ZL22dequantize_block_iq1_sIfEvPKvPT_.kd
    .uniform_work_group_size: 1
    .uses_dynamic_stack: false
    .vgpr_count:     15
    .vgpr_spill_count: 0
    .wavefront_size: 64
  - .agpr_count:     0
    .args:
      - .actual_access:  read_only
        .address_space:  global
        .offset:         0
        .size:           8
        .value_kind:     global_buffer
      - .actual_access:  write_only
        .address_space:  global
        .offset:         8
        .size:           8
        .value_kind:     global_buffer
    .group_segment_fixed_size: 0
    .kernarg_segment_align: 8
    .kernarg_segment_size: 16
    .language:       OpenCL C
    .language_version:
      - 2
      - 0
    .max_flat_workgroup_size: 1024
    .name:           _ZL23dequantize_block_iq4_nlIfEvPKvPT_
    .private_segment_fixed_size: 0
    .sgpr_count:     14
    .sgpr_spill_count: 0
    .symbol:         _ZL23dequantize_block_iq4_nlIfEvPKvPT_.kd
    .uniform_work_group_size: 1
    .uses_dynamic_stack: false
    .vgpr_count:     24
    .vgpr_spill_count: 0
    .wavefront_size: 64
  - .agpr_count:     0
    .args:
      - .actual_access:  read_only
        .address_space:  global
        .offset:         0
        .size:           8
        .value_kind:     global_buffer
      - .actual_access:  write_only
        .address_space:  global
        .offset:         8
        .size:           8
        .value_kind:     global_buffer
    .group_segment_fixed_size: 0
    .kernarg_segment_align: 8
    .kernarg_segment_size: 16
    .language:       OpenCL C
    .language_version:
      - 2
      - 0
    .max_flat_workgroup_size: 1024
    .name:           _ZL22dequantize_block_iq3_sIfEvPKvPT_
    .private_segment_fixed_size: 0
    .sgpr_count:     14
    .sgpr_spill_count: 0
    .symbol:         _ZL22dequantize_block_iq3_sIfEvPKvPT_.kd
    .uniform_work_group_size: 1
    .uses_dynamic_stack: false
    .vgpr_count:     20
    .vgpr_spill_count: 0
    .wavefront_size: 64
  - .agpr_count:     0
    .args:
      - .actual_access:  read_only
        .address_space:  global
        .offset:         0
        .size:           8
        .value_kind:     global_buffer
      - .actual_access:  write_only
        .address_space:  global
        .offset:         8
        .size:           8
        .value_kind:     global_buffer
    .group_segment_fixed_size: 0
    .kernarg_segment_align: 8
    .kernarg_segment_size: 16
    .language:       OpenCL C
    .language_version:
      - 2
      - 0
    .max_flat_workgroup_size: 1024
    .name:           _ZL22dequantize_block_iq2_sIfEvPKvPT_
    .private_segment_fixed_size: 0
    .sgpr_count:     14
    .sgpr_spill_count: 0
    .symbol:         _ZL22dequantize_block_iq2_sIfEvPKvPT_.kd
    .uniform_work_group_size: 1
    .uses_dynamic_stack: false
    .vgpr_count:     20
    .vgpr_spill_count: 0
    .wavefront_size: 64
  - .agpr_count:     0
    .args:
      - .actual_access:  read_only
        .address_space:  global
        .offset:         0
        .size:           8
        .value_kind:     global_buffer
      - .actual_access:  write_only
        .address_space:  global
        .offset:         8
        .size:           8
        .value_kind:     global_buffer
    .group_segment_fixed_size: 0
    .kernarg_segment_align: 8
    .kernarg_segment_size: 16
    .language:       OpenCL C
    .language_version:
      - 2
      - 0
    .max_flat_workgroup_size: 1024
    .name:           _ZL23dequantize_block_iq4_xsIfEvPKvPT_
    .private_segment_fixed_size: 0
    .sgpr_count:     16
    .sgpr_spill_count: 0
    .symbol:         _ZL23dequantize_block_iq4_xsIfEvPKvPT_.kd
    .uniform_work_group_size: 1
    .uses_dynamic_stack: false
    .vgpr_count:     26
    .vgpr_spill_count: 0
    .wavefront_size: 64
  - .agpr_count:     0
    .args:
      - .actual_access:  read_only
        .address_space:  global
        .offset:         0
        .size:           8
        .value_kind:     global_buffer
      - .actual_access:  write_only
        .address_space:  global
        .offset:         8
        .size:           8
        .value_kind:     global_buffer
    .group_segment_fixed_size: 0
    .kernarg_segment_align: 8
    .kernarg_segment_size: 16
    .language:       OpenCL C
    .language_version:
      - 2
      - 0
    .max_flat_workgroup_size: 1024
    .name:           _ZL22dequantize_block_iq1_mIfEvPKvPT_
    .private_segment_fixed_size: 0
    .sgpr_count:     14
    .sgpr_spill_count: 0
    .symbol:         _ZL22dequantize_block_iq1_mIfEvPKvPT_.kd
    .uniform_work_group_size: 1
    .uses_dynamic_stack: false
    .vgpr_count:     15
    .vgpr_spill_count: 0
    .wavefront_size: 64
  - .agpr_count:     0
    .args:
      - .actual_access:  read_only
        .address_space:  global
        .offset:         0
        .size:           8
        .value_kind:     global_buffer
      - .actual_access:  write_only
        .address_space:  global
        .offset:         8
        .size:           8
        .value_kind:     global_buffer
      - .offset:         16
        .size:           4
        .value_kind:     by_value
      - .offset:         24
        .size:           4
        .value_kind:     hidden_block_count_x
      - .offset:         28
        .size:           4
        .value_kind:     hidden_block_count_y
      - .offset:         32
        .size:           4
        .value_kind:     hidden_block_count_z
      - .offset:         36
        .size:           2
        .value_kind:     hidden_group_size_x
      - .offset:         38
        .size:           2
        .value_kind:     hidden_group_size_y
      - .offset:         40
        .size:           2
        .value_kind:     hidden_group_size_z
      - .offset:         42
        .size:           2
        .value_kind:     hidden_remainder_x
      - .offset:         44
        .size:           2
        .value_kind:     hidden_remainder_y
      - .offset:         46
        .size:           2
        .value_kind:     hidden_remainder_z
      - .offset:         64
        .size:           8
        .value_kind:     hidden_global_offset_x
      - .offset:         72
        .size:           8
        .value_kind:     hidden_global_offset_y
      - .offset:         80
        .size:           8
        .value_kind:     hidden_global_offset_z
      - .offset:         88
        .size:           2
        .value_kind:     hidden_grid_dims
    .group_segment_fixed_size: 0
    .kernarg_segment_align: 8
    .kernarg_segment_size: 280
    .language:       OpenCL C
    .language_version:
      - 2
      - 0
    .max_flat_workgroup_size: 1024
    .name:           _ZL16dequantize_blockILi32ELi2EXadL_ZL15dequantize_q4_0PKviiR7__half2EEN3c104HalfEEvS1_PT2_i
    .private_segment_fixed_size: 0
    .sgpr_count:     11
    .sgpr_spill_count: 0
    .symbol:         _ZL16dequantize_blockILi32ELi2EXadL_ZL15dequantize_q4_0PKviiR7__half2EEN3c104HalfEEvS1_PT2_i.kd
    .uniform_work_group_size: 1
    .uses_dynamic_stack: false
    .vgpr_count:     8
    .vgpr_spill_count: 0
    .wavefront_size: 64
  - .agpr_count:     0
    .args:
      - .actual_access:  read_only
        .address_space:  global
        .offset:         0
        .size:           8
        .value_kind:     global_buffer
      - .actual_access:  write_only
        .address_space:  global
        .offset:         8
        .size:           8
        .value_kind:     global_buffer
      - .offset:         16
        .size:           4
        .value_kind:     by_value
      - .offset:         24
        .size:           4
        .value_kind:     hidden_block_count_x
      - .offset:         28
        .size:           4
        .value_kind:     hidden_block_count_y
      - .offset:         32
        .size:           4
        .value_kind:     hidden_block_count_z
      - .offset:         36
        .size:           2
        .value_kind:     hidden_group_size_x
      - .offset:         38
        .size:           2
        .value_kind:     hidden_group_size_y
      - .offset:         40
        .size:           2
        .value_kind:     hidden_group_size_z
      - .offset:         42
        .size:           2
        .value_kind:     hidden_remainder_x
      - .offset:         44
        .size:           2
        .value_kind:     hidden_remainder_y
      - .offset:         46
        .size:           2
        .value_kind:     hidden_remainder_z
      - .offset:         64
        .size:           8
        .value_kind:     hidden_global_offset_x
      - .offset:         72
        .size:           8
        .value_kind:     hidden_global_offset_y
      - .offset:         80
        .size:           8
        .value_kind:     hidden_global_offset_z
      - .offset:         88
        .size:           2
        .value_kind:     hidden_grid_dims
    .group_segment_fixed_size: 0
    .kernarg_segment_align: 8
    .kernarg_segment_size: 280
    .language:       OpenCL C
    .language_version:
      - 2
      - 0
    .max_flat_workgroup_size: 1024
    .name:           _ZL16dequantize_blockILi32ELi2EXadL_ZL15dequantize_q4_1PKviiR7__half2EEN3c104HalfEEvS1_PT2_i
    .private_segment_fixed_size: 0
    .sgpr_count:     11
    .sgpr_spill_count: 0
    .symbol:         _ZL16dequantize_blockILi32ELi2EXadL_ZL15dequantize_q4_1PKviiR7__half2EEN3c104HalfEEvS1_PT2_i.kd
    .uniform_work_group_size: 1
    .uses_dynamic_stack: false
    .vgpr_count:     8
    .vgpr_spill_count: 0
    .wavefront_size: 64
  - .agpr_count:     0
    .args:
      - .actual_access:  read_only
        .address_space:  global
        .offset:         0
        .size:           8
        .value_kind:     global_buffer
      - .actual_access:  write_only
        .address_space:  global
        .offset:         8
        .size:           8
        .value_kind:     global_buffer
      - .offset:         16
        .size:           4
        .value_kind:     by_value
      - .offset:         24
        .size:           4
        .value_kind:     hidden_block_count_x
      - .offset:         28
        .size:           4
        .value_kind:     hidden_block_count_y
      - .offset:         32
        .size:           4
        .value_kind:     hidden_block_count_z
      - .offset:         36
        .size:           2
        .value_kind:     hidden_group_size_x
      - .offset:         38
        .size:           2
        .value_kind:     hidden_group_size_y
      - .offset:         40
        .size:           2
        .value_kind:     hidden_group_size_z
      - .offset:         42
        .size:           2
        .value_kind:     hidden_remainder_x
      - .offset:         44
        .size:           2
        .value_kind:     hidden_remainder_y
      - .offset:         46
        .size:           2
        .value_kind:     hidden_remainder_z
      - .offset:         64
        .size:           8
        .value_kind:     hidden_global_offset_x
      - .offset:         72
        .size:           8
        .value_kind:     hidden_global_offset_y
      - .offset:         80
        .size:           8
        .value_kind:     hidden_global_offset_z
      - .offset:         88
        .size:           2
        .value_kind:     hidden_grid_dims
    .group_segment_fixed_size: 0
    .kernarg_segment_align: 8
    .kernarg_segment_size: 280
    .language:       OpenCL C
    .language_version:
      - 2
      - 0
    .max_flat_workgroup_size: 1024
    .name:           _ZL16dequantize_blockILi32ELi2EXadL_ZL15dequantize_q5_0PKviiR7__half2EEN3c104HalfEEvS1_PT2_i
    .private_segment_fixed_size: 0
    .sgpr_count:     11
    .sgpr_spill_count: 0
    .symbol:         _ZL16dequantize_blockILi32ELi2EXadL_ZL15dequantize_q5_0PKviiR7__half2EEN3c104HalfEEvS1_PT2_i.kd
    .uniform_work_group_size: 1
    .uses_dynamic_stack: false
    .vgpr_count:     7
    .vgpr_spill_count: 0
    .wavefront_size: 64
  - .agpr_count:     0
    .args:
      - .actual_access:  read_only
        .address_space:  global
        .offset:         0
        .size:           8
        .value_kind:     global_buffer
      - .actual_access:  write_only
        .address_space:  global
        .offset:         8
        .size:           8
        .value_kind:     global_buffer
      - .offset:         16
        .size:           4
        .value_kind:     by_value
      - .offset:         24
        .size:           4
        .value_kind:     hidden_block_count_x
      - .offset:         28
        .size:           4
        .value_kind:     hidden_block_count_y
      - .offset:         32
        .size:           4
        .value_kind:     hidden_block_count_z
      - .offset:         36
        .size:           2
        .value_kind:     hidden_group_size_x
      - .offset:         38
        .size:           2
        .value_kind:     hidden_group_size_y
      - .offset:         40
        .size:           2
        .value_kind:     hidden_group_size_z
      - .offset:         42
        .size:           2
        .value_kind:     hidden_remainder_x
      - .offset:         44
        .size:           2
        .value_kind:     hidden_remainder_y
      - .offset:         46
        .size:           2
        .value_kind:     hidden_remainder_z
      - .offset:         64
        .size:           8
        .value_kind:     hidden_global_offset_x
      - .offset:         72
        .size:           8
        .value_kind:     hidden_global_offset_y
      - .offset:         80
        .size:           8
        .value_kind:     hidden_global_offset_z
      - .offset:         88
        .size:           2
        .value_kind:     hidden_grid_dims
    .group_segment_fixed_size: 0
    .kernarg_segment_align: 8
    .kernarg_segment_size: 280
    .language:       OpenCL C
    .language_version:
      - 2
      - 0
    .max_flat_workgroup_size: 1024
    .name:           _ZL16dequantize_blockILi32ELi2EXadL_ZL15dequantize_q5_1PKviiR7__half2EEN3c104HalfEEvS1_PT2_i
    .private_segment_fixed_size: 0
    .sgpr_count:     11
    .sgpr_spill_count: 0
    .symbol:         _ZL16dequantize_blockILi32ELi2EXadL_ZL15dequantize_q5_1PKviiR7__half2EEN3c104HalfEEvS1_PT2_i.kd
    .uniform_work_group_size: 1
    .uses_dynamic_stack: false
    .vgpr_count:     10
    .vgpr_spill_count: 0
    .wavefront_size: 64
  - .agpr_count:     0
    .args:
      - .actual_access:  read_only
        .address_space:  global
        .offset:         0
        .size:           8
        .value_kind:     global_buffer
      - .actual_access:  write_only
        .address_space:  global
        .offset:         8
        .size:           8
        .value_kind:     global_buffer
      - .offset:         16
        .size:           4
        .value_kind:     by_value
      - .offset:         24
        .size:           4
        .value_kind:     hidden_block_count_x
      - .offset:         28
        .size:           4
        .value_kind:     hidden_block_count_y
      - .offset:         32
        .size:           4
        .value_kind:     hidden_block_count_z
      - .offset:         36
        .size:           2
        .value_kind:     hidden_group_size_x
      - .offset:         38
        .size:           2
        .value_kind:     hidden_group_size_y
      - .offset:         40
        .size:           2
        .value_kind:     hidden_group_size_z
      - .offset:         42
        .size:           2
        .value_kind:     hidden_remainder_x
      - .offset:         44
        .size:           2
        .value_kind:     hidden_remainder_y
      - .offset:         46
        .size:           2
        .value_kind:     hidden_remainder_z
      - .offset:         64
        .size:           8
        .value_kind:     hidden_global_offset_x
      - .offset:         72
        .size:           8
        .value_kind:     hidden_global_offset_y
      - .offset:         80
        .size:           8
        .value_kind:     hidden_global_offset_z
      - .offset:         88
        .size:           2
        .value_kind:     hidden_grid_dims
    .group_segment_fixed_size: 0
    .kernarg_segment_align: 8
    .kernarg_segment_size: 280
    .language:       OpenCL C
    .language_version:
      - 2
      - 0
    .max_flat_workgroup_size: 1024
    .name:           _ZL16dequantize_blockILi32ELi1EXadL_ZL15dequantize_q8_0PKviiR7__half2EEN3c104HalfEEvS1_PT2_i
    .private_segment_fixed_size: 0
    .sgpr_count:     11
    .sgpr_spill_count: 0
    .symbol:         _ZL16dequantize_blockILi32ELi1EXadL_ZL15dequantize_q8_0PKviiR7__half2EEN3c104HalfEEvS1_PT2_i.kd
    .uniform_work_group_size: 1
    .uses_dynamic_stack: false
    .vgpr_count:     8
    .vgpr_spill_count: 0
    .wavefront_size: 64
  - .agpr_count:     0
    .args:
      - .actual_access:  read_only
        .address_space:  global
        .offset:         0
        .size:           8
        .value_kind:     global_buffer
      - .actual_access:  write_only
        .address_space:  global
        .offset:         8
        .size:           8
        .value_kind:     global_buffer
    .group_segment_fixed_size: 0
    .kernarg_segment_align: 8
    .kernarg_segment_size: 16
    .language:       OpenCL C
    .language_version:
      - 2
      - 0
    .max_flat_workgroup_size: 1024
    .name:           _ZL21dequantize_block_q2_KIN3c104HalfEEvPKvPT_
    .private_segment_fixed_size: 0
    .sgpr_count:     14
    .sgpr_spill_count: 0
    .symbol:         _ZL21dequantize_block_q2_KIN3c104HalfEEvPKvPT_.kd
    .uniform_work_group_size: 1
    .uses_dynamic_stack: false
    .vgpr_count:     14
    .vgpr_spill_count: 0
    .wavefront_size: 64
  - .agpr_count:     0
    .args:
      - .actual_access:  read_only
        .address_space:  global
        .offset:         0
        .size:           8
        .value_kind:     global_buffer
      - .actual_access:  write_only
        .address_space:  global
        .offset:         8
        .size:           8
        .value_kind:     global_buffer
    .group_segment_fixed_size: 0
    .kernarg_segment_align: 8
    .kernarg_segment_size: 16
    .language:       OpenCL C
    .language_version:
      - 2
      - 0
    .max_flat_workgroup_size: 1024
    .name:           _ZL21dequantize_block_q3_KIN3c104HalfEEvPKvPT_
    .private_segment_fixed_size: 0
    .sgpr_count:     22
    .sgpr_spill_count: 0
    .symbol:         _ZL21dequantize_block_q3_KIN3c104HalfEEvPKvPT_.kd
    .uniform_work_group_size: 1
    .uses_dynamic_stack: false
    .vgpr_count:     20
    .vgpr_spill_count: 0
    .wavefront_size: 64
  - .agpr_count:     0
    .args:
      - .actual_access:  read_only
        .address_space:  global
        .offset:         0
        .size:           8
        .value_kind:     global_buffer
      - .actual_access:  write_only
        .address_space:  global
        .offset:         8
        .size:           8
        .value_kind:     global_buffer
    .group_segment_fixed_size: 0
    .kernarg_segment_align: 8
    .kernarg_segment_size: 16
    .language:       OpenCL C
    .language_version:
      - 2
      - 0
    .max_flat_workgroup_size: 1024
    .name:           _ZL21dequantize_block_q4_KIN3c104HalfEEvPKvPT_
    .private_segment_fixed_size: 0
    .sgpr_count:     14
    .sgpr_spill_count: 0
    .symbol:         _ZL21dequantize_block_q4_KIN3c104HalfEEvPKvPT_.kd
    .uniform_work_group_size: 1
    .uses_dynamic_stack: false
    .vgpr_count:     15
    .vgpr_spill_count: 0
    .wavefront_size: 64
  - .agpr_count:     0
    .args:
      - .actual_access:  read_only
        .address_space:  global
        .offset:         0
        .size:           8
        .value_kind:     global_buffer
      - .actual_access:  write_only
        .address_space:  global
        .offset:         8
        .size:           8
        .value_kind:     global_buffer
    .group_segment_fixed_size: 0
    .kernarg_segment_align: 8
    .kernarg_segment_size: 16
    .language:       OpenCL C
    .language_version:
      - 2
      - 0
    .max_flat_workgroup_size: 1024
    .name:           _ZL21dequantize_block_q5_KIN3c104HalfEEvPKvPT_
    .private_segment_fixed_size: 0
    .sgpr_count:     14
    .sgpr_spill_count: 0
    .symbol:         _ZL21dequantize_block_q5_KIN3c104HalfEEvPKvPT_.kd
    .uniform_work_group_size: 1
    .uses_dynamic_stack: false
    .vgpr_count:     15
    .vgpr_spill_count: 0
    .wavefront_size: 64
  - .agpr_count:     0
    .args:
      - .actual_access:  read_only
        .address_space:  global
        .offset:         0
        .size:           8
        .value_kind:     global_buffer
      - .actual_access:  write_only
        .address_space:  global
        .offset:         8
        .size:           8
        .value_kind:     global_buffer
    .group_segment_fixed_size: 0
    .kernarg_segment_align: 8
    .kernarg_segment_size: 16
    .language:       OpenCL C
    .language_version:
      - 2
      - 0
    .max_flat_workgroup_size: 1024
    .name:           _ZL21dequantize_block_q6_KIN3c104HalfEEvPKvPT_
    .private_segment_fixed_size: 0
    .sgpr_count:     14
    .sgpr_spill_count: 0
    .symbol:         _ZL21dequantize_block_q6_KIN3c104HalfEEvPKvPT_.kd
    .uniform_work_group_size: 1
    .uses_dynamic_stack: false
    .vgpr_count:     16
    .vgpr_spill_count: 0
    .wavefront_size: 64
  - .agpr_count:     0
    .args:
      - .actual_access:  read_only
        .address_space:  global
        .offset:         0
        .size:           8
        .value_kind:     global_buffer
      - .actual_access:  write_only
        .address_space:  global
        .offset:         8
        .size:           8
        .value_kind:     global_buffer
    .group_segment_fixed_size: 0
    .kernarg_segment_align: 8
    .kernarg_segment_size: 16
    .language:       OpenCL C
    .language_version:
      - 2
      - 0
    .max_flat_workgroup_size: 1024
    .name:           _ZL24dequantize_block_iq2_xxsIN3c104HalfEEvPKvPT_
    .private_segment_fixed_size: 0
    .sgpr_count:     14
    .sgpr_spill_count: 0
    .symbol:         _ZL24dequantize_block_iq2_xxsIN3c104HalfEEvPKvPT_.kd
    .uniform_work_group_size: 1
    .uses_dynamic_stack: false
    .vgpr_count:     19
    .vgpr_spill_count: 0
    .wavefront_size: 64
  - .agpr_count:     0
    .args:
      - .actual_access:  read_only
        .address_space:  global
        .offset:         0
        .size:           8
        .value_kind:     global_buffer
      - .actual_access:  write_only
        .address_space:  global
        .offset:         8
        .size:           8
        .value_kind:     global_buffer
    .group_segment_fixed_size: 0
    .kernarg_segment_align: 8
    .kernarg_segment_size: 16
    .language:       OpenCL C
    .language_version:
      - 2
      - 0
    .max_flat_workgroup_size: 1024
    .name:           _ZL23dequantize_block_iq2_xsIN3c104HalfEEvPKvPT_
    .private_segment_fixed_size: 0
    .sgpr_count:     14
    .sgpr_spill_count: 0
    .symbol:         _ZL23dequantize_block_iq2_xsIN3c104HalfEEvPKvPT_.kd
    .uniform_work_group_size: 1
    .uses_dynamic_stack: false
    .vgpr_count:     19
    .vgpr_spill_count: 0
    .wavefront_size: 64
  - .agpr_count:     0
    .args:
      - .actual_access:  read_only
        .address_space:  global
        .offset:         0
        .size:           8
        .value_kind:     global_buffer
      - .actual_access:  write_only
        .address_space:  global
        .offset:         8
        .size:           8
        .value_kind:     global_buffer
    .group_segment_fixed_size: 0
    .kernarg_segment_align: 8
    .kernarg_segment_size: 16
    .language:       OpenCL C
    .language_version:
      - 2
      - 0
    .max_flat_workgroup_size: 1024
    .name:           _ZL24dequantize_block_iq3_xxsIN3c104HalfEEvPKvPT_
    .private_segment_fixed_size: 0
    .sgpr_count:     14
    .sgpr_spill_count: 0
    .symbol:         _ZL24dequantize_block_iq3_xxsIN3c104HalfEEvPKvPT_.kd
    .uniform_work_group_size: 1
    .uses_dynamic_stack: false
    .vgpr_count:     19
    .vgpr_spill_count: 0
    .wavefront_size: 64
  - .agpr_count:     0
    .args:
      - .actual_access:  read_only
        .address_space:  global
        .offset:         0
        .size:           8
        .value_kind:     global_buffer
      - .actual_access:  write_only
        .address_space:  global
        .offset:         8
        .size:           8
        .value_kind:     global_buffer
    .group_segment_fixed_size: 0
    .kernarg_segment_align: 8
    .kernarg_segment_size: 16
    .language:       OpenCL C
    .language_version:
      - 2
      - 0
    .max_flat_workgroup_size: 1024
    .name:           _ZL22dequantize_block_iq1_sIN3c104HalfEEvPKvPT_
    .private_segment_fixed_size: 0
    .sgpr_count:     14
    .sgpr_spill_count: 0
    .symbol:         _ZL22dequantize_block_iq1_sIN3c104HalfEEvPKvPT_.kd
    .uniform_work_group_size: 1
    .uses_dynamic_stack: false
    .vgpr_count:     15
    .vgpr_spill_count: 0
    .wavefront_size: 64
  - .agpr_count:     0
    .args:
      - .actual_access:  read_only
        .address_space:  global
        .offset:         0
        .size:           8
        .value_kind:     global_buffer
      - .actual_access:  write_only
        .address_space:  global
        .offset:         8
        .size:           8
        .value_kind:     global_buffer
    .group_segment_fixed_size: 0
    .kernarg_segment_align: 8
    .kernarg_segment_size: 16
    .language:       OpenCL C
    .language_version:
      - 2
      - 0
    .max_flat_workgroup_size: 1024
    .name:           _ZL23dequantize_block_iq4_nlIN3c104HalfEEvPKvPT_
    .private_segment_fixed_size: 0
    .sgpr_count:     14
    .sgpr_spill_count: 0
    .symbol:         _ZL23dequantize_block_iq4_nlIN3c104HalfEEvPKvPT_.kd
    .uniform_work_group_size: 1
    .uses_dynamic_stack: false
    .vgpr_count:     21
    .vgpr_spill_count: 0
    .wavefront_size: 64
  - .agpr_count:     0
    .args:
      - .actual_access:  read_only
        .address_space:  global
        .offset:         0
        .size:           8
        .value_kind:     global_buffer
      - .actual_access:  write_only
        .address_space:  global
        .offset:         8
        .size:           8
        .value_kind:     global_buffer
    .group_segment_fixed_size: 0
    .kernarg_segment_align: 8
    .kernarg_segment_size: 16
    .language:       OpenCL C
    .language_version:
      - 2
      - 0
    .max_flat_workgroup_size: 1024
    .name:           _ZL22dequantize_block_iq3_sIN3c104HalfEEvPKvPT_
    .private_segment_fixed_size: 0
    .sgpr_count:     14
    .sgpr_spill_count: 0
    .symbol:         _ZL22dequantize_block_iq3_sIN3c104HalfEEvPKvPT_.kd
    .uniform_work_group_size: 1
    .uses_dynamic_stack: false
    .vgpr_count:     19
    .vgpr_spill_count: 0
    .wavefront_size: 64
  - .agpr_count:     0
    .args:
      - .actual_access:  read_only
        .address_space:  global
        .offset:         0
        .size:           8
        .value_kind:     global_buffer
      - .actual_access:  write_only
        .address_space:  global
        .offset:         8
        .size:           8
        .value_kind:     global_buffer
    .group_segment_fixed_size: 0
    .kernarg_segment_align: 8
    .kernarg_segment_size: 16
    .language:       OpenCL C
    .language_version:
      - 2
      - 0
    .max_flat_workgroup_size: 1024
    .name:           _ZL22dequantize_block_iq2_sIN3c104HalfEEvPKvPT_
    .private_segment_fixed_size: 0
    .sgpr_count:     14
    .sgpr_spill_count: 0
    .symbol:         _ZL22dequantize_block_iq2_sIN3c104HalfEEvPKvPT_.kd
    .uniform_work_group_size: 1
    .uses_dynamic_stack: false
    .vgpr_count:     19
    .vgpr_spill_count: 0
    .wavefront_size: 64
  - .agpr_count:     0
    .args:
      - .actual_access:  read_only
        .address_space:  global
        .offset:         0
        .size:           8
        .value_kind:     global_buffer
      - .actual_access:  write_only
        .address_space:  global
        .offset:         8
        .size:           8
        .value_kind:     global_buffer
    .group_segment_fixed_size: 0
    .kernarg_segment_align: 8
    .kernarg_segment_size: 16
    .language:       OpenCL C
    .language_version:
      - 2
      - 0
    .max_flat_workgroup_size: 1024
    .name:           _ZL23dequantize_block_iq4_xsIN3c104HalfEEvPKvPT_
    .private_segment_fixed_size: 0
    .sgpr_count:     16
    .sgpr_spill_count: 0
    .symbol:         _ZL23dequantize_block_iq4_xsIN3c104HalfEEvPKvPT_.kd
    .uniform_work_group_size: 1
    .uses_dynamic_stack: false
    .vgpr_count:     23
    .vgpr_spill_count: 0
    .wavefront_size: 64
  - .agpr_count:     0
    .args:
      - .actual_access:  read_only
        .address_space:  global
        .offset:         0
        .size:           8
        .value_kind:     global_buffer
      - .actual_access:  write_only
        .address_space:  global
        .offset:         8
        .size:           8
        .value_kind:     global_buffer
    .group_segment_fixed_size: 0
    .kernarg_segment_align: 8
    .kernarg_segment_size: 16
    .language:       OpenCL C
    .language_version:
      - 2
      - 0
    .max_flat_workgroup_size: 1024
    .name:           _ZL22dequantize_block_iq1_mIN3c104HalfEEvPKvPT_
    .private_segment_fixed_size: 0
    .sgpr_count:     14
    .sgpr_spill_count: 0
    .symbol:         _ZL22dequantize_block_iq1_mIN3c104HalfEEvPKvPT_.kd
    .uniform_work_group_size: 1
    .uses_dynamic_stack: false
    .vgpr_count:     16
    .vgpr_spill_count: 0
    .wavefront_size: 64
  - .agpr_count:     0
    .args:
      - .actual_access:  read_only
        .address_space:  global
        .offset:         0
        .size:           8
        .value_kind:     global_buffer
      - .actual_access:  write_only
        .address_space:  global
        .offset:         8
        .size:           8
        .value_kind:     global_buffer
      - .offset:         16
        .size:           4
        .value_kind:     by_value
      - .offset:         24
        .size:           4
        .value_kind:     hidden_block_count_x
      - .offset:         28
        .size:           4
        .value_kind:     hidden_block_count_y
      - .offset:         32
        .size:           4
        .value_kind:     hidden_block_count_z
      - .offset:         36
        .size:           2
        .value_kind:     hidden_group_size_x
      - .offset:         38
        .size:           2
        .value_kind:     hidden_group_size_y
      - .offset:         40
        .size:           2
        .value_kind:     hidden_group_size_z
      - .offset:         42
        .size:           2
        .value_kind:     hidden_remainder_x
      - .offset:         44
        .size:           2
        .value_kind:     hidden_remainder_y
      - .offset:         46
        .size:           2
        .value_kind:     hidden_remainder_z
      - .offset:         64
        .size:           8
        .value_kind:     hidden_global_offset_x
      - .offset:         72
        .size:           8
        .value_kind:     hidden_global_offset_y
      - .offset:         80
        .size:           8
        .value_kind:     hidden_global_offset_z
      - .offset:         88
        .size:           2
        .value_kind:     hidden_grid_dims
    .group_segment_fixed_size: 0
    .kernarg_segment_align: 8
    .kernarg_segment_size: 280
    .language:       OpenCL C
    .language_version:
      - 2
      - 0
    .max_flat_workgroup_size: 1024
    .name:           _ZL16dequantize_blockILi32ELi2EXadL_ZL15dequantize_q4_0PKviiR7__half2EEN3c108BFloat16EEvS1_PT2_i
    .private_segment_fixed_size: 0
    .sgpr_count:     11
    .sgpr_spill_count: 0
    .symbol:         _ZL16dequantize_blockILi32ELi2EXadL_ZL15dequantize_q4_0PKviiR7__half2EEN3c108BFloat16EEvS1_PT2_i.kd
    .uniform_work_group_size: 1
    .uses_dynamic_stack: false
    .vgpr_count:     8
    .vgpr_spill_count: 0
    .wavefront_size: 64
  - .agpr_count:     0
    .args:
      - .actual_access:  read_only
        .address_space:  global
        .offset:         0
        .size:           8
        .value_kind:     global_buffer
      - .actual_access:  write_only
        .address_space:  global
        .offset:         8
        .size:           8
        .value_kind:     global_buffer
      - .offset:         16
        .size:           4
        .value_kind:     by_value
      - .offset:         24
        .size:           4
        .value_kind:     hidden_block_count_x
      - .offset:         28
        .size:           4
        .value_kind:     hidden_block_count_y
      - .offset:         32
        .size:           4
        .value_kind:     hidden_block_count_z
      - .offset:         36
        .size:           2
        .value_kind:     hidden_group_size_x
      - .offset:         38
        .size:           2
        .value_kind:     hidden_group_size_y
      - .offset:         40
        .size:           2
        .value_kind:     hidden_group_size_z
      - .offset:         42
        .size:           2
        .value_kind:     hidden_remainder_x
      - .offset:         44
        .size:           2
        .value_kind:     hidden_remainder_y
      - .offset:         46
        .size:           2
        .value_kind:     hidden_remainder_z
      - .offset:         64
        .size:           8
        .value_kind:     hidden_global_offset_x
      - .offset:         72
        .size:           8
        .value_kind:     hidden_global_offset_y
      - .offset:         80
        .size:           8
        .value_kind:     hidden_global_offset_z
      - .offset:         88
        .size:           2
        .value_kind:     hidden_grid_dims
    .group_segment_fixed_size: 0
    .kernarg_segment_align: 8
    .kernarg_segment_size: 280
    .language:       OpenCL C
    .language_version:
      - 2
      - 0
    .max_flat_workgroup_size: 1024
    .name:           _ZL16dequantize_blockILi32ELi2EXadL_ZL15dequantize_q4_1PKviiR7__half2EEN3c108BFloat16EEvS1_PT2_i
    .private_segment_fixed_size: 0
    .sgpr_count:     11
    .sgpr_spill_count: 0
    .symbol:         _ZL16dequantize_blockILi32ELi2EXadL_ZL15dequantize_q4_1PKviiR7__half2EEN3c108BFloat16EEvS1_PT2_i.kd
    .uniform_work_group_size: 1
    .uses_dynamic_stack: false
    .vgpr_count:     8
    .vgpr_spill_count: 0
    .wavefront_size: 64
  - .agpr_count:     0
    .args:
      - .actual_access:  read_only
        .address_space:  global
        .offset:         0
        .size:           8
        .value_kind:     global_buffer
      - .actual_access:  write_only
        .address_space:  global
        .offset:         8
        .size:           8
        .value_kind:     global_buffer
      - .offset:         16
        .size:           4
        .value_kind:     by_value
      - .offset:         24
        .size:           4
        .value_kind:     hidden_block_count_x
      - .offset:         28
        .size:           4
        .value_kind:     hidden_block_count_y
      - .offset:         32
        .size:           4
        .value_kind:     hidden_block_count_z
      - .offset:         36
        .size:           2
        .value_kind:     hidden_group_size_x
      - .offset:         38
        .size:           2
        .value_kind:     hidden_group_size_y
      - .offset:         40
        .size:           2
        .value_kind:     hidden_group_size_z
      - .offset:         42
        .size:           2
        .value_kind:     hidden_remainder_x
      - .offset:         44
        .size:           2
        .value_kind:     hidden_remainder_y
      - .offset:         46
        .size:           2
        .value_kind:     hidden_remainder_z
      - .offset:         64
        .size:           8
        .value_kind:     hidden_global_offset_x
      - .offset:         72
        .size:           8
        .value_kind:     hidden_global_offset_y
      - .offset:         80
        .size:           8
        .value_kind:     hidden_global_offset_z
      - .offset:         88
        .size:           2
        .value_kind:     hidden_grid_dims
    .group_segment_fixed_size: 0
    .kernarg_segment_align: 8
    .kernarg_segment_size: 280
    .language:       OpenCL C
    .language_version:
      - 2
      - 0
    .max_flat_workgroup_size: 1024
    .name:           _ZL16dequantize_blockILi32ELi2EXadL_ZL15dequantize_q5_0PKviiR7__half2EEN3c108BFloat16EEvS1_PT2_i
    .private_segment_fixed_size: 0
    .sgpr_count:     11
    .sgpr_spill_count: 0
    .symbol:         _ZL16dequantize_blockILi32ELi2EXadL_ZL15dequantize_q5_0PKviiR7__half2EEN3c108BFloat16EEvS1_PT2_i.kd
    .uniform_work_group_size: 1
    .uses_dynamic_stack: false
    .vgpr_count:     8
    .vgpr_spill_count: 0
    .wavefront_size: 64
  - .agpr_count:     0
    .args:
      - .actual_access:  read_only
        .address_space:  global
        .offset:         0
        .size:           8
        .value_kind:     global_buffer
      - .actual_access:  write_only
        .address_space:  global
        .offset:         8
        .size:           8
        .value_kind:     global_buffer
      - .offset:         16
        .size:           4
        .value_kind:     by_value
      - .offset:         24
        .size:           4
        .value_kind:     hidden_block_count_x
      - .offset:         28
        .size:           4
        .value_kind:     hidden_block_count_y
      - .offset:         32
        .size:           4
        .value_kind:     hidden_block_count_z
      - .offset:         36
        .size:           2
        .value_kind:     hidden_group_size_x
      - .offset:         38
        .size:           2
        .value_kind:     hidden_group_size_y
      - .offset:         40
        .size:           2
        .value_kind:     hidden_group_size_z
      - .offset:         42
        .size:           2
        .value_kind:     hidden_remainder_x
      - .offset:         44
        .size:           2
        .value_kind:     hidden_remainder_y
      - .offset:         46
        .size:           2
        .value_kind:     hidden_remainder_z
      - .offset:         64
        .size:           8
        .value_kind:     hidden_global_offset_x
      - .offset:         72
        .size:           8
        .value_kind:     hidden_global_offset_y
      - .offset:         80
        .size:           8
        .value_kind:     hidden_global_offset_z
      - .offset:         88
        .size:           2
        .value_kind:     hidden_grid_dims
    .group_segment_fixed_size: 0
    .kernarg_segment_align: 8
    .kernarg_segment_size: 280
    .language:       OpenCL C
    .language_version:
      - 2
      - 0
    .max_flat_workgroup_size: 1024
    .name:           _ZL16dequantize_blockILi32ELi2EXadL_ZL15dequantize_q5_1PKviiR7__half2EEN3c108BFloat16EEvS1_PT2_i
    .private_segment_fixed_size: 0
    .sgpr_count:     11
    .sgpr_spill_count: 0
    .symbol:         _ZL16dequantize_blockILi32ELi2EXadL_ZL15dequantize_q5_1PKviiR7__half2EEN3c108BFloat16EEvS1_PT2_i.kd
    .uniform_work_group_size: 1
    .uses_dynamic_stack: false
    .vgpr_count:     10
    .vgpr_spill_count: 0
    .wavefront_size: 64
  - .agpr_count:     0
    .args:
      - .actual_access:  read_only
        .address_space:  global
        .offset:         0
        .size:           8
        .value_kind:     global_buffer
      - .actual_access:  write_only
        .address_space:  global
        .offset:         8
        .size:           8
        .value_kind:     global_buffer
      - .offset:         16
        .size:           4
        .value_kind:     by_value
      - .offset:         24
        .size:           4
        .value_kind:     hidden_block_count_x
      - .offset:         28
        .size:           4
        .value_kind:     hidden_block_count_y
      - .offset:         32
        .size:           4
        .value_kind:     hidden_block_count_z
      - .offset:         36
        .size:           2
        .value_kind:     hidden_group_size_x
      - .offset:         38
        .size:           2
        .value_kind:     hidden_group_size_y
      - .offset:         40
        .size:           2
        .value_kind:     hidden_group_size_z
      - .offset:         42
        .size:           2
        .value_kind:     hidden_remainder_x
      - .offset:         44
        .size:           2
        .value_kind:     hidden_remainder_y
      - .offset:         46
        .size:           2
        .value_kind:     hidden_remainder_z
      - .offset:         64
        .size:           8
        .value_kind:     hidden_global_offset_x
      - .offset:         72
        .size:           8
        .value_kind:     hidden_global_offset_y
      - .offset:         80
        .size:           8
        .value_kind:     hidden_global_offset_z
      - .offset:         88
        .size:           2
        .value_kind:     hidden_grid_dims
    .group_segment_fixed_size: 0
    .kernarg_segment_align: 8
    .kernarg_segment_size: 280
    .language:       OpenCL C
    .language_version:
      - 2
      - 0
    .max_flat_workgroup_size: 1024
    .name:           _ZL16dequantize_blockILi32ELi1EXadL_ZL15dequantize_q8_0PKviiR7__half2EEN3c108BFloat16EEvS1_PT2_i
    .private_segment_fixed_size: 0
    .sgpr_count:     11
    .sgpr_spill_count: 0
    .symbol:         _ZL16dequantize_blockILi32ELi1EXadL_ZL15dequantize_q8_0PKviiR7__half2EEN3c108BFloat16EEvS1_PT2_i.kd
    .uniform_work_group_size: 1
    .uses_dynamic_stack: false
    .vgpr_count:     8
    .vgpr_spill_count: 0
    .wavefront_size: 64
  - .agpr_count:     0
    .args:
      - .actual_access:  read_only
        .address_space:  global
        .offset:         0
        .size:           8
        .value_kind:     global_buffer
      - .actual_access:  write_only
        .address_space:  global
        .offset:         8
        .size:           8
        .value_kind:     global_buffer
    .group_segment_fixed_size: 0
    .kernarg_segment_align: 8
    .kernarg_segment_size: 16
    .language:       OpenCL C
    .language_version:
      - 2
      - 0
    .max_flat_workgroup_size: 1024
    .name:           _ZL21dequantize_block_q2_KIN3c108BFloat16EEvPKvPT_
    .private_segment_fixed_size: 0
    .sgpr_count:     14
    .sgpr_spill_count: 0
    .symbol:         _ZL21dequantize_block_q2_KIN3c108BFloat16EEvPKvPT_.kd
    .uniform_work_group_size: 1
    .uses_dynamic_stack: false
    .vgpr_count:     15
    .vgpr_spill_count: 0
    .wavefront_size: 64
  - .agpr_count:     0
    .args:
      - .actual_access:  read_only
        .address_space:  global
        .offset:         0
        .size:           8
        .value_kind:     global_buffer
      - .actual_access:  write_only
        .address_space:  global
        .offset:         8
        .size:           8
        .value_kind:     global_buffer
    .group_segment_fixed_size: 0
    .kernarg_segment_align: 8
    .kernarg_segment_size: 16
    .language:       OpenCL C
    .language_version:
      - 2
      - 0
    .max_flat_workgroup_size: 1024
    .name:           _ZL21dequantize_block_q3_KIN3c108BFloat16EEvPKvPT_
    .private_segment_fixed_size: 0
    .sgpr_count:     22
    .sgpr_spill_count: 0
    .symbol:         _ZL21dequantize_block_q3_KIN3c108BFloat16EEvPKvPT_.kd
    .uniform_work_group_size: 1
    .uses_dynamic_stack: false
    .vgpr_count:     20
    .vgpr_spill_count: 0
    .wavefront_size: 64
  - .agpr_count:     0
    .args:
      - .actual_access:  read_only
        .address_space:  global
        .offset:         0
        .size:           8
        .value_kind:     global_buffer
      - .actual_access:  write_only
        .address_space:  global
        .offset:         8
        .size:           8
        .value_kind:     global_buffer
    .group_segment_fixed_size: 0
    .kernarg_segment_align: 8
    .kernarg_segment_size: 16
    .language:       OpenCL C
    .language_version:
      - 2
      - 0
    .max_flat_workgroup_size: 1024
    .name:           _ZL21dequantize_block_q4_KIN3c108BFloat16EEvPKvPT_
    .private_segment_fixed_size: 0
    .sgpr_count:     14
    .sgpr_spill_count: 0
    .symbol:         _ZL21dequantize_block_q4_KIN3c108BFloat16EEvPKvPT_.kd
    .uniform_work_group_size: 1
    .uses_dynamic_stack: false
    .vgpr_count:     18
    .vgpr_spill_count: 0
    .wavefront_size: 64
  - .agpr_count:     0
    .args:
      - .actual_access:  read_only
        .address_space:  global
        .offset:         0
        .size:           8
        .value_kind:     global_buffer
      - .actual_access:  write_only
        .address_space:  global
        .offset:         8
        .size:           8
        .value_kind:     global_buffer
    .group_segment_fixed_size: 0
    .kernarg_segment_align: 8
    .kernarg_segment_size: 16
    .language:       OpenCL C
    .language_version:
      - 2
      - 0
    .max_flat_workgroup_size: 1024
    .name:           _ZL21dequantize_block_q5_KIN3c108BFloat16EEvPKvPT_
    .private_segment_fixed_size: 0
    .sgpr_count:     14
    .sgpr_spill_count: 0
    .symbol:         _ZL21dequantize_block_q5_KIN3c108BFloat16EEvPKvPT_.kd
    .uniform_work_group_size: 1
    .uses_dynamic_stack: false
    .vgpr_count:     16
    .vgpr_spill_count: 0
    .wavefront_size: 64
  - .agpr_count:     0
    .args:
      - .actual_access:  read_only
        .address_space:  global
        .offset:         0
        .size:           8
        .value_kind:     global_buffer
      - .actual_access:  write_only
        .address_space:  global
        .offset:         8
        .size:           8
        .value_kind:     global_buffer
    .group_segment_fixed_size: 0
    .kernarg_segment_align: 8
    .kernarg_segment_size: 16
    .language:       OpenCL C
    .language_version:
      - 2
      - 0
    .max_flat_workgroup_size: 1024
    .name:           _ZL21dequantize_block_q6_KIN3c108BFloat16EEvPKvPT_
    .private_segment_fixed_size: 0
    .sgpr_count:     14
    .sgpr_spill_count: 0
    .symbol:         _ZL21dequantize_block_q6_KIN3c108BFloat16EEvPKvPT_.kd
    .uniform_work_group_size: 1
    .uses_dynamic_stack: false
    .vgpr_count:     17
    .vgpr_spill_count: 0
    .wavefront_size: 64
  - .agpr_count:     0
    .args:
      - .actual_access:  read_only
        .address_space:  global
        .offset:         0
        .size:           8
        .value_kind:     global_buffer
      - .actual_access:  write_only
        .address_space:  global
        .offset:         8
        .size:           8
        .value_kind:     global_buffer
    .group_segment_fixed_size: 0
    .kernarg_segment_align: 8
    .kernarg_segment_size: 16
    .language:       OpenCL C
    .language_version:
      - 2
      - 0
    .max_flat_workgroup_size: 1024
    .name:           _ZL24dequantize_block_iq2_xxsIN3c108BFloat16EEvPKvPT_
    .private_segment_fixed_size: 0
    .sgpr_count:     14
    .sgpr_spill_count: 0
    .symbol:         _ZL24dequantize_block_iq2_xxsIN3c108BFloat16EEvPKvPT_.kd
    .uniform_work_group_size: 1
    .uses_dynamic_stack: false
    .vgpr_count:     22
    .vgpr_spill_count: 0
    .wavefront_size: 64
  - .agpr_count:     0
    .args:
      - .actual_access:  read_only
        .address_space:  global
        .offset:         0
        .size:           8
        .value_kind:     global_buffer
      - .actual_access:  write_only
        .address_space:  global
        .offset:         8
        .size:           8
        .value_kind:     global_buffer
    .group_segment_fixed_size: 0
    .kernarg_segment_align: 8
    .kernarg_segment_size: 16
    .language:       OpenCL C
    .language_version:
      - 2
      - 0
    .max_flat_workgroup_size: 1024
    .name:           _ZL23dequantize_block_iq2_xsIN3c108BFloat16EEvPKvPT_
    .private_segment_fixed_size: 0
    .sgpr_count:     14
    .sgpr_spill_count: 0
    .symbol:         _ZL23dequantize_block_iq2_xsIN3c108BFloat16EEvPKvPT_.kd
    .uniform_work_group_size: 1
    .uses_dynamic_stack: false
    .vgpr_count:     22
    .vgpr_spill_count: 0
    .wavefront_size: 64
  - .agpr_count:     0
    .args:
      - .actual_access:  read_only
        .address_space:  global
        .offset:         0
        .size:           8
        .value_kind:     global_buffer
      - .actual_access:  write_only
        .address_space:  global
        .offset:         8
        .size:           8
        .value_kind:     global_buffer
    .group_segment_fixed_size: 0
    .kernarg_segment_align: 8
    .kernarg_segment_size: 16
    .language:       OpenCL C
    .language_version:
      - 2
      - 0
    .max_flat_workgroup_size: 1024
    .name:           _ZL24dequantize_block_iq3_xxsIN3c108BFloat16EEvPKvPT_
    .private_segment_fixed_size: 0
    .sgpr_count:     14
    .sgpr_spill_count: 0
    .symbol:         _ZL24dequantize_block_iq3_xxsIN3c108BFloat16EEvPKvPT_.kd
    .uniform_work_group_size: 1
    .uses_dynamic_stack: false
    .vgpr_count:     20
    .vgpr_spill_count: 0
    .wavefront_size: 64
  - .agpr_count:     0
    .args:
      - .actual_access:  read_only
        .address_space:  global
        .offset:         0
        .size:           8
        .value_kind:     global_buffer
      - .actual_access:  write_only
        .address_space:  global
        .offset:         8
        .size:           8
        .value_kind:     global_buffer
    .group_segment_fixed_size: 0
    .kernarg_segment_align: 8
    .kernarg_segment_size: 16
    .language:       OpenCL C
    .language_version:
      - 2
      - 0
    .max_flat_workgroup_size: 1024
    .name:           _ZL22dequantize_block_iq1_sIN3c108BFloat16EEvPKvPT_
    .private_segment_fixed_size: 0
    .sgpr_count:     14
    .sgpr_spill_count: 0
    .symbol:         _ZL22dequantize_block_iq1_sIN3c108BFloat16EEvPKvPT_.kd
    .uniform_work_group_size: 1
    .uses_dynamic_stack: false
    .vgpr_count:     19
    .vgpr_spill_count: 0
    .wavefront_size: 64
  - .agpr_count:     0
    .args:
      - .actual_access:  read_only
        .address_space:  global
        .offset:         0
        .size:           8
        .value_kind:     global_buffer
      - .actual_access:  write_only
        .address_space:  global
        .offset:         8
        .size:           8
        .value_kind:     global_buffer
    .group_segment_fixed_size: 0
    .kernarg_segment_align: 8
    .kernarg_segment_size: 16
    .language:       OpenCL C
    .language_version:
      - 2
      - 0
    .max_flat_workgroup_size: 1024
    .name:           _ZL23dequantize_block_iq4_nlIN3c108BFloat16EEvPKvPT_
    .private_segment_fixed_size: 0
    .sgpr_count:     14
    .sgpr_spill_count: 0
    .symbol:         _ZL23dequantize_block_iq4_nlIN3c108BFloat16EEvPKvPT_.kd
    .uniform_work_group_size: 1
    .uses_dynamic_stack: false
    .vgpr_count:     23
    .vgpr_spill_count: 0
    .wavefront_size: 64
  - .agpr_count:     0
    .args:
      - .actual_access:  read_only
        .address_space:  global
        .offset:         0
        .size:           8
        .value_kind:     global_buffer
      - .actual_access:  write_only
        .address_space:  global
        .offset:         8
        .size:           8
        .value_kind:     global_buffer
    .group_segment_fixed_size: 0
    .kernarg_segment_align: 8
    .kernarg_segment_size: 16
    .language:       OpenCL C
    .language_version:
      - 2
      - 0
    .max_flat_workgroup_size: 1024
    .name:           _ZL22dequantize_block_iq3_sIN3c108BFloat16EEvPKvPT_
    .private_segment_fixed_size: 0
    .sgpr_count:     14
    .sgpr_spill_count: 0
    .symbol:         _ZL22dequantize_block_iq3_sIN3c108BFloat16EEvPKvPT_.kd
    .uniform_work_group_size: 1
    .uses_dynamic_stack: false
    .vgpr_count:     20
    .vgpr_spill_count: 0
    .wavefront_size: 64
  - .agpr_count:     0
    .args:
      - .actual_access:  read_only
        .address_space:  global
        .offset:         0
        .size:           8
        .value_kind:     global_buffer
      - .actual_access:  write_only
        .address_space:  global
        .offset:         8
        .size:           8
        .value_kind:     global_buffer
    .group_segment_fixed_size: 0
    .kernarg_segment_align: 8
    .kernarg_segment_size: 16
    .language:       OpenCL C
    .language_version:
      - 2
      - 0
    .max_flat_workgroup_size: 1024
    .name:           _ZL22dequantize_block_iq2_sIN3c108BFloat16EEvPKvPT_
    .private_segment_fixed_size: 0
    .sgpr_count:     14
    .sgpr_spill_count: 0
    .symbol:         _ZL22dequantize_block_iq2_sIN3c108BFloat16EEvPKvPT_.kd
    .uniform_work_group_size: 1
    .uses_dynamic_stack: false
    .vgpr_count:     20
    .vgpr_spill_count: 0
    .wavefront_size: 64
  - .agpr_count:     0
    .args:
      - .actual_access:  read_only
        .address_space:  global
        .offset:         0
        .size:           8
        .value_kind:     global_buffer
      - .actual_access:  write_only
        .address_space:  global
        .offset:         8
        .size:           8
        .value_kind:     global_buffer
    .group_segment_fixed_size: 0
    .kernarg_segment_align: 8
    .kernarg_segment_size: 16
    .language:       OpenCL C
    .language_version:
      - 2
      - 0
    .max_flat_workgroup_size: 1024
    .name:           _ZL23dequantize_block_iq4_xsIN3c108BFloat16EEvPKvPT_
    .private_segment_fixed_size: 0
    .sgpr_count:     16
    .sgpr_spill_count: 0
    .symbol:         _ZL23dequantize_block_iq4_xsIN3c108BFloat16EEvPKvPT_.kd
    .uniform_work_group_size: 1
    .uses_dynamic_stack: false
    .vgpr_count:     26
    .vgpr_spill_count: 0
    .wavefront_size: 64
  - .agpr_count:     0
    .args:
      - .actual_access:  read_only
        .address_space:  global
        .offset:         0
        .size:           8
        .value_kind:     global_buffer
      - .actual_access:  write_only
        .address_space:  global
        .offset:         8
        .size:           8
        .value_kind:     global_buffer
    .group_segment_fixed_size: 0
    .kernarg_segment_align: 8
    .kernarg_segment_size: 16
    .language:       OpenCL C
    .language_version:
      - 2
      - 0
    .max_flat_workgroup_size: 1024
    .name:           _ZL22dequantize_block_iq1_mIN3c108BFloat16EEvPKvPT_
    .private_segment_fixed_size: 0
    .sgpr_count:     14
    .sgpr_spill_count: 0
    .symbol:         _ZL22dequantize_block_iq1_mIN3c108BFloat16EEvPKvPT_.kd
    .uniform_work_group_size: 1
    .uses_dynamic_stack: false
    .vgpr_count:     19
    .vgpr_spill_count: 0
    .wavefront_size: 64
  - .agpr_count:     0
    .args:
      - .actual_access:  read_only
        .address_space:  global
        .offset:         0
        .size:           8
        .value_kind:     global_buffer
      - .actual_access:  write_only
        .address_space:  global
        .offset:         8
        .size:           8
        .value_kind:     global_buffer
      - .offset:         16
        .size:           4
        .value_kind:     by_value
      - .offset:         20
        .size:           4
        .value_kind:     by_value
      - .offset:         24
        .size:           4
        .value_kind:     hidden_block_count_x
      - .offset:         28
        .size:           4
        .value_kind:     hidden_block_count_y
      - .offset:         32
        .size:           4
        .value_kind:     hidden_block_count_z
      - .offset:         36
        .size:           2
        .value_kind:     hidden_group_size_x
      - .offset:         38
        .size:           2
        .value_kind:     hidden_group_size_y
      - .offset:         40
        .size:           2
        .value_kind:     hidden_group_size_z
      - .offset:         42
        .size:           2
        .value_kind:     hidden_remainder_x
      - .offset:         44
        .size:           2
        .value_kind:     hidden_remainder_y
      - .offset:         46
        .size:           2
        .value_kind:     hidden_remainder_z
      - .offset:         64
        .size:           8
        .value_kind:     hidden_global_offset_x
      - .offset:         72
        .size:           8
        .value_kind:     hidden_global_offset_y
      - .offset:         80
        .size:           8
        .value_kind:     hidden_global_offset_z
      - .offset:         88
        .size:           2
        .value_kind:     hidden_grid_dims
    .group_segment_fixed_size: 0
    .kernarg_segment_align: 8
    .kernarg_segment_size: 280
    .language:       OpenCL C
    .language_version:
      - 2
      - 0
    .max_flat_workgroup_size: 1024
    .name:           _ZL13quantize_q8_1IfEvPKT_Pvii
    .private_segment_fixed_size: 0
    .sgpr_count:     16
    .sgpr_spill_count: 0
    .symbol:         _ZL13quantize_q8_1IfEvPKT_Pvii.kd
    .uniform_work_group_size: 1
    .uses_dynamic_stack: false
    .vgpr_count:     12
    .vgpr_spill_count: 0
    .wavefront_size: 64
  - .agpr_count:     0
    .args:
      - .actual_access:  read_only
        .address_space:  global
        .offset:         0
        .size:           8
        .value_kind:     global_buffer
      - .actual_access:  read_only
        .address_space:  global
        .offset:         8
        .size:           8
        .value_kind:     global_buffer
      - .actual_access:  write_only
        .address_space:  global
        .offset:         16
        .size:           8
        .value_kind:     global_buffer
      - .offset:         24
        .size:           4
        .value_kind:     by_value
      - .offset:         28
        .size:           4
        .value_kind:     by_value
      - .offset:         32
        .size:           4
        .value_kind:     by_value
      - .offset:         40
        .size:           4
        .value_kind:     hidden_block_count_x
      - .offset:         44
        .size:           4
        .value_kind:     hidden_block_count_y
      - .offset:         48
        .size:           4
        .value_kind:     hidden_block_count_z
      - .offset:         52
        .size:           2
        .value_kind:     hidden_group_size_x
      - .offset:         54
        .size:           2
        .value_kind:     hidden_group_size_y
      - .offset:         56
        .size:           2
        .value_kind:     hidden_group_size_z
      - .offset:         58
        .size:           2
        .value_kind:     hidden_remainder_x
      - .offset:         60
        .size:           2
        .value_kind:     hidden_remainder_y
      - .offset:         62
        .size:           2
        .value_kind:     hidden_remainder_z
      - .offset:         80
        .size:           8
        .value_kind:     hidden_global_offset_x
      - .offset:         88
        .size:           8
        .value_kind:     hidden_global_offset_y
      - .offset:         96
        .size:           8
        .value_kind:     hidden_global_offset_z
      - .offset:         104
        .size:           2
        .value_kind:     hidden_grid_dims
    .group_segment_fixed_size: 0
    .kernarg_segment_align: 8
    .kernarg_segment_size: 296
    .language:       OpenCL C
    .language_version:
      - 2
      - 0
    .max_flat_workgroup_size: 1024
    .name:           _ZL13mul_mat_vec_qIfLi32ELi4E10block_q4_0Li2EXadL_ZL17vec_dot_q4_0_q8_1PKvPK10block_q8_1RKiEEEvS2_S2_PT_iii
    .private_segment_fixed_size: 0
    .sgpr_count:     22
    .sgpr_spill_count: 0
    .symbol:         _ZL13mul_mat_vec_qIfLi32ELi4E10block_q4_0Li2EXadL_ZL17vec_dot_q4_0_q8_1PKvPK10block_q8_1RKiEEEvS2_S2_PT_iii.kd
    .uniform_work_group_size: 1
    .uses_dynamic_stack: false
    .vgpr_count:     24
    .vgpr_spill_count: 0
    .wavefront_size: 64
  - .agpr_count:     0
    .args:
      - .actual_access:  read_only
        .address_space:  global
        .offset:         0
        .size:           8
        .value_kind:     global_buffer
      - .actual_access:  read_only
        .address_space:  global
        .offset:         8
        .size:           8
        .value_kind:     global_buffer
      - .actual_access:  write_only
        .address_space:  global
        .offset:         16
        .size:           8
        .value_kind:     global_buffer
      - .offset:         24
        .size:           4
        .value_kind:     by_value
      - .offset:         28
        .size:           4
        .value_kind:     by_value
      - .offset:         32
        .size:           4
        .value_kind:     by_value
      - .offset:         40
        .size:           4
        .value_kind:     hidden_block_count_x
      - .offset:         44
        .size:           4
        .value_kind:     hidden_block_count_y
      - .offset:         48
        .size:           4
        .value_kind:     hidden_block_count_z
      - .offset:         52
        .size:           2
        .value_kind:     hidden_group_size_x
      - .offset:         54
        .size:           2
        .value_kind:     hidden_group_size_y
      - .offset:         56
        .size:           2
        .value_kind:     hidden_group_size_z
      - .offset:         58
        .size:           2
        .value_kind:     hidden_remainder_x
      - .offset:         60
        .size:           2
        .value_kind:     hidden_remainder_y
      - .offset:         62
        .size:           2
        .value_kind:     hidden_remainder_z
      - .offset:         80
        .size:           8
        .value_kind:     hidden_global_offset_x
      - .offset:         88
        .size:           8
        .value_kind:     hidden_global_offset_y
      - .offset:         96
        .size:           8
        .value_kind:     hidden_global_offset_z
      - .offset:         104
        .size:           2
        .value_kind:     hidden_grid_dims
    .group_segment_fixed_size: 0
    .kernarg_segment_align: 8
    .kernarg_segment_size: 296
    .language:       OpenCL C
    .language_version:
      - 2
      - 0
    .max_flat_workgroup_size: 1024
    .name:           _ZL13mul_mat_vec_qIfLi32ELi4E10block_q4_1Li2EXadL_ZL17vec_dot_q4_1_q8_1PKvPK10block_q8_1RKiEEEvS2_S2_PT_iii
    .private_segment_fixed_size: 0
    .sgpr_count:     24
    .sgpr_spill_count: 0
    .symbol:         _ZL13mul_mat_vec_qIfLi32ELi4E10block_q4_1Li2EXadL_ZL17vec_dot_q4_1_q8_1PKvPK10block_q8_1RKiEEEvS2_S2_PT_iii.kd
    .uniform_work_group_size: 1
    .uses_dynamic_stack: false
    .vgpr_count:     23
    .vgpr_spill_count: 0
    .wavefront_size: 64
  - .agpr_count:     0
    .args:
      - .actual_access:  read_only
        .address_space:  global
        .offset:         0
        .size:           8
        .value_kind:     global_buffer
      - .actual_access:  read_only
        .address_space:  global
        .offset:         8
        .size:           8
        .value_kind:     global_buffer
      - .actual_access:  write_only
        .address_space:  global
        .offset:         16
        .size:           8
        .value_kind:     global_buffer
      - .offset:         24
        .size:           4
        .value_kind:     by_value
      - .offset:         28
        .size:           4
        .value_kind:     by_value
      - .offset:         32
        .size:           4
        .value_kind:     by_value
      - .offset:         40
        .size:           4
        .value_kind:     hidden_block_count_x
      - .offset:         44
        .size:           4
        .value_kind:     hidden_block_count_y
      - .offset:         48
        .size:           4
        .value_kind:     hidden_block_count_z
      - .offset:         52
        .size:           2
        .value_kind:     hidden_group_size_x
      - .offset:         54
        .size:           2
        .value_kind:     hidden_group_size_y
      - .offset:         56
        .size:           2
        .value_kind:     hidden_group_size_z
      - .offset:         58
        .size:           2
        .value_kind:     hidden_remainder_x
      - .offset:         60
        .size:           2
        .value_kind:     hidden_remainder_y
      - .offset:         62
        .size:           2
        .value_kind:     hidden_remainder_z
      - .offset:         80
        .size:           8
        .value_kind:     hidden_global_offset_x
      - .offset:         88
        .size:           8
        .value_kind:     hidden_global_offset_y
      - .offset:         96
        .size:           8
        .value_kind:     hidden_global_offset_z
      - .offset:         104
        .size:           2
        .value_kind:     hidden_grid_dims
    .group_segment_fixed_size: 0
    .kernarg_segment_align: 8
    .kernarg_segment_size: 296
    .language:       OpenCL C
    .language_version:
      - 2
      - 0
    .max_flat_workgroup_size: 1024
    .name:           _ZL13mul_mat_vec_qIfLi32ELi4E10block_q5_0Li2EXadL_ZL17vec_dot_q5_0_q8_1PKvPK10block_q8_1RKiEEEvS2_S2_PT_iii
    .private_segment_fixed_size: 0
    .sgpr_count:     24
    .sgpr_spill_count: 0
    .symbol:         _ZL13mul_mat_vec_qIfLi32ELi4E10block_q5_0Li2EXadL_ZL17vec_dot_q5_0_q8_1PKvPK10block_q8_1RKiEEEvS2_S2_PT_iii.kd
    .uniform_work_group_size: 1
    .uses_dynamic_stack: false
    .vgpr_count:     37
    .vgpr_spill_count: 0
    .wavefront_size: 64
  - .agpr_count:     0
    .args:
      - .actual_access:  read_only
        .address_space:  global
        .offset:         0
        .size:           8
        .value_kind:     global_buffer
      - .actual_access:  read_only
        .address_space:  global
        .offset:         8
        .size:           8
        .value_kind:     global_buffer
      - .actual_access:  write_only
        .address_space:  global
        .offset:         16
        .size:           8
        .value_kind:     global_buffer
      - .offset:         24
        .size:           4
        .value_kind:     by_value
      - .offset:         28
        .size:           4
        .value_kind:     by_value
      - .offset:         32
        .size:           4
        .value_kind:     by_value
      - .offset:         40
        .size:           4
        .value_kind:     hidden_block_count_x
      - .offset:         44
        .size:           4
        .value_kind:     hidden_block_count_y
      - .offset:         48
        .size:           4
        .value_kind:     hidden_block_count_z
      - .offset:         52
        .size:           2
        .value_kind:     hidden_group_size_x
      - .offset:         54
        .size:           2
        .value_kind:     hidden_group_size_y
      - .offset:         56
        .size:           2
        .value_kind:     hidden_group_size_z
      - .offset:         58
        .size:           2
        .value_kind:     hidden_remainder_x
      - .offset:         60
        .size:           2
        .value_kind:     hidden_remainder_y
      - .offset:         62
        .size:           2
        .value_kind:     hidden_remainder_z
      - .offset:         80
        .size:           8
        .value_kind:     hidden_global_offset_x
      - .offset:         88
        .size:           8
        .value_kind:     hidden_global_offset_y
      - .offset:         96
        .size:           8
        .value_kind:     hidden_global_offset_z
      - .offset:         104
        .size:           2
        .value_kind:     hidden_grid_dims
    .group_segment_fixed_size: 0
    .kernarg_segment_align: 8
    .kernarg_segment_size: 296
    .language:       OpenCL C
    .language_version:
      - 2
      - 0
    .max_flat_workgroup_size: 1024
    .name:           _ZL13mul_mat_vec_qIfLi32ELi4E10block_q5_1Li2EXadL_ZL17vec_dot_q5_1_q8_1PKvPK10block_q8_1RKiEEEvS2_S2_PT_iii
    .private_segment_fixed_size: 0
    .sgpr_count:     24
    .sgpr_spill_count: 0
    .symbol:         _ZL13mul_mat_vec_qIfLi32ELi4E10block_q5_1Li2EXadL_ZL17vec_dot_q5_1_q8_1PKvPK10block_q8_1RKiEEEvS2_S2_PT_iii.kd
    .uniform_work_group_size: 1
    .uses_dynamic_stack: false
    .vgpr_count:     35
    .vgpr_spill_count: 0
    .wavefront_size: 64
  - .agpr_count:     0
    .args:
      - .actual_access:  read_only
        .address_space:  global
        .offset:         0
        .size:           8
        .value_kind:     global_buffer
      - .actual_access:  read_only
        .address_space:  global
        .offset:         8
        .size:           8
        .value_kind:     global_buffer
      - .actual_access:  write_only
        .address_space:  global
        .offset:         16
        .size:           8
        .value_kind:     global_buffer
      - .offset:         24
        .size:           4
        .value_kind:     by_value
      - .offset:         28
        .size:           4
        .value_kind:     by_value
      - .offset:         32
        .size:           4
        .value_kind:     by_value
      - .offset:         40
        .size:           4
        .value_kind:     hidden_block_count_x
      - .offset:         44
        .size:           4
        .value_kind:     hidden_block_count_y
      - .offset:         48
        .size:           4
        .value_kind:     hidden_block_count_z
      - .offset:         52
        .size:           2
        .value_kind:     hidden_group_size_x
      - .offset:         54
        .size:           2
        .value_kind:     hidden_group_size_y
      - .offset:         56
        .size:           2
        .value_kind:     hidden_group_size_z
      - .offset:         58
        .size:           2
        .value_kind:     hidden_remainder_x
      - .offset:         60
        .size:           2
        .value_kind:     hidden_remainder_y
      - .offset:         62
        .size:           2
        .value_kind:     hidden_remainder_z
      - .offset:         80
        .size:           8
        .value_kind:     hidden_global_offset_x
      - .offset:         88
        .size:           8
        .value_kind:     hidden_global_offset_y
      - .offset:         96
        .size:           8
        .value_kind:     hidden_global_offset_z
      - .offset:         104
        .size:           2
        .value_kind:     hidden_grid_dims
    .group_segment_fixed_size: 0
    .kernarg_segment_align: 8
    .kernarg_segment_size: 296
    .language:       OpenCL C
    .language_version:
      - 2
      - 0
    .max_flat_workgroup_size: 1024
    .name:           _ZL13mul_mat_vec_qIfLi32ELi8E10block_q8_0Li2EXadL_ZL17vec_dot_q8_0_q8_1PKvPK10block_q8_1RKiEEEvS2_S2_PT_iii
    .private_segment_fixed_size: 0
    .sgpr_count:     22
    .sgpr_spill_count: 0
    .symbol:         _ZL13mul_mat_vec_qIfLi32ELi8E10block_q8_0Li2EXadL_ZL17vec_dot_q8_0_q8_1PKvPK10block_q8_1RKiEEEvS2_S2_PT_iii.kd
    .uniform_work_group_size: 1
    .uses_dynamic_stack: false
    .vgpr_count:     21
    .vgpr_spill_count: 0
    .wavefront_size: 64
  - .agpr_count:     0
    .args:
      - .actual_access:  read_only
        .address_space:  global
        .offset:         0
        .size:           8
        .value_kind:     global_buffer
      - .actual_access:  read_only
        .address_space:  global
        .offset:         8
        .size:           8
        .value_kind:     global_buffer
      - .actual_access:  write_only
        .address_space:  global
        .offset:         16
        .size:           8
        .value_kind:     global_buffer
      - .offset:         24
        .size:           4
        .value_kind:     by_value
      - .offset:         28
        .size:           4
        .value_kind:     by_value
      - .offset:         32
        .size:           4
        .value_kind:     by_value
      - .offset:         40
        .size:           4
        .value_kind:     hidden_block_count_x
      - .offset:         44
        .size:           4
        .value_kind:     hidden_block_count_y
      - .offset:         48
        .size:           4
        .value_kind:     hidden_block_count_z
      - .offset:         52
        .size:           2
        .value_kind:     hidden_group_size_x
      - .offset:         54
        .size:           2
        .value_kind:     hidden_group_size_y
      - .offset:         56
        .size:           2
        .value_kind:     hidden_group_size_z
      - .offset:         58
        .size:           2
        .value_kind:     hidden_remainder_x
      - .offset:         60
        .size:           2
        .value_kind:     hidden_remainder_y
      - .offset:         62
        .size:           2
        .value_kind:     hidden_remainder_z
      - .offset:         80
        .size:           8
        .value_kind:     hidden_global_offset_x
      - .offset:         88
        .size:           8
        .value_kind:     hidden_global_offset_y
      - .offset:         96
        .size:           8
        .value_kind:     hidden_global_offset_z
      - .offset:         104
        .size:           2
        .value_kind:     hidden_grid_dims
    .group_segment_fixed_size: 0
    .kernarg_segment_align: 8
    .kernarg_segment_size: 296
    .language:       OpenCL C
    .language_version:
      - 2
      - 0
    .max_flat_workgroup_size: 1024
    .name:           _ZL13mul_mat_vec_qIfLi256ELi16E10block_q2_KLi1EXadL_ZL17vec_dot_q2_K_q8_1PKvPK10block_q8_1RKiEEEvS2_S2_PT_iii
    .private_segment_fixed_size: 0
    .sgpr_count:     24
    .sgpr_spill_count: 0
    .symbol:         _ZL13mul_mat_vec_qIfLi256ELi16E10block_q2_KLi1EXadL_ZL17vec_dot_q2_K_q8_1PKvPK10block_q8_1RKiEEEvS2_S2_PT_iii.kd
    .uniform_work_group_size: 1
    .uses_dynamic_stack: false
    .vgpr_count:     47
    .vgpr_spill_count: 0
    .wavefront_size: 64
  - .agpr_count:     0
    .args:
      - .actual_access:  read_only
        .address_space:  global
        .offset:         0
        .size:           8
        .value_kind:     global_buffer
      - .actual_access:  read_only
        .address_space:  global
        .offset:         8
        .size:           8
        .value_kind:     global_buffer
      - .actual_access:  write_only
        .address_space:  global
        .offset:         16
        .size:           8
        .value_kind:     global_buffer
      - .offset:         24
        .size:           4
        .value_kind:     by_value
      - .offset:         28
        .size:           4
        .value_kind:     by_value
      - .offset:         32
        .size:           4
        .value_kind:     by_value
      - .offset:         40
        .size:           4
        .value_kind:     hidden_block_count_x
      - .offset:         44
        .size:           4
        .value_kind:     hidden_block_count_y
      - .offset:         48
        .size:           4
        .value_kind:     hidden_block_count_z
      - .offset:         52
        .size:           2
        .value_kind:     hidden_group_size_x
      - .offset:         54
        .size:           2
        .value_kind:     hidden_group_size_y
      - .offset:         56
        .size:           2
        .value_kind:     hidden_group_size_z
      - .offset:         58
        .size:           2
        .value_kind:     hidden_remainder_x
      - .offset:         60
        .size:           2
        .value_kind:     hidden_remainder_y
      - .offset:         62
        .size:           2
        .value_kind:     hidden_remainder_z
      - .offset:         80
        .size:           8
        .value_kind:     hidden_global_offset_x
      - .offset:         88
        .size:           8
        .value_kind:     hidden_global_offset_y
      - .offset:         96
        .size:           8
        .value_kind:     hidden_global_offset_z
      - .offset:         104
        .size:           2
        .value_kind:     hidden_grid_dims
    .group_segment_fixed_size: 0
    .kernarg_segment_align: 8
    .kernarg_segment_size: 296
    .language:       OpenCL C
    .language_version:
      - 2
      - 0
    .max_flat_workgroup_size: 1024
    .name:           _ZL13mul_mat_vec_qIfLi256ELi16E10block_q3_KLi1EXadL_ZL17vec_dot_q3_K_q8_1PKvPK10block_q8_1RKiEEEvS2_S2_PT_iii
    .private_segment_fixed_size: 0
    .sgpr_count:     24
    .sgpr_spill_count: 0
    .symbol:         _ZL13mul_mat_vec_qIfLi256ELi16E10block_q3_KLi1EXadL_ZL17vec_dot_q3_K_q8_1PKvPK10block_q8_1RKiEEEvS2_S2_PT_iii.kd
    .uniform_work_group_size: 1
    .uses_dynamic_stack: false
    .vgpr_count:     56
    .vgpr_spill_count: 0
    .wavefront_size: 64
  - .agpr_count:     0
    .args:
      - .actual_access:  read_only
        .address_space:  global
        .offset:         0
        .size:           8
        .value_kind:     global_buffer
      - .actual_access:  read_only
        .address_space:  global
        .offset:         8
        .size:           8
        .value_kind:     global_buffer
      - .actual_access:  write_only
        .address_space:  global
        .offset:         16
        .size:           8
        .value_kind:     global_buffer
      - .offset:         24
        .size:           4
        .value_kind:     by_value
      - .offset:         28
        .size:           4
        .value_kind:     by_value
      - .offset:         32
        .size:           4
        .value_kind:     by_value
      - .offset:         40
        .size:           4
        .value_kind:     hidden_block_count_x
      - .offset:         44
        .size:           4
        .value_kind:     hidden_block_count_y
      - .offset:         48
        .size:           4
        .value_kind:     hidden_block_count_z
      - .offset:         52
        .size:           2
        .value_kind:     hidden_group_size_x
      - .offset:         54
        .size:           2
        .value_kind:     hidden_group_size_y
      - .offset:         56
        .size:           2
        .value_kind:     hidden_group_size_z
      - .offset:         58
        .size:           2
        .value_kind:     hidden_remainder_x
      - .offset:         60
        .size:           2
        .value_kind:     hidden_remainder_y
      - .offset:         62
        .size:           2
        .value_kind:     hidden_remainder_z
      - .offset:         80
        .size:           8
        .value_kind:     hidden_global_offset_x
      - .offset:         88
        .size:           8
        .value_kind:     hidden_global_offset_y
      - .offset:         96
        .size:           8
        .value_kind:     hidden_global_offset_z
      - .offset:         104
        .size:           2
        .value_kind:     hidden_grid_dims
    .group_segment_fixed_size: 0
    .kernarg_segment_align: 8
    .kernarg_segment_size: 296
    .language:       OpenCL C
    .language_version:
      - 2
      - 0
    .max_flat_workgroup_size: 1024
    .name:           _ZL13mul_mat_vec_qIfLi256ELi32E10block_q4_KLi2EXadL_ZL17vec_dot_q4_K_q8_1PKvPK10block_q8_1RKiEEEvS2_S2_PT_iii
    .private_segment_fixed_size: 0
    .sgpr_count:     22
    .sgpr_spill_count: 0
    .symbol:         _ZL13mul_mat_vec_qIfLi256ELi32E10block_q4_KLi2EXadL_ZL17vec_dot_q4_K_q8_1PKvPK10block_q8_1RKiEEEvS2_S2_PT_iii.kd
    .uniform_work_group_size: 1
    .uses_dynamic_stack: false
    .vgpr_count:     40
    .vgpr_spill_count: 0
    .wavefront_size: 64
  - .agpr_count:     0
    .args:
      - .actual_access:  read_only
        .address_space:  global
        .offset:         0
        .size:           8
        .value_kind:     global_buffer
      - .actual_access:  read_only
        .address_space:  global
        .offset:         8
        .size:           8
        .value_kind:     global_buffer
      - .actual_access:  write_only
        .address_space:  global
        .offset:         16
        .size:           8
        .value_kind:     global_buffer
      - .offset:         24
        .size:           4
        .value_kind:     by_value
      - .offset:         28
        .size:           4
        .value_kind:     by_value
      - .offset:         32
        .size:           4
        .value_kind:     by_value
      - .offset:         40
        .size:           4
        .value_kind:     hidden_block_count_x
      - .offset:         44
        .size:           4
        .value_kind:     hidden_block_count_y
      - .offset:         48
        .size:           4
        .value_kind:     hidden_block_count_z
      - .offset:         52
        .size:           2
        .value_kind:     hidden_group_size_x
      - .offset:         54
        .size:           2
        .value_kind:     hidden_group_size_y
      - .offset:         56
        .size:           2
        .value_kind:     hidden_group_size_z
      - .offset:         58
        .size:           2
        .value_kind:     hidden_remainder_x
      - .offset:         60
        .size:           2
        .value_kind:     hidden_remainder_y
      - .offset:         62
        .size:           2
        .value_kind:     hidden_remainder_z
      - .offset:         80
        .size:           8
        .value_kind:     hidden_global_offset_x
      - .offset:         88
        .size:           8
        .value_kind:     hidden_global_offset_y
      - .offset:         96
        .size:           8
        .value_kind:     hidden_global_offset_z
      - .offset:         104
        .size:           2
        .value_kind:     hidden_grid_dims
    .group_segment_fixed_size: 0
    .kernarg_segment_align: 8
    .kernarg_segment_size: 296
    .language:       OpenCL C
    .language_version:
      - 2
      - 0
    .max_flat_workgroup_size: 1024
    .name:           _ZL13mul_mat_vec_qIfLi256ELi32E10block_q5_KLi2EXadL_ZL17vec_dot_q5_K_q8_1PKvPK10block_q8_1RKiEEEvS2_S2_PT_iii
    .private_segment_fixed_size: 0
    .sgpr_count:     22
    .sgpr_spill_count: 0
    .symbol:         _ZL13mul_mat_vec_qIfLi256ELi32E10block_q5_KLi2EXadL_ZL17vec_dot_q5_K_q8_1PKvPK10block_q8_1RKiEEEvS2_S2_PT_iii.kd
    .uniform_work_group_size: 1
    .uses_dynamic_stack: false
    .vgpr_count:     42
    .vgpr_spill_count: 0
    .wavefront_size: 64
  - .agpr_count:     0
    .args:
      - .actual_access:  read_only
        .address_space:  global
        .offset:         0
        .size:           8
        .value_kind:     global_buffer
      - .actual_access:  read_only
        .address_space:  global
        .offset:         8
        .size:           8
        .value_kind:     global_buffer
      - .actual_access:  write_only
        .address_space:  global
        .offset:         16
        .size:           8
        .value_kind:     global_buffer
      - .offset:         24
        .size:           4
        .value_kind:     by_value
      - .offset:         28
        .size:           4
        .value_kind:     by_value
      - .offset:         32
        .size:           4
        .value_kind:     by_value
      - .offset:         40
        .size:           4
        .value_kind:     hidden_block_count_x
      - .offset:         44
        .size:           4
        .value_kind:     hidden_block_count_y
      - .offset:         48
        .size:           4
        .value_kind:     hidden_block_count_z
      - .offset:         52
        .size:           2
        .value_kind:     hidden_group_size_x
      - .offset:         54
        .size:           2
        .value_kind:     hidden_group_size_y
      - .offset:         56
        .size:           2
        .value_kind:     hidden_group_size_z
      - .offset:         58
        .size:           2
        .value_kind:     hidden_remainder_x
      - .offset:         60
        .size:           2
        .value_kind:     hidden_remainder_y
      - .offset:         62
        .size:           2
        .value_kind:     hidden_remainder_z
      - .offset:         80
        .size:           8
        .value_kind:     hidden_global_offset_x
      - .offset:         88
        .size:           8
        .value_kind:     hidden_global_offset_y
      - .offset:         96
        .size:           8
        .value_kind:     hidden_global_offset_z
      - .offset:         104
        .size:           2
        .value_kind:     hidden_grid_dims
    .group_segment_fixed_size: 0
    .kernarg_segment_align: 8
    .kernarg_segment_size: 296
    .language:       OpenCL C
    .language_version:
      - 2
      - 0
    .max_flat_workgroup_size: 1024
    .name:           _ZL13mul_mat_vec_qIfLi256ELi32E10block_q6_KLi1EXadL_ZL17vec_dot_q6_K_q8_1PKvPK10block_q8_1RKiEEEvS2_S2_PT_iii
    .private_segment_fixed_size: 0
    .sgpr_count:     22
    .sgpr_spill_count: 0
    .symbol:         _ZL13mul_mat_vec_qIfLi256ELi32E10block_q6_KLi1EXadL_ZL17vec_dot_q6_K_q8_1PKvPK10block_q8_1RKiEEEvS2_S2_PT_iii.kd
    .uniform_work_group_size: 1
    .uses_dynamic_stack: false
    .vgpr_count:     37
    .vgpr_spill_count: 0
    .wavefront_size: 64
  - .agpr_count:     0
    .args:
      - .actual_access:  read_only
        .address_space:  global
        .offset:         0
        .size:           8
        .value_kind:     global_buffer
      - .actual_access:  read_only
        .address_space:  global
        .offset:         8
        .size:           8
        .value_kind:     global_buffer
      - .actual_access:  write_only
        .address_space:  global
        .offset:         16
        .size:           8
        .value_kind:     global_buffer
      - .offset:         24
        .size:           4
        .value_kind:     by_value
      - .offset:         28
        .size:           4
        .value_kind:     by_value
      - .offset:         32
        .size:           4
        .value_kind:     by_value
      - .offset:         40
        .size:           4
        .value_kind:     hidden_block_count_x
      - .offset:         44
        .size:           4
        .value_kind:     hidden_block_count_y
      - .offset:         48
        .size:           4
        .value_kind:     hidden_block_count_z
      - .offset:         52
        .size:           2
        .value_kind:     hidden_group_size_x
      - .offset:         54
        .size:           2
        .value_kind:     hidden_group_size_y
      - .offset:         56
        .size:           2
        .value_kind:     hidden_group_size_z
      - .offset:         58
        .size:           2
        .value_kind:     hidden_remainder_x
      - .offset:         60
        .size:           2
        .value_kind:     hidden_remainder_y
      - .offset:         62
        .size:           2
        .value_kind:     hidden_remainder_z
      - .offset:         80
        .size:           8
        .value_kind:     hidden_global_offset_x
      - .offset:         88
        .size:           8
        .value_kind:     hidden_global_offset_y
      - .offset:         96
        .size:           8
        .value_kind:     hidden_global_offset_z
      - .offset:         104
        .size:           2
        .value_kind:     hidden_grid_dims
    .group_segment_fixed_size: 0
    .kernarg_segment_align: 8
    .kernarg_segment_size: 296
    .language:       OpenCL C
    .language_version:
      - 2
      - 0
    .max_flat_workgroup_size: 1024
    .name:           _ZL13mul_mat_vec_qIfLi256ELi8E13block_iq2_xxsLi1EXadL_ZL20vec_dot_iq2_xxs_q8_1PKvPK10block_q8_1RKiEEEvS2_S2_PT_iii
    .private_segment_fixed_size: 0
    .sgpr_count:     22
    .sgpr_spill_count: 0
    .symbol:         _ZL13mul_mat_vec_qIfLi256ELi8E13block_iq2_xxsLi1EXadL_ZL20vec_dot_iq2_xxs_q8_1PKvPK10block_q8_1RKiEEEvS2_S2_PT_iii.kd
    .uniform_work_group_size: 1
    .uses_dynamic_stack: false
    .vgpr_count:     31
    .vgpr_spill_count: 0
    .wavefront_size: 64
  - .agpr_count:     0
    .args:
      - .actual_access:  read_only
        .address_space:  global
        .offset:         0
        .size:           8
        .value_kind:     global_buffer
      - .actual_access:  read_only
        .address_space:  global
        .offset:         8
        .size:           8
        .value_kind:     global_buffer
      - .actual_access:  write_only
        .address_space:  global
        .offset:         16
        .size:           8
        .value_kind:     global_buffer
      - .offset:         24
        .size:           4
        .value_kind:     by_value
      - .offset:         28
        .size:           4
        .value_kind:     by_value
      - .offset:         32
        .size:           4
        .value_kind:     by_value
      - .offset:         40
        .size:           4
        .value_kind:     hidden_block_count_x
      - .offset:         44
        .size:           4
        .value_kind:     hidden_block_count_y
      - .offset:         48
        .size:           4
        .value_kind:     hidden_block_count_z
      - .offset:         52
        .size:           2
        .value_kind:     hidden_group_size_x
      - .offset:         54
        .size:           2
        .value_kind:     hidden_group_size_y
      - .offset:         56
        .size:           2
        .value_kind:     hidden_group_size_z
      - .offset:         58
        .size:           2
        .value_kind:     hidden_remainder_x
      - .offset:         60
        .size:           2
        .value_kind:     hidden_remainder_y
      - .offset:         62
        .size:           2
        .value_kind:     hidden_remainder_z
      - .offset:         80
        .size:           8
        .value_kind:     hidden_global_offset_x
      - .offset:         88
        .size:           8
        .value_kind:     hidden_global_offset_y
      - .offset:         96
        .size:           8
        .value_kind:     hidden_global_offset_z
      - .offset:         104
        .size:           2
        .value_kind:     hidden_grid_dims
    .group_segment_fixed_size: 0
    .kernarg_segment_align: 8
    .kernarg_segment_size: 296
    .language:       OpenCL C
    .language_version:
      - 2
      - 0
    .max_flat_workgroup_size: 1024
    .name:           _ZL13mul_mat_vec_qIfLi256ELi8E12block_iq2_xsLi1EXadL_ZL19vec_dot_iq2_xs_q8_1PKvPK10block_q8_1RKiEEEvS2_S2_PT_iii
    .private_segment_fixed_size: 0
    .sgpr_count:     22
    .sgpr_spill_count: 0
    .symbol:         _ZL13mul_mat_vec_qIfLi256ELi8E12block_iq2_xsLi1EXadL_ZL19vec_dot_iq2_xs_q8_1PKvPK10block_q8_1RKiEEEvS2_S2_PT_iii.kd
    .uniform_work_group_size: 1
    .uses_dynamic_stack: false
    .vgpr_count:     39
    .vgpr_spill_count: 0
    .wavefront_size: 64
  - .agpr_count:     0
    .args:
      - .actual_access:  read_only
        .address_space:  global
        .offset:         0
        .size:           8
        .value_kind:     global_buffer
      - .actual_access:  read_only
        .address_space:  global
        .offset:         8
        .size:           8
        .value_kind:     global_buffer
      - .actual_access:  write_only
        .address_space:  global
        .offset:         16
        .size:           8
        .value_kind:     global_buffer
      - .offset:         24
        .size:           4
        .value_kind:     by_value
      - .offset:         28
        .size:           4
        .value_kind:     by_value
      - .offset:         32
        .size:           4
        .value_kind:     by_value
      - .offset:         40
        .size:           4
        .value_kind:     hidden_block_count_x
      - .offset:         44
        .size:           4
        .value_kind:     hidden_block_count_y
      - .offset:         48
        .size:           4
        .value_kind:     hidden_block_count_z
      - .offset:         52
        .size:           2
        .value_kind:     hidden_group_size_x
      - .offset:         54
        .size:           2
        .value_kind:     hidden_group_size_y
      - .offset:         56
        .size:           2
        .value_kind:     hidden_group_size_z
      - .offset:         58
        .size:           2
        .value_kind:     hidden_remainder_x
      - .offset:         60
        .size:           2
        .value_kind:     hidden_remainder_y
      - .offset:         62
        .size:           2
        .value_kind:     hidden_remainder_z
      - .offset:         80
        .size:           8
        .value_kind:     hidden_global_offset_x
      - .offset:         88
        .size:           8
        .value_kind:     hidden_global_offset_y
      - .offset:         96
        .size:           8
        .value_kind:     hidden_global_offset_z
      - .offset:         104
        .size:           2
        .value_kind:     hidden_grid_dims
    .group_segment_fixed_size: 0
    .kernarg_segment_align: 8
    .kernarg_segment_size: 296
    .language:       OpenCL C
    .language_version:
      - 2
      - 0
    .max_flat_workgroup_size: 1024
    .name:           _ZL13mul_mat_vec_qIfLi256ELi8E13block_iq3_xxsLi1EXadL_ZL20vec_dot_iq3_xxs_q8_1PKvPK10block_q8_1RKiEEEvS2_S2_PT_iii
    .private_segment_fixed_size: 0
    .sgpr_count:     24
    .sgpr_spill_count: 0
    .symbol:         _ZL13mul_mat_vec_qIfLi256ELi8E13block_iq3_xxsLi1EXadL_ZL20vec_dot_iq3_xxs_q8_1PKvPK10block_q8_1RKiEEEvS2_S2_PT_iii.kd
    .uniform_work_group_size: 1
    .uses_dynamic_stack: false
    .vgpr_count:     61
    .vgpr_spill_count: 0
    .wavefront_size: 64
  - .agpr_count:     0
    .args:
      - .actual_access:  read_only
        .address_space:  global
        .offset:         0
        .size:           8
        .value_kind:     global_buffer
      - .actual_access:  read_only
        .address_space:  global
        .offset:         8
        .size:           8
        .value_kind:     global_buffer
      - .actual_access:  write_only
        .address_space:  global
        .offset:         16
        .size:           8
        .value_kind:     global_buffer
      - .offset:         24
        .size:           4
        .value_kind:     by_value
      - .offset:         28
        .size:           4
        .value_kind:     by_value
      - .offset:         32
        .size:           4
        .value_kind:     by_value
      - .offset:         40
        .size:           4
        .value_kind:     hidden_block_count_x
      - .offset:         44
        .size:           4
        .value_kind:     hidden_block_count_y
      - .offset:         48
        .size:           4
        .value_kind:     hidden_block_count_z
      - .offset:         52
        .size:           2
        .value_kind:     hidden_group_size_x
      - .offset:         54
        .size:           2
        .value_kind:     hidden_group_size_y
      - .offset:         56
        .size:           2
        .value_kind:     hidden_group_size_z
      - .offset:         58
        .size:           2
        .value_kind:     hidden_remainder_x
      - .offset:         60
        .size:           2
        .value_kind:     hidden_remainder_y
      - .offset:         62
        .size:           2
        .value_kind:     hidden_remainder_z
      - .offset:         80
        .size:           8
        .value_kind:     hidden_global_offset_x
      - .offset:         88
        .size:           8
        .value_kind:     hidden_global_offset_y
      - .offset:         96
        .size:           8
        .value_kind:     hidden_global_offset_z
      - .offset:         104
        .size:           2
        .value_kind:     hidden_grid_dims
    .group_segment_fixed_size: 0
    .kernarg_segment_align: 8
    .kernarg_segment_size: 296
    .language:       OpenCL C
    .language_version:
      - 2
      - 0
    .max_flat_workgroup_size: 1024
    .name:           _ZL13mul_mat_vec_qIfLi256ELi8E11block_iq1_sLi1EXadL_ZL18vec_dot_iq1_s_q8_1PKvPK10block_q8_1RKiEEEvS2_S2_PT_iii
    .private_segment_fixed_size: 0
    .sgpr_count:     24
    .sgpr_spill_count: 0
    .symbol:         _ZL13mul_mat_vec_qIfLi256ELi8E11block_iq1_sLi1EXadL_ZL18vec_dot_iq1_s_q8_1PKvPK10block_q8_1RKiEEEvS2_S2_PT_iii.kd
    .uniform_work_group_size: 1
    .uses_dynamic_stack: false
    .vgpr_count:     34
    .vgpr_spill_count: 0
    .wavefront_size: 64
  - .agpr_count:     0
    .args:
      - .actual_access:  read_only
        .address_space:  global
        .offset:         0
        .size:           8
        .value_kind:     global_buffer
      - .actual_access:  read_only
        .address_space:  global
        .offset:         8
        .size:           8
        .value_kind:     global_buffer
      - .actual_access:  write_only
        .address_space:  global
        .offset:         16
        .size:           8
        .value_kind:     global_buffer
      - .offset:         24
        .size:           4
        .value_kind:     by_value
      - .offset:         28
        .size:           4
        .value_kind:     by_value
      - .offset:         32
        .size:           4
        .value_kind:     by_value
      - .offset:         40
        .size:           4
        .value_kind:     hidden_block_count_x
      - .offset:         44
        .size:           4
        .value_kind:     hidden_block_count_y
      - .offset:         48
        .size:           4
        .value_kind:     hidden_block_count_z
      - .offset:         52
        .size:           2
        .value_kind:     hidden_group_size_x
      - .offset:         54
        .size:           2
        .value_kind:     hidden_group_size_y
      - .offset:         56
        .size:           2
        .value_kind:     hidden_group_size_z
      - .offset:         58
        .size:           2
        .value_kind:     hidden_remainder_x
      - .offset:         60
        .size:           2
        .value_kind:     hidden_remainder_y
      - .offset:         62
        .size:           2
        .value_kind:     hidden_remainder_z
      - .offset:         80
        .size:           8
        .value_kind:     hidden_global_offset_x
      - .offset:         88
        .size:           8
        .value_kind:     hidden_global_offset_y
      - .offset:         96
        .size:           8
        .value_kind:     hidden_global_offset_z
      - .offset:         104
        .size:           2
        .value_kind:     hidden_grid_dims
    .group_segment_fixed_size: 0
    .kernarg_segment_align: 8
    .kernarg_segment_size: 296
    .language:       OpenCL C
    .language_version:
      - 2
      - 0
    .max_flat_workgroup_size: 1024
    .name:           _ZL13mul_mat_vec_qIfLi32ELi4E12block_iq4_nlLi2EXadL_ZL19vec_dot_iq4_nl_q8_1PKvPK10block_q8_1RKiEEEvS2_S2_PT_iii
    .private_segment_fixed_size: 0
    .sgpr_count:     24
    .sgpr_spill_count: 0
    .symbol:         _ZL13mul_mat_vec_qIfLi32ELi4E12block_iq4_nlLi2EXadL_ZL19vec_dot_iq4_nl_q8_1PKvPK10block_q8_1RKiEEEvS2_S2_PT_iii.kd
    .uniform_work_group_size: 1
    .uses_dynamic_stack: false
    .vgpr_count:     47
    .vgpr_spill_count: 0
    .wavefront_size: 64
  - .agpr_count:     0
    .args:
      - .actual_access:  read_only
        .address_space:  global
        .offset:         0
        .size:           8
        .value_kind:     global_buffer
      - .actual_access:  read_only
        .address_space:  global
        .offset:         8
        .size:           8
        .value_kind:     global_buffer
      - .actual_access:  write_only
        .address_space:  global
        .offset:         16
        .size:           8
        .value_kind:     global_buffer
      - .offset:         24
        .size:           4
        .value_kind:     by_value
      - .offset:         28
        .size:           4
        .value_kind:     by_value
      - .offset:         32
        .size:           4
        .value_kind:     by_value
      - .offset:         40
        .size:           4
        .value_kind:     hidden_block_count_x
      - .offset:         44
        .size:           4
        .value_kind:     hidden_block_count_y
      - .offset:         48
        .size:           4
        .value_kind:     hidden_block_count_z
      - .offset:         52
        .size:           2
        .value_kind:     hidden_group_size_x
      - .offset:         54
        .size:           2
        .value_kind:     hidden_group_size_y
      - .offset:         56
        .size:           2
        .value_kind:     hidden_group_size_z
      - .offset:         58
        .size:           2
        .value_kind:     hidden_remainder_x
      - .offset:         60
        .size:           2
        .value_kind:     hidden_remainder_y
      - .offset:         62
        .size:           2
        .value_kind:     hidden_remainder_z
      - .offset:         80
        .size:           8
        .value_kind:     hidden_global_offset_x
      - .offset:         88
        .size:           8
        .value_kind:     hidden_global_offset_y
      - .offset:         96
        .size:           8
        .value_kind:     hidden_global_offset_z
      - .offset:         104
        .size:           2
        .value_kind:     hidden_grid_dims
    .group_segment_fixed_size: 0
    .kernarg_segment_align: 8
    .kernarg_segment_size: 296
    .language:       OpenCL C
    .language_version:
      - 2
      - 0
    .max_flat_workgroup_size: 1024
    .name:           _ZL13mul_mat_vec_qIfLi256ELi8E11block_iq3_sLi1EXadL_ZL18vec_dot_iq3_s_q8_1PKvPK10block_q8_1RKiEEEvS2_S2_PT_iii
    .private_segment_fixed_size: 0
    .sgpr_count:     25
    .sgpr_spill_count: 0
    .symbol:         _ZL13mul_mat_vec_qIfLi256ELi8E11block_iq3_sLi1EXadL_ZL18vec_dot_iq3_s_q8_1PKvPK10block_q8_1RKiEEEvS2_S2_PT_iii.kd
    .uniform_work_group_size: 1
    .uses_dynamic_stack: false
    .vgpr_count:     48
    .vgpr_spill_count: 0
    .wavefront_size: 64
  - .agpr_count:     0
    .args:
      - .actual_access:  read_only
        .address_space:  global
        .offset:         0
        .size:           8
        .value_kind:     global_buffer
      - .actual_access:  read_only
        .address_space:  global
        .offset:         8
        .size:           8
        .value_kind:     global_buffer
      - .actual_access:  write_only
        .address_space:  global
        .offset:         16
        .size:           8
        .value_kind:     global_buffer
      - .offset:         24
        .size:           4
        .value_kind:     by_value
      - .offset:         28
        .size:           4
        .value_kind:     by_value
      - .offset:         32
        .size:           4
        .value_kind:     by_value
      - .offset:         40
        .size:           4
        .value_kind:     hidden_block_count_x
      - .offset:         44
        .size:           4
        .value_kind:     hidden_block_count_y
      - .offset:         48
        .size:           4
        .value_kind:     hidden_block_count_z
      - .offset:         52
        .size:           2
        .value_kind:     hidden_group_size_x
      - .offset:         54
        .size:           2
        .value_kind:     hidden_group_size_y
      - .offset:         56
        .size:           2
        .value_kind:     hidden_group_size_z
      - .offset:         58
        .size:           2
        .value_kind:     hidden_remainder_x
      - .offset:         60
        .size:           2
        .value_kind:     hidden_remainder_y
      - .offset:         62
        .size:           2
        .value_kind:     hidden_remainder_z
      - .offset:         80
        .size:           8
        .value_kind:     hidden_global_offset_x
      - .offset:         88
        .size:           8
        .value_kind:     hidden_global_offset_y
      - .offset:         96
        .size:           8
        .value_kind:     hidden_global_offset_z
      - .offset:         104
        .size:           2
        .value_kind:     hidden_grid_dims
    .group_segment_fixed_size: 0
    .kernarg_segment_align: 8
    .kernarg_segment_size: 296
    .language:       OpenCL C
    .language_version:
      - 2
      - 0
    .max_flat_workgroup_size: 1024
    .name:           _ZL13mul_mat_vec_qIfLi256ELi8E11block_iq2_sLi1EXadL_ZL18vec_dot_iq2_s_q8_1PKvPK10block_q8_1RKiEEEvS2_S2_PT_iii
    .private_segment_fixed_size: 0
    .sgpr_count:     24
    .sgpr_spill_count: 0
    .symbol:         _ZL13mul_mat_vec_qIfLi256ELi8E11block_iq2_sLi1EXadL_ZL18vec_dot_iq2_s_q8_1PKvPK10block_q8_1RKiEEEvS2_S2_PT_iii.kd
    .uniform_work_group_size: 1
    .uses_dynamic_stack: false
    .vgpr_count:     65
    .vgpr_spill_count: 0
    .wavefront_size: 64
  - .agpr_count:     0
    .args:
      - .actual_access:  read_only
        .address_space:  global
        .offset:         0
        .size:           8
        .value_kind:     global_buffer
      - .actual_access:  read_only
        .address_space:  global
        .offset:         8
        .size:           8
        .value_kind:     global_buffer
      - .actual_access:  write_only
        .address_space:  global
        .offset:         16
        .size:           8
        .value_kind:     global_buffer
      - .offset:         24
        .size:           4
        .value_kind:     by_value
      - .offset:         28
        .size:           4
        .value_kind:     by_value
      - .offset:         32
        .size:           4
        .value_kind:     by_value
      - .offset:         40
        .size:           4
        .value_kind:     hidden_block_count_x
      - .offset:         44
        .size:           4
        .value_kind:     hidden_block_count_y
      - .offset:         48
        .size:           4
        .value_kind:     hidden_block_count_z
      - .offset:         52
        .size:           2
        .value_kind:     hidden_group_size_x
      - .offset:         54
        .size:           2
        .value_kind:     hidden_group_size_y
      - .offset:         56
        .size:           2
        .value_kind:     hidden_group_size_z
      - .offset:         58
        .size:           2
        .value_kind:     hidden_remainder_x
      - .offset:         60
        .size:           2
        .value_kind:     hidden_remainder_y
      - .offset:         62
        .size:           2
        .value_kind:     hidden_remainder_z
      - .offset:         80
        .size:           8
        .value_kind:     hidden_global_offset_x
      - .offset:         88
        .size:           8
        .value_kind:     hidden_global_offset_y
      - .offset:         96
        .size:           8
        .value_kind:     hidden_global_offset_z
      - .offset:         104
        .size:           2
        .value_kind:     hidden_grid_dims
    .group_segment_fixed_size: 0
    .kernarg_segment_align: 8
    .kernarg_segment_size: 296
    .language:       OpenCL C
    .language_version:
      - 2
      - 0
    .max_flat_workgroup_size: 1024
    .name:           _ZL13mul_mat_vec_qIfLi256ELi8E12block_iq4_xsLi1EXadL_ZL19vec_dot_iq4_xs_q8_1PKvPK10block_q8_1RKiEEEvS2_S2_PT_iii
    .private_segment_fixed_size: 0
    .sgpr_count:     22
    .sgpr_spill_count: 0
    .symbol:         _ZL13mul_mat_vec_qIfLi256ELi8E12block_iq4_xsLi1EXadL_ZL19vec_dot_iq4_xs_q8_1PKvPK10block_q8_1RKiEEEvS2_S2_PT_iii.kd
    .uniform_work_group_size: 1
    .uses_dynamic_stack: false
    .vgpr_count:     64
    .vgpr_spill_count: 0
    .wavefront_size: 64
  - .agpr_count:     0
    .args:
      - .actual_access:  read_only
        .address_space:  global
        .offset:         0
        .size:           8
        .value_kind:     global_buffer
      - .actual_access:  read_only
        .address_space:  global
        .offset:         8
        .size:           8
        .value_kind:     global_buffer
      - .actual_access:  write_only
        .address_space:  global
        .offset:         16
        .size:           8
        .value_kind:     global_buffer
      - .offset:         24
        .size:           4
        .value_kind:     by_value
      - .offset:         28
        .size:           4
        .value_kind:     by_value
      - .offset:         32
        .size:           4
        .value_kind:     by_value
      - .offset:         40
        .size:           4
        .value_kind:     hidden_block_count_x
      - .offset:         44
        .size:           4
        .value_kind:     hidden_block_count_y
      - .offset:         48
        .size:           4
        .value_kind:     hidden_block_count_z
      - .offset:         52
        .size:           2
        .value_kind:     hidden_group_size_x
      - .offset:         54
        .size:           2
        .value_kind:     hidden_group_size_y
      - .offset:         56
        .size:           2
        .value_kind:     hidden_group_size_z
      - .offset:         58
        .size:           2
        .value_kind:     hidden_remainder_x
      - .offset:         60
        .size:           2
        .value_kind:     hidden_remainder_y
      - .offset:         62
        .size:           2
        .value_kind:     hidden_remainder_z
      - .offset:         80
        .size:           8
        .value_kind:     hidden_global_offset_x
      - .offset:         88
        .size:           8
        .value_kind:     hidden_global_offset_y
      - .offset:         96
        .size:           8
        .value_kind:     hidden_global_offset_z
      - .offset:         104
        .size:           2
        .value_kind:     hidden_grid_dims
    .group_segment_fixed_size: 0
    .kernarg_segment_align: 8
    .kernarg_segment_size: 296
    .language:       OpenCL C
    .language_version:
      - 2
      - 0
    .max_flat_workgroup_size: 1024
    .name:           _ZL13mul_mat_vec_qIfLi256ELi8E11block_iq1_mLi1EXadL_ZL18vec_dot_iq1_m_q8_1PKvPK10block_q8_1RKiEEEvS2_S2_PT_iii
    .private_segment_fixed_size: 0
    .sgpr_count:     28
    .sgpr_spill_count: 0
    .symbol:         _ZL13mul_mat_vec_qIfLi256ELi8E11block_iq1_mLi1EXadL_ZL18vec_dot_iq1_m_q8_1PKvPK10block_q8_1RKiEEEvS2_S2_PT_iii.kd
    .uniform_work_group_size: 1
    .uses_dynamic_stack: false
    .vgpr_count:     47
    .vgpr_spill_count: 0
    .wavefront_size: 64
  - .agpr_count:     0
    .args:
      - .actual_access:  read_only
        .address_space:  global
        .offset:         0
        .size:           8
        .value_kind:     global_buffer
      - .actual_access:  write_only
        .address_space:  global
        .offset:         8
        .size:           8
        .value_kind:     global_buffer
      - .offset:         16
        .size:           4
        .value_kind:     by_value
      - .offset:         20
        .size:           4
        .value_kind:     by_value
      - .offset:         24
        .size:           4
        .value_kind:     hidden_block_count_x
      - .offset:         28
        .size:           4
        .value_kind:     hidden_block_count_y
      - .offset:         32
        .size:           4
        .value_kind:     hidden_block_count_z
      - .offset:         36
        .size:           2
        .value_kind:     hidden_group_size_x
      - .offset:         38
        .size:           2
        .value_kind:     hidden_group_size_y
      - .offset:         40
        .size:           2
        .value_kind:     hidden_group_size_z
      - .offset:         42
        .size:           2
        .value_kind:     hidden_remainder_x
      - .offset:         44
        .size:           2
        .value_kind:     hidden_remainder_y
      - .offset:         46
        .size:           2
        .value_kind:     hidden_remainder_z
      - .offset:         64
        .size:           8
        .value_kind:     hidden_global_offset_x
      - .offset:         72
        .size:           8
        .value_kind:     hidden_global_offset_y
      - .offset:         80
        .size:           8
        .value_kind:     hidden_global_offset_z
      - .offset:         88
        .size:           2
        .value_kind:     hidden_grid_dims
    .group_segment_fixed_size: 0
    .kernarg_segment_align: 8
    .kernarg_segment_size: 280
    .language:       OpenCL C
    .language_version:
      - 2
      - 0
    .max_flat_workgroup_size: 1024
    .name:           _ZL13quantize_q8_1IN3c104HalfEEvPKT_Pvii
    .private_segment_fixed_size: 0
    .sgpr_count:     16
    .sgpr_spill_count: 0
    .symbol:         _ZL13quantize_q8_1IN3c104HalfEEvPKT_Pvii.kd
    .uniform_work_group_size: 1
    .uses_dynamic_stack: false
    .vgpr_count:     12
    .vgpr_spill_count: 0
    .wavefront_size: 64
  - .agpr_count:     0
    .args:
      - .actual_access:  read_only
        .address_space:  global
        .offset:         0
        .size:           8
        .value_kind:     global_buffer
      - .actual_access:  read_only
        .address_space:  global
        .offset:         8
        .size:           8
        .value_kind:     global_buffer
      - .actual_access:  write_only
        .address_space:  global
        .offset:         16
        .size:           8
        .value_kind:     global_buffer
      - .offset:         24
        .size:           4
        .value_kind:     by_value
      - .offset:         28
        .size:           4
        .value_kind:     by_value
      - .offset:         32
        .size:           4
        .value_kind:     by_value
      - .offset:         40
        .size:           4
        .value_kind:     hidden_block_count_x
      - .offset:         44
        .size:           4
        .value_kind:     hidden_block_count_y
      - .offset:         48
        .size:           4
        .value_kind:     hidden_block_count_z
      - .offset:         52
        .size:           2
        .value_kind:     hidden_group_size_x
      - .offset:         54
        .size:           2
        .value_kind:     hidden_group_size_y
      - .offset:         56
        .size:           2
        .value_kind:     hidden_group_size_z
      - .offset:         58
        .size:           2
        .value_kind:     hidden_remainder_x
      - .offset:         60
        .size:           2
        .value_kind:     hidden_remainder_y
      - .offset:         62
        .size:           2
        .value_kind:     hidden_remainder_z
      - .offset:         80
        .size:           8
        .value_kind:     hidden_global_offset_x
      - .offset:         88
        .size:           8
        .value_kind:     hidden_global_offset_y
      - .offset:         96
        .size:           8
        .value_kind:     hidden_global_offset_z
      - .offset:         104
        .size:           2
        .value_kind:     hidden_grid_dims
    .group_segment_fixed_size: 0
    .kernarg_segment_align: 8
    .kernarg_segment_size: 296
    .language:       OpenCL C
    .language_version:
      - 2
      - 0
    .max_flat_workgroup_size: 1024
    .name:           _ZL13mul_mat_vec_qIN3c104HalfELi32ELi4E10block_q4_0Li2EXadL_ZL17vec_dot_q4_0_q8_1PKvPK10block_q8_1RKiEEEvS4_S4_PT_iii
    .private_segment_fixed_size: 0
    .sgpr_count:     22
    .sgpr_spill_count: 0
    .symbol:         _ZL13mul_mat_vec_qIN3c104HalfELi32ELi4E10block_q4_0Li2EXadL_ZL17vec_dot_q4_0_q8_1PKvPK10block_q8_1RKiEEEvS4_S4_PT_iii.kd
    .uniform_work_group_size: 1
    .uses_dynamic_stack: false
    .vgpr_count:     24
    .vgpr_spill_count: 0
    .wavefront_size: 64
  - .agpr_count:     0
    .args:
      - .actual_access:  read_only
        .address_space:  global
        .offset:         0
        .size:           8
        .value_kind:     global_buffer
      - .actual_access:  read_only
        .address_space:  global
        .offset:         8
        .size:           8
        .value_kind:     global_buffer
      - .actual_access:  write_only
        .address_space:  global
        .offset:         16
        .size:           8
        .value_kind:     global_buffer
      - .offset:         24
        .size:           4
        .value_kind:     by_value
      - .offset:         28
        .size:           4
        .value_kind:     by_value
      - .offset:         32
        .size:           4
        .value_kind:     by_value
      - .offset:         40
        .size:           4
        .value_kind:     hidden_block_count_x
      - .offset:         44
        .size:           4
        .value_kind:     hidden_block_count_y
      - .offset:         48
        .size:           4
        .value_kind:     hidden_block_count_z
      - .offset:         52
        .size:           2
        .value_kind:     hidden_group_size_x
      - .offset:         54
        .size:           2
        .value_kind:     hidden_group_size_y
      - .offset:         56
        .size:           2
        .value_kind:     hidden_group_size_z
      - .offset:         58
        .size:           2
        .value_kind:     hidden_remainder_x
      - .offset:         60
        .size:           2
        .value_kind:     hidden_remainder_y
      - .offset:         62
        .size:           2
        .value_kind:     hidden_remainder_z
      - .offset:         80
        .size:           8
        .value_kind:     hidden_global_offset_x
      - .offset:         88
        .size:           8
        .value_kind:     hidden_global_offset_y
      - .offset:         96
        .size:           8
        .value_kind:     hidden_global_offset_z
      - .offset:         104
        .size:           2
        .value_kind:     hidden_grid_dims
    .group_segment_fixed_size: 0
    .kernarg_segment_align: 8
    .kernarg_segment_size: 296
    .language:       OpenCL C
    .language_version:
      - 2
      - 0
    .max_flat_workgroup_size: 1024
    .name:           _ZL13mul_mat_vec_qIN3c104HalfELi32ELi4E10block_q4_1Li2EXadL_ZL17vec_dot_q4_1_q8_1PKvPK10block_q8_1RKiEEEvS4_S4_PT_iii
    .private_segment_fixed_size: 0
    .sgpr_count:     24
    .sgpr_spill_count: 0
    .symbol:         _ZL13mul_mat_vec_qIN3c104HalfELi32ELi4E10block_q4_1Li2EXadL_ZL17vec_dot_q4_1_q8_1PKvPK10block_q8_1RKiEEEvS4_S4_PT_iii.kd
    .uniform_work_group_size: 1
    .uses_dynamic_stack: false
    .vgpr_count:     23
    .vgpr_spill_count: 0
    .wavefront_size: 64
  - .agpr_count:     0
    .args:
      - .actual_access:  read_only
        .address_space:  global
        .offset:         0
        .size:           8
        .value_kind:     global_buffer
      - .actual_access:  read_only
        .address_space:  global
        .offset:         8
        .size:           8
        .value_kind:     global_buffer
      - .actual_access:  write_only
        .address_space:  global
        .offset:         16
        .size:           8
        .value_kind:     global_buffer
      - .offset:         24
        .size:           4
        .value_kind:     by_value
      - .offset:         28
        .size:           4
        .value_kind:     by_value
      - .offset:         32
        .size:           4
        .value_kind:     by_value
      - .offset:         40
        .size:           4
        .value_kind:     hidden_block_count_x
      - .offset:         44
        .size:           4
        .value_kind:     hidden_block_count_y
      - .offset:         48
        .size:           4
        .value_kind:     hidden_block_count_z
      - .offset:         52
        .size:           2
        .value_kind:     hidden_group_size_x
      - .offset:         54
        .size:           2
        .value_kind:     hidden_group_size_y
      - .offset:         56
        .size:           2
        .value_kind:     hidden_group_size_z
      - .offset:         58
        .size:           2
        .value_kind:     hidden_remainder_x
      - .offset:         60
        .size:           2
        .value_kind:     hidden_remainder_y
      - .offset:         62
        .size:           2
        .value_kind:     hidden_remainder_z
      - .offset:         80
        .size:           8
        .value_kind:     hidden_global_offset_x
      - .offset:         88
        .size:           8
        .value_kind:     hidden_global_offset_y
      - .offset:         96
        .size:           8
        .value_kind:     hidden_global_offset_z
      - .offset:         104
        .size:           2
        .value_kind:     hidden_grid_dims
    .group_segment_fixed_size: 0
    .kernarg_segment_align: 8
    .kernarg_segment_size: 296
    .language:       OpenCL C
    .language_version:
      - 2
      - 0
    .max_flat_workgroup_size: 1024
    .name:           _ZL13mul_mat_vec_qIN3c104HalfELi32ELi4E10block_q5_0Li2EXadL_ZL17vec_dot_q5_0_q8_1PKvPK10block_q8_1RKiEEEvS4_S4_PT_iii
    .private_segment_fixed_size: 0
    .sgpr_count:     24
    .sgpr_spill_count: 0
    .symbol:         _ZL13mul_mat_vec_qIN3c104HalfELi32ELi4E10block_q5_0Li2EXadL_ZL17vec_dot_q5_0_q8_1PKvPK10block_q8_1RKiEEEvS4_S4_PT_iii.kd
    .uniform_work_group_size: 1
    .uses_dynamic_stack: false
    .vgpr_count:     37
    .vgpr_spill_count: 0
    .wavefront_size: 64
  - .agpr_count:     0
    .args:
      - .actual_access:  read_only
        .address_space:  global
        .offset:         0
        .size:           8
        .value_kind:     global_buffer
      - .actual_access:  read_only
        .address_space:  global
        .offset:         8
        .size:           8
        .value_kind:     global_buffer
      - .actual_access:  write_only
        .address_space:  global
        .offset:         16
        .size:           8
        .value_kind:     global_buffer
      - .offset:         24
        .size:           4
        .value_kind:     by_value
      - .offset:         28
        .size:           4
        .value_kind:     by_value
      - .offset:         32
        .size:           4
        .value_kind:     by_value
      - .offset:         40
        .size:           4
        .value_kind:     hidden_block_count_x
      - .offset:         44
        .size:           4
        .value_kind:     hidden_block_count_y
      - .offset:         48
        .size:           4
        .value_kind:     hidden_block_count_z
      - .offset:         52
        .size:           2
        .value_kind:     hidden_group_size_x
      - .offset:         54
        .size:           2
        .value_kind:     hidden_group_size_y
      - .offset:         56
        .size:           2
        .value_kind:     hidden_group_size_z
      - .offset:         58
        .size:           2
        .value_kind:     hidden_remainder_x
      - .offset:         60
        .size:           2
        .value_kind:     hidden_remainder_y
      - .offset:         62
        .size:           2
        .value_kind:     hidden_remainder_z
      - .offset:         80
        .size:           8
        .value_kind:     hidden_global_offset_x
      - .offset:         88
        .size:           8
        .value_kind:     hidden_global_offset_y
      - .offset:         96
        .size:           8
        .value_kind:     hidden_global_offset_z
      - .offset:         104
        .size:           2
        .value_kind:     hidden_grid_dims
    .group_segment_fixed_size: 0
    .kernarg_segment_align: 8
    .kernarg_segment_size: 296
    .language:       OpenCL C
    .language_version:
      - 2
      - 0
    .max_flat_workgroup_size: 1024
    .name:           _ZL13mul_mat_vec_qIN3c104HalfELi32ELi4E10block_q5_1Li2EXadL_ZL17vec_dot_q5_1_q8_1PKvPK10block_q8_1RKiEEEvS4_S4_PT_iii
    .private_segment_fixed_size: 0
    .sgpr_count:     24
    .sgpr_spill_count: 0
    .symbol:         _ZL13mul_mat_vec_qIN3c104HalfELi32ELi4E10block_q5_1Li2EXadL_ZL17vec_dot_q5_1_q8_1PKvPK10block_q8_1RKiEEEvS4_S4_PT_iii.kd
    .uniform_work_group_size: 1
    .uses_dynamic_stack: false
    .vgpr_count:     35
    .vgpr_spill_count: 0
    .wavefront_size: 64
  - .agpr_count:     0
    .args:
      - .actual_access:  read_only
        .address_space:  global
        .offset:         0
        .size:           8
        .value_kind:     global_buffer
      - .actual_access:  read_only
        .address_space:  global
        .offset:         8
        .size:           8
        .value_kind:     global_buffer
      - .actual_access:  write_only
        .address_space:  global
        .offset:         16
        .size:           8
        .value_kind:     global_buffer
      - .offset:         24
        .size:           4
        .value_kind:     by_value
      - .offset:         28
        .size:           4
        .value_kind:     by_value
      - .offset:         32
        .size:           4
        .value_kind:     by_value
      - .offset:         40
        .size:           4
        .value_kind:     hidden_block_count_x
      - .offset:         44
        .size:           4
        .value_kind:     hidden_block_count_y
      - .offset:         48
        .size:           4
        .value_kind:     hidden_block_count_z
      - .offset:         52
        .size:           2
        .value_kind:     hidden_group_size_x
      - .offset:         54
        .size:           2
        .value_kind:     hidden_group_size_y
      - .offset:         56
        .size:           2
        .value_kind:     hidden_group_size_z
      - .offset:         58
        .size:           2
        .value_kind:     hidden_remainder_x
      - .offset:         60
        .size:           2
        .value_kind:     hidden_remainder_y
      - .offset:         62
        .size:           2
        .value_kind:     hidden_remainder_z
      - .offset:         80
        .size:           8
        .value_kind:     hidden_global_offset_x
      - .offset:         88
        .size:           8
        .value_kind:     hidden_global_offset_y
      - .offset:         96
        .size:           8
        .value_kind:     hidden_global_offset_z
      - .offset:         104
        .size:           2
        .value_kind:     hidden_grid_dims
    .group_segment_fixed_size: 0
    .kernarg_segment_align: 8
    .kernarg_segment_size: 296
    .language:       OpenCL C
    .language_version:
      - 2
      - 0
    .max_flat_workgroup_size: 1024
    .name:           _ZL13mul_mat_vec_qIN3c104HalfELi32ELi8E10block_q8_0Li2EXadL_ZL17vec_dot_q8_0_q8_1PKvPK10block_q8_1RKiEEEvS4_S4_PT_iii
    .private_segment_fixed_size: 0
    .sgpr_count:     22
    .sgpr_spill_count: 0
    .symbol:         _ZL13mul_mat_vec_qIN3c104HalfELi32ELi8E10block_q8_0Li2EXadL_ZL17vec_dot_q8_0_q8_1PKvPK10block_q8_1RKiEEEvS4_S4_PT_iii.kd
    .uniform_work_group_size: 1
    .uses_dynamic_stack: false
    .vgpr_count:     21
    .vgpr_spill_count: 0
    .wavefront_size: 64
  - .agpr_count:     0
    .args:
      - .actual_access:  read_only
        .address_space:  global
        .offset:         0
        .size:           8
        .value_kind:     global_buffer
      - .actual_access:  read_only
        .address_space:  global
        .offset:         8
        .size:           8
        .value_kind:     global_buffer
      - .actual_access:  write_only
        .address_space:  global
        .offset:         16
        .size:           8
        .value_kind:     global_buffer
      - .offset:         24
        .size:           4
        .value_kind:     by_value
      - .offset:         28
        .size:           4
        .value_kind:     by_value
      - .offset:         32
        .size:           4
        .value_kind:     by_value
      - .offset:         40
        .size:           4
        .value_kind:     hidden_block_count_x
      - .offset:         44
        .size:           4
        .value_kind:     hidden_block_count_y
      - .offset:         48
        .size:           4
        .value_kind:     hidden_block_count_z
      - .offset:         52
        .size:           2
        .value_kind:     hidden_group_size_x
      - .offset:         54
        .size:           2
        .value_kind:     hidden_group_size_y
      - .offset:         56
        .size:           2
        .value_kind:     hidden_group_size_z
      - .offset:         58
        .size:           2
        .value_kind:     hidden_remainder_x
      - .offset:         60
        .size:           2
        .value_kind:     hidden_remainder_y
      - .offset:         62
        .size:           2
        .value_kind:     hidden_remainder_z
      - .offset:         80
        .size:           8
        .value_kind:     hidden_global_offset_x
      - .offset:         88
        .size:           8
        .value_kind:     hidden_global_offset_y
      - .offset:         96
        .size:           8
        .value_kind:     hidden_global_offset_z
      - .offset:         104
        .size:           2
        .value_kind:     hidden_grid_dims
    .group_segment_fixed_size: 0
    .kernarg_segment_align: 8
    .kernarg_segment_size: 296
    .language:       OpenCL C
    .language_version:
      - 2
      - 0
    .max_flat_workgroup_size: 1024
    .name:           _ZL13mul_mat_vec_qIN3c104HalfELi256ELi16E10block_q2_KLi1EXadL_ZL17vec_dot_q2_K_q8_1PKvPK10block_q8_1RKiEEEvS4_S4_PT_iii
    .private_segment_fixed_size: 0
    .sgpr_count:     24
    .sgpr_spill_count: 0
    .symbol:         _ZL13mul_mat_vec_qIN3c104HalfELi256ELi16E10block_q2_KLi1EXadL_ZL17vec_dot_q2_K_q8_1PKvPK10block_q8_1RKiEEEvS4_S4_PT_iii.kd
    .uniform_work_group_size: 1
    .uses_dynamic_stack: false
    .vgpr_count:     47
    .vgpr_spill_count: 0
    .wavefront_size: 64
  - .agpr_count:     0
    .args:
      - .actual_access:  read_only
        .address_space:  global
        .offset:         0
        .size:           8
        .value_kind:     global_buffer
      - .actual_access:  read_only
        .address_space:  global
        .offset:         8
        .size:           8
        .value_kind:     global_buffer
      - .actual_access:  write_only
        .address_space:  global
        .offset:         16
        .size:           8
        .value_kind:     global_buffer
      - .offset:         24
        .size:           4
        .value_kind:     by_value
      - .offset:         28
        .size:           4
        .value_kind:     by_value
      - .offset:         32
        .size:           4
        .value_kind:     by_value
      - .offset:         40
        .size:           4
        .value_kind:     hidden_block_count_x
      - .offset:         44
        .size:           4
        .value_kind:     hidden_block_count_y
      - .offset:         48
        .size:           4
        .value_kind:     hidden_block_count_z
      - .offset:         52
        .size:           2
        .value_kind:     hidden_group_size_x
      - .offset:         54
        .size:           2
        .value_kind:     hidden_group_size_y
      - .offset:         56
        .size:           2
        .value_kind:     hidden_group_size_z
      - .offset:         58
        .size:           2
        .value_kind:     hidden_remainder_x
      - .offset:         60
        .size:           2
        .value_kind:     hidden_remainder_y
      - .offset:         62
        .size:           2
        .value_kind:     hidden_remainder_z
      - .offset:         80
        .size:           8
        .value_kind:     hidden_global_offset_x
      - .offset:         88
        .size:           8
        .value_kind:     hidden_global_offset_y
      - .offset:         96
        .size:           8
        .value_kind:     hidden_global_offset_z
      - .offset:         104
        .size:           2
        .value_kind:     hidden_grid_dims
    .group_segment_fixed_size: 0
    .kernarg_segment_align: 8
    .kernarg_segment_size: 296
    .language:       OpenCL C
    .language_version:
      - 2
      - 0
    .max_flat_workgroup_size: 1024
    .name:           _ZL13mul_mat_vec_qIN3c104HalfELi256ELi16E10block_q3_KLi1EXadL_ZL17vec_dot_q3_K_q8_1PKvPK10block_q8_1RKiEEEvS4_S4_PT_iii
    .private_segment_fixed_size: 0
    .sgpr_count:     24
    .sgpr_spill_count: 0
    .symbol:         _ZL13mul_mat_vec_qIN3c104HalfELi256ELi16E10block_q3_KLi1EXadL_ZL17vec_dot_q3_K_q8_1PKvPK10block_q8_1RKiEEEvS4_S4_PT_iii.kd
    .uniform_work_group_size: 1
    .uses_dynamic_stack: false
    .vgpr_count:     56
    .vgpr_spill_count: 0
    .wavefront_size: 64
  - .agpr_count:     0
    .args:
      - .actual_access:  read_only
        .address_space:  global
        .offset:         0
        .size:           8
        .value_kind:     global_buffer
      - .actual_access:  read_only
        .address_space:  global
        .offset:         8
        .size:           8
        .value_kind:     global_buffer
      - .actual_access:  write_only
        .address_space:  global
        .offset:         16
        .size:           8
        .value_kind:     global_buffer
      - .offset:         24
        .size:           4
        .value_kind:     by_value
      - .offset:         28
        .size:           4
        .value_kind:     by_value
      - .offset:         32
        .size:           4
        .value_kind:     by_value
      - .offset:         40
        .size:           4
        .value_kind:     hidden_block_count_x
      - .offset:         44
        .size:           4
        .value_kind:     hidden_block_count_y
      - .offset:         48
        .size:           4
        .value_kind:     hidden_block_count_z
      - .offset:         52
        .size:           2
        .value_kind:     hidden_group_size_x
      - .offset:         54
        .size:           2
        .value_kind:     hidden_group_size_y
      - .offset:         56
        .size:           2
        .value_kind:     hidden_group_size_z
      - .offset:         58
        .size:           2
        .value_kind:     hidden_remainder_x
      - .offset:         60
        .size:           2
        .value_kind:     hidden_remainder_y
      - .offset:         62
        .size:           2
        .value_kind:     hidden_remainder_z
      - .offset:         80
        .size:           8
        .value_kind:     hidden_global_offset_x
      - .offset:         88
        .size:           8
        .value_kind:     hidden_global_offset_y
      - .offset:         96
        .size:           8
        .value_kind:     hidden_global_offset_z
      - .offset:         104
        .size:           2
        .value_kind:     hidden_grid_dims
    .group_segment_fixed_size: 0
    .kernarg_segment_align: 8
    .kernarg_segment_size: 296
    .language:       OpenCL C
    .language_version:
      - 2
      - 0
    .max_flat_workgroup_size: 1024
    .name:           _ZL13mul_mat_vec_qIN3c104HalfELi256ELi32E10block_q4_KLi2EXadL_ZL17vec_dot_q4_K_q8_1PKvPK10block_q8_1RKiEEEvS4_S4_PT_iii
    .private_segment_fixed_size: 0
    .sgpr_count:     22
    .sgpr_spill_count: 0
    .symbol:         _ZL13mul_mat_vec_qIN3c104HalfELi256ELi32E10block_q4_KLi2EXadL_ZL17vec_dot_q4_K_q8_1PKvPK10block_q8_1RKiEEEvS4_S4_PT_iii.kd
    .uniform_work_group_size: 1
    .uses_dynamic_stack: false
    .vgpr_count:     40
    .vgpr_spill_count: 0
    .wavefront_size: 64
  - .agpr_count:     0
    .args:
      - .actual_access:  read_only
        .address_space:  global
        .offset:         0
        .size:           8
        .value_kind:     global_buffer
      - .actual_access:  read_only
        .address_space:  global
        .offset:         8
        .size:           8
        .value_kind:     global_buffer
      - .actual_access:  write_only
        .address_space:  global
        .offset:         16
        .size:           8
        .value_kind:     global_buffer
      - .offset:         24
        .size:           4
        .value_kind:     by_value
      - .offset:         28
        .size:           4
        .value_kind:     by_value
      - .offset:         32
        .size:           4
        .value_kind:     by_value
      - .offset:         40
        .size:           4
        .value_kind:     hidden_block_count_x
      - .offset:         44
        .size:           4
        .value_kind:     hidden_block_count_y
      - .offset:         48
        .size:           4
        .value_kind:     hidden_block_count_z
      - .offset:         52
        .size:           2
        .value_kind:     hidden_group_size_x
      - .offset:         54
        .size:           2
        .value_kind:     hidden_group_size_y
      - .offset:         56
        .size:           2
        .value_kind:     hidden_group_size_z
      - .offset:         58
        .size:           2
        .value_kind:     hidden_remainder_x
      - .offset:         60
        .size:           2
        .value_kind:     hidden_remainder_y
      - .offset:         62
        .size:           2
        .value_kind:     hidden_remainder_z
      - .offset:         80
        .size:           8
        .value_kind:     hidden_global_offset_x
      - .offset:         88
        .size:           8
        .value_kind:     hidden_global_offset_y
      - .offset:         96
        .size:           8
        .value_kind:     hidden_global_offset_z
      - .offset:         104
        .size:           2
        .value_kind:     hidden_grid_dims
    .group_segment_fixed_size: 0
    .kernarg_segment_align: 8
    .kernarg_segment_size: 296
    .language:       OpenCL C
    .language_version:
      - 2
      - 0
    .max_flat_workgroup_size: 1024
    .name:           _ZL13mul_mat_vec_qIN3c104HalfELi256ELi32E10block_q5_KLi2EXadL_ZL17vec_dot_q5_K_q8_1PKvPK10block_q8_1RKiEEEvS4_S4_PT_iii
    .private_segment_fixed_size: 0
    .sgpr_count:     22
    .sgpr_spill_count: 0
    .symbol:         _ZL13mul_mat_vec_qIN3c104HalfELi256ELi32E10block_q5_KLi2EXadL_ZL17vec_dot_q5_K_q8_1PKvPK10block_q8_1RKiEEEvS4_S4_PT_iii.kd
    .uniform_work_group_size: 1
    .uses_dynamic_stack: false
    .vgpr_count:     42
    .vgpr_spill_count: 0
    .wavefront_size: 64
  - .agpr_count:     0
    .args:
      - .actual_access:  read_only
        .address_space:  global
        .offset:         0
        .size:           8
        .value_kind:     global_buffer
      - .actual_access:  read_only
        .address_space:  global
        .offset:         8
        .size:           8
        .value_kind:     global_buffer
      - .actual_access:  write_only
        .address_space:  global
        .offset:         16
        .size:           8
        .value_kind:     global_buffer
      - .offset:         24
        .size:           4
        .value_kind:     by_value
      - .offset:         28
        .size:           4
        .value_kind:     by_value
      - .offset:         32
        .size:           4
        .value_kind:     by_value
      - .offset:         40
        .size:           4
        .value_kind:     hidden_block_count_x
      - .offset:         44
        .size:           4
        .value_kind:     hidden_block_count_y
      - .offset:         48
        .size:           4
        .value_kind:     hidden_block_count_z
      - .offset:         52
        .size:           2
        .value_kind:     hidden_group_size_x
      - .offset:         54
        .size:           2
        .value_kind:     hidden_group_size_y
      - .offset:         56
        .size:           2
        .value_kind:     hidden_group_size_z
      - .offset:         58
        .size:           2
        .value_kind:     hidden_remainder_x
      - .offset:         60
        .size:           2
        .value_kind:     hidden_remainder_y
      - .offset:         62
        .size:           2
        .value_kind:     hidden_remainder_z
      - .offset:         80
        .size:           8
        .value_kind:     hidden_global_offset_x
      - .offset:         88
        .size:           8
        .value_kind:     hidden_global_offset_y
      - .offset:         96
        .size:           8
        .value_kind:     hidden_global_offset_z
      - .offset:         104
        .size:           2
        .value_kind:     hidden_grid_dims
    .group_segment_fixed_size: 0
    .kernarg_segment_align: 8
    .kernarg_segment_size: 296
    .language:       OpenCL C
    .language_version:
      - 2
      - 0
    .max_flat_workgroup_size: 1024
    .name:           _ZL13mul_mat_vec_qIN3c104HalfELi256ELi32E10block_q6_KLi1EXadL_ZL17vec_dot_q6_K_q8_1PKvPK10block_q8_1RKiEEEvS4_S4_PT_iii
    .private_segment_fixed_size: 0
    .sgpr_count:     22
    .sgpr_spill_count: 0
    .symbol:         _ZL13mul_mat_vec_qIN3c104HalfELi256ELi32E10block_q6_KLi1EXadL_ZL17vec_dot_q6_K_q8_1PKvPK10block_q8_1RKiEEEvS4_S4_PT_iii.kd
    .uniform_work_group_size: 1
    .uses_dynamic_stack: false
    .vgpr_count:     37
    .vgpr_spill_count: 0
    .wavefront_size: 64
  - .agpr_count:     0
    .args:
      - .actual_access:  read_only
        .address_space:  global
        .offset:         0
        .size:           8
        .value_kind:     global_buffer
      - .actual_access:  read_only
        .address_space:  global
        .offset:         8
        .size:           8
        .value_kind:     global_buffer
      - .actual_access:  write_only
        .address_space:  global
        .offset:         16
        .size:           8
        .value_kind:     global_buffer
      - .offset:         24
        .size:           4
        .value_kind:     by_value
      - .offset:         28
        .size:           4
        .value_kind:     by_value
      - .offset:         32
        .size:           4
        .value_kind:     by_value
      - .offset:         40
        .size:           4
        .value_kind:     hidden_block_count_x
      - .offset:         44
        .size:           4
        .value_kind:     hidden_block_count_y
      - .offset:         48
        .size:           4
        .value_kind:     hidden_block_count_z
      - .offset:         52
        .size:           2
        .value_kind:     hidden_group_size_x
      - .offset:         54
        .size:           2
        .value_kind:     hidden_group_size_y
      - .offset:         56
        .size:           2
        .value_kind:     hidden_group_size_z
      - .offset:         58
        .size:           2
        .value_kind:     hidden_remainder_x
      - .offset:         60
        .size:           2
        .value_kind:     hidden_remainder_y
      - .offset:         62
        .size:           2
        .value_kind:     hidden_remainder_z
      - .offset:         80
        .size:           8
        .value_kind:     hidden_global_offset_x
      - .offset:         88
        .size:           8
        .value_kind:     hidden_global_offset_y
      - .offset:         96
        .size:           8
        .value_kind:     hidden_global_offset_z
      - .offset:         104
        .size:           2
        .value_kind:     hidden_grid_dims
    .group_segment_fixed_size: 0
    .kernarg_segment_align: 8
    .kernarg_segment_size: 296
    .language:       OpenCL C
    .language_version:
      - 2
      - 0
    .max_flat_workgroup_size: 1024
    .name:           _ZL13mul_mat_vec_qIN3c104HalfELi256ELi8E13block_iq2_xxsLi1EXadL_ZL20vec_dot_iq2_xxs_q8_1PKvPK10block_q8_1RKiEEEvS4_S4_PT_iii
    .private_segment_fixed_size: 0
    .sgpr_count:     22
    .sgpr_spill_count: 0
    .symbol:         _ZL13mul_mat_vec_qIN3c104HalfELi256ELi8E13block_iq2_xxsLi1EXadL_ZL20vec_dot_iq2_xxs_q8_1PKvPK10block_q8_1RKiEEEvS4_S4_PT_iii.kd
    .uniform_work_group_size: 1
    .uses_dynamic_stack: false
    .vgpr_count:     31
    .vgpr_spill_count: 0
    .wavefront_size: 64
  - .agpr_count:     0
    .args:
      - .actual_access:  read_only
        .address_space:  global
        .offset:         0
        .size:           8
        .value_kind:     global_buffer
      - .actual_access:  read_only
        .address_space:  global
        .offset:         8
        .size:           8
        .value_kind:     global_buffer
      - .actual_access:  write_only
        .address_space:  global
        .offset:         16
        .size:           8
        .value_kind:     global_buffer
      - .offset:         24
        .size:           4
        .value_kind:     by_value
      - .offset:         28
        .size:           4
        .value_kind:     by_value
      - .offset:         32
        .size:           4
        .value_kind:     by_value
      - .offset:         40
        .size:           4
        .value_kind:     hidden_block_count_x
      - .offset:         44
        .size:           4
        .value_kind:     hidden_block_count_y
      - .offset:         48
        .size:           4
        .value_kind:     hidden_block_count_z
      - .offset:         52
        .size:           2
        .value_kind:     hidden_group_size_x
      - .offset:         54
        .size:           2
        .value_kind:     hidden_group_size_y
      - .offset:         56
        .size:           2
        .value_kind:     hidden_group_size_z
      - .offset:         58
        .size:           2
        .value_kind:     hidden_remainder_x
      - .offset:         60
        .size:           2
        .value_kind:     hidden_remainder_y
      - .offset:         62
        .size:           2
        .value_kind:     hidden_remainder_z
      - .offset:         80
        .size:           8
        .value_kind:     hidden_global_offset_x
      - .offset:         88
        .size:           8
        .value_kind:     hidden_global_offset_y
      - .offset:         96
        .size:           8
        .value_kind:     hidden_global_offset_z
      - .offset:         104
        .size:           2
        .value_kind:     hidden_grid_dims
    .group_segment_fixed_size: 0
    .kernarg_segment_align: 8
    .kernarg_segment_size: 296
    .language:       OpenCL C
    .language_version:
      - 2
      - 0
    .max_flat_workgroup_size: 1024
    .name:           _ZL13mul_mat_vec_qIN3c104HalfELi256ELi8E12block_iq2_xsLi1EXadL_ZL19vec_dot_iq2_xs_q8_1PKvPK10block_q8_1RKiEEEvS4_S4_PT_iii
    .private_segment_fixed_size: 0
    .sgpr_count:     22
    .sgpr_spill_count: 0
    .symbol:         _ZL13mul_mat_vec_qIN3c104HalfELi256ELi8E12block_iq2_xsLi1EXadL_ZL19vec_dot_iq2_xs_q8_1PKvPK10block_q8_1RKiEEEvS4_S4_PT_iii.kd
    .uniform_work_group_size: 1
    .uses_dynamic_stack: false
    .vgpr_count:     39
    .vgpr_spill_count: 0
    .wavefront_size: 64
  - .agpr_count:     0
    .args:
      - .actual_access:  read_only
        .address_space:  global
        .offset:         0
        .size:           8
        .value_kind:     global_buffer
      - .actual_access:  read_only
        .address_space:  global
        .offset:         8
        .size:           8
        .value_kind:     global_buffer
      - .actual_access:  write_only
        .address_space:  global
        .offset:         16
        .size:           8
        .value_kind:     global_buffer
      - .offset:         24
        .size:           4
        .value_kind:     by_value
      - .offset:         28
        .size:           4
        .value_kind:     by_value
      - .offset:         32
        .size:           4
        .value_kind:     by_value
      - .offset:         40
        .size:           4
        .value_kind:     hidden_block_count_x
      - .offset:         44
        .size:           4
        .value_kind:     hidden_block_count_y
      - .offset:         48
        .size:           4
        .value_kind:     hidden_block_count_z
      - .offset:         52
        .size:           2
        .value_kind:     hidden_group_size_x
      - .offset:         54
        .size:           2
        .value_kind:     hidden_group_size_y
      - .offset:         56
        .size:           2
        .value_kind:     hidden_group_size_z
      - .offset:         58
        .size:           2
        .value_kind:     hidden_remainder_x
      - .offset:         60
        .size:           2
        .value_kind:     hidden_remainder_y
      - .offset:         62
        .size:           2
        .value_kind:     hidden_remainder_z
      - .offset:         80
        .size:           8
        .value_kind:     hidden_global_offset_x
      - .offset:         88
        .size:           8
        .value_kind:     hidden_global_offset_y
      - .offset:         96
        .size:           8
        .value_kind:     hidden_global_offset_z
      - .offset:         104
        .size:           2
        .value_kind:     hidden_grid_dims
    .group_segment_fixed_size: 0
    .kernarg_segment_align: 8
    .kernarg_segment_size: 296
    .language:       OpenCL C
    .language_version:
      - 2
      - 0
    .max_flat_workgroup_size: 1024
    .name:           _ZL13mul_mat_vec_qIN3c104HalfELi256ELi8E13block_iq3_xxsLi1EXadL_ZL20vec_dot_iq3_xxs_q8_1PKvPK10block_q8_1RKiEEEvS4_S4_PT_iii
    .private_segment_fixed_size: 0
    .sgpr_count:     24
    .sgpr_spill_count: 0
    .symbol:         _ZL13mul_mat_vec_qIN3c104HalfELi256ELi8E13block_iq3_xxsLi1EXadL_ZL20vec_dot_iq3_xxs_q8_1PKvPK10block_q8_1RKiEEEvS4_S4_PT_iii.kd
    .uniform_work_group_size: 1
    .uses_dynamic_stack: false
    .vgpr_count:     61
    .vgpr_spill_count: 0
    .wavefront_size: 64
  - .agpr_count:     0
    .args:
      - .actual_access:  read_only
        .address_space:  global
        .offset:         0
        .size:           8
        .value_kind:     global_buffer
      - .actual_access:  read_only
        .address_space:  global
        .offset:         8
        .size:           8
        .value_kind:     global_buffer
      - .actual_access:  write_only
        .address_space:  global
        .offset:         16
        .size:           8
        .value_kind:     global_buffer
      - .offset:         24
        .size:           4
        .value_kind:     by_value
      - .offset:         28
        .size:           4
        .value_kind:     by_value
      - .offset:         32
        .size:           4
        .value_kind:     by_value
      - .offset:         40
        .size:           4
        .value_kind:     hidden_block_count_x
      - .offset:         44
        .size:           4
        .value_kind:     hidden_block_count_y
      - .offset:         48
        .size:           4
        .value_kind:     hidden_block_count_z
      - .offset:         52
        .size:           2
        .value_kind:     hidden_group_size_x
      - .offset:         54
        .size:           2
        .value_kind:     hidden_group_size_y
      - .offset:         56
        .size:           2
        .value_kind:     hidden_group_size_z
      - .offset:         58
        .size:           2
        .value_kind:     hidden_remainder_x
      - .offset:         60
        .size:           2
        .value_kind:     hidden_remainder_y
      - .offset:         62
        .size:           2
        .value_kind:     hidden_remainder_z
      - .offset:         80
        .size:           8
        .value_kind:     hidden_global_offset_x
      - .offset:         88
        .size:           8
        .value_kind:     hidden_global_offset_y
      - .offset:         96
        .size:           8
        .value_kind:     hidden_global_offset_z
      - .offset:         104
        .size:           2
        .value_kind:     hidden_grid_dims
    .group_segment_fixed_size: 0
    .kernarg_segment_align: 8
    .kernarg_segment_size: 296
    .language:       OpenCL C
    .language_version:
      - 2
      - 0
    .max_flat_workgroup_size: 1024
    .name:           _ZL13mul_mat_vec_qIN3c104HalfELi256ELi8E11block_iq1_sLi1EXadL_ZL18vec_dot_iq1_s_q8_1PKvPK10block_q8_1RKiEEEvS4_S4_PT_iii
    .private_segment_fixed_size: 0
    .sgpr_count:     24
    .sgpr_spill_count: 0
    .symbol:         _ZL13mul_mat_vec_qIN3c104HalfELi256ELi8E11block_iq1_sLi1EXadL_ZL18vec_dot_iq1_s_q8_1PKvPK10block_q8_1RKiEEEvS4_S4_PT_iii.kd
    .uniform_work_group_size: 1
    .uses_dynamic_stack: false
    .vgpr_count:     34
    .vgpr_spill_count: 0
    .wavefront_size: 64
  - .agpr_count:     0
    .args:
      - .actual_access:  read_only
        .address_space:  global
        .offset:         0
        .size:           8
        .value_kind:     global_buffer
      - .actual_access:  read_only
        .address_space:  global
        .offset:         8
        .size:           8
        .value_kind:     global_buffer
      - .actual_access:  write_only
        .address_space:  global
        .offset:         16
        .size:           8
        .value_kind:     global_buffer
      - .offset:         24
        .size:           4
        .value_kind:     by_value
      - .offset:         28
        .size:           4
        .value_kind:     by_value
      - .offset:         32
        .size:           4
        .value_kind:     by_value
      - .offset:         40
        .size:           4
        .value_kind:     hidden_block_count_x
      - .offset:         44
        .size:           4
        .value_kind:     hidden_block_count_y
      - .offset:         48
        .size:           4
        .value_kind:     hidden_block_count_z
      - .offset:         52
        .size:           2
        .value_kind:     hidden_group_size_x
      - .offset:         54
        .size:           2
        .value_kind:     hidden_group_size_y
      - .offset:         56
        .size:           2
        .value_kind:     hidden_group_size_z
      - .offset:         58
        .size:           2
        .value_kind:     hidden_remainder_x
      - .offset:         60
        .size:           2
        .value_kind:     hidden_remainder_y
      - .offset:         62
        .size:           2
        .value_kind:     hidden_remainder_z
      - .offset:         80
        .size:           8
        .value_kind:     hidden_global_offset_x
      - .offset:         88
        .size:           8
        .value_kind:     hidden_global_offset_y
      - .offset:         96
        .size:           8
        .value_kind:     hidden_global_offset_z
      - .offset:         104
        .size:           2
        .value_kind:     hidden_grid_dims
    .group_segment_fixed_size: 0
    .kernarg_segment_align: 8
    .kernarg_segment_size: 296
    .language:       OpenCL C
    .language_version:
      - 2
      - 0
    .max_flat_workgroup_size: 1024
    .name:           _ZL13mul_mat_vec_qIN3c104HalfELi32ELi4E12block_iq4_nlLi2EXadL_ZL19vec_dot_iq4_nl_q8_1PKvPK10block_q8_1RKiEEEvS4_S4_PT_iii
    .private_segment_fixed_size: 0
    .sgpr_count:     24
    .sgpr_spill_count: 0
    .symbol:         _ZL13mul_mat_vec_qIN3c104HalfELi32ELi4E12block_iq4_nlLi2EXadL_ZL19vec_dot_iq4_nl_q8_1PKvPK10block_q8_1RKiEEEvS4_S4_PT_iii.kd
    .uniform_work_group_size: 1
    .uses_dynamic_stack: false
    .vgpr_count:     47
    .vgpr_spill_count: 0
    .wavefront_size: 64
  - .agpr_count:     0
    .args:
      - .actual_access:  read_only
        .address_space:  global
        .offset:         0
        .size:           8
        .value_kind:     global_buffer
      - .actual_access:  read_only
        .address_space:  global
        .offset:         8
        .size:           8
        .value_kind:     global_buffer
      - .actual_access:  write_only
        .address_space:  global
        .offset:         16
        .size:           8
        .value_kind:     global_buffer
      - .offset:         24
        .size:           4
        .value_kind:     by_value
      - .offset:         28
        .size:           4
        .value_kind:     by_value
      - .offset:         32
        .size:           4
        .value_kind:     by_value
      - .offset:         40
        .size:           4
        .value_kind:     hidden_block_count_x
      - .offset:         44
        .size:           4
        .value_kind:     hidden_block_count_y
      - .offset:         48
        .size:           4
        .value_kind:     hidden_block_count_z
      - .offset:         52
        .size:           2
        .value_kind:     hidden_group_size_x
      - .offset:         54
        .size:           2
        .value_kind:     hidden_group_size_y
      - .offset:         56
        .size:           2
        .value_kind:     hidden_group_size_z
      - .offset:         58
        .size:           2
        .value_kind:     hidden_remainder_x
      - .offset:         60
        .size:           2
        .value_kind:     hidden_remainder_y
      - .offset:         62
        .size:           2
        .value_kind:     hidden_remainder_z
      - .offset:         80
        .size:           8
        .value_kind:     hidden_global_offset_x
      - .offset:         88
        .size:           8
        .value_kind:     hidden_global_offset_y
      - .offset:         96
        .size:           8
        .value_kind:     hidden_global_offset_z
      - .offset:         104
        .size:           2
        .value_kind:     hidden_grid_dims
    .group_segment_fixed_size: 0
    .kernarg_segment_align: 8
    .kernarg_segment_size: 296
    .language:       OpenCL C
    .language_version:
      - 2
      - 0
    .max_flat_workgroup_size: 1024
    .name:           _ZL13mul_mat_vec_qIN3c104HalfELi256ELi8E11block_iq3_sLi1EXadL_ZL18vec_dot_iq3_s_q8_1PKvPK10block_q8_1RKiEEEvS4_S4_PT_iii
    .private_segment_fixed_size: 0
    .sgpr_count:     25
    .sgpr_spill_count: 0
    .symbol:         _ZL13mul_mat_vec_qIN3c104HalfELi256ELi8E11block_iq3_sLi1EXadL_ZL18vec_dot_iq3_s_q8_1PKvPK10block_q8_1RKiEEEvS4_S4_PT_iii.kd
    .uniform_work_group_size: 1
    .uses_dynamic_stack: false
    .vgpr_count:     48
    .vgpr_spill_count: 0
    .wavefront_size: 64
  - .agpr_count:     0
    .args:
      - .actual_access:  read_only
        .address_space:  global
        .offset:         0
        .size:           8
        .value_kind:     global_buffer
      - .actual_access:  read_only
        .address_space:  global
        .offset:         8
        .size:           8
        .value_kind:     global_buffer
      - .actual_access:  write_only
        .address_space:  global
        .offset:         16
        .size:           8
        .value_kind:     global_buffer
      - .offset:         24
        .size:           4
        .value_kind:     by_value
      - .offset:         28
        .size:           4
        .value_kind:     by_value
      - .offset:         32
        .size:           4
        .value_kind:     by_value
      - .offset:         40
        .size:           4
        .value_kind:     hidden_block_count_x
      - .offset:         44
        .size:           4
        .value_kind:     hidden_block_count_y
      - .offset:         48
        .size:           4
        .value_kind:     hidden_block_count_z
      - .offset:         52
        .size:           2
        .value_kind:     hidden_group_size_x
      - .offset:         54
        .size:           2
        .value_kind:     hidden_group_size_y
      - .offset:         56
        .size:           2
        .value_kind:     hidden_group_size_z
      - .offset:         58
        .size:           2
        .value_kind:     hidden_remainder_x
      - .offset:         60
        .size:           2
        .value_kind:     hidden_remainder_y
      - .offset:         62
        .size:           2
        .value_kind:     hidden_remainder_z
      - .offset:         80
        .size:           8
        .value_kind:     hidden_global_offset_x
      - .offset:         88
        .size:           8
        .value_kind:     hidden_global_offset_y
      - .offset:         96
        .size:           8
        .value_kind:     hidden_global_offset_z
      - .offset:         104
        .size:           2
        .value_kind:     hidden_grid_dims
    .group_segment_fixed_size: 0
    .kernarg_segment_align: 8
    .kernarg_segment_size: 296
    .language:       OpenCL C
    .language_version:
      - 2
      - 0
    .max_flat_workgroup_size: 1024
    .name:           _ZL13mul_mat_vec_qIN3c104HalfELi256ELi8E11block_iq2_sLi1EXadL_ZL18vec_dot_iq2_s_q8_1PKvPK10block_q8_1RKiEEEvS4_S4_PT_iii
    .private_segment_fixed_size: 0
    .sgpr_count:     24
    .sgpr_spill_count: 0
    .symbol:         _ZL13mul_mat_vec_qIN3c104HalfELi256ELi8E11block_iq2_sLi1EXadL_ZL18vec_dot_iq2_s_q8_1PKvPK10block_q8_1RKiEEEvS4_S4_PT_iii.kd
    .uniform_work_group_size: 1
    .uses_dynamic_stack: false
    .vgpr_count:     65
    .vgpr_spill_count: 0
    .wavefront_size: 64
  - .agpr_count:     0
    .args:
      - .actual_access:  read_only
        .address_space:  global
        .offset:         0
        .size:           8
        .value_kind:     global_buffer
      - .actual_access:  read_only
        .address_space:  global
        .offset:         8
        .size:           8
        .value_kind:     global_buffer
      - .actual_access:  write_only
        .address_space:  global
        .offset:         16
        .size:           8
        .value_kind:     global_buffer
      - .offset:         24
        .size:           4
        .value_kind:     by_value
      - .offset:         28
        .size:           4
        .value_kind:     by_value
      - .offset:         32
        .size:           4
        .value_kind:     by_value
      - .offset:         40
        .size:           4
        .value_kind:     hidden_block_count_x
      - .offset:         44
        .size:           4
        .value_kind:     hidden_block_count_y
      - .offset:         48
        .size:           4
        .value_kind:     hidden_block_count_z
      - .offset:         52
        .size:           2
        .value_kind:     hidden_group_size_x
      - .offset:         54
        .size:           2
        .value_kind:     hidden_group_size_y
      - .offset:         56
        .size:           2
        .value_kind:     hidden_group_size_z
      - .offset:         58
        .size:           2
        .value_kind:     hidden_remainder_x
      - .offset:         60
        .size:           2
        .value_kind:     hidden_remainder_y
      - .offset:         62
        .size:           2
        .value_kind:     hidden_remainder_z
      - .offset:         80
        .size:           8
        .value_kind:     hidden_global_offset_x
      - .offset:         88
        .size:           8
        .value_kind:     hidden_global_offset_y
      - .offset:         96
        .size:           8
        .value_kind:     hidden_global_offset_z
      - .offset:         104
        .size:           2
        .value_kind:     hidden_grid_dims
    .group_segment_fixed_size: 0
    .kernarg_segment_align: 8
    .kernarg_segment_size: 296
    .language:       OpenCL C
    .language_version:
      - 2
      - 0
    .max_flat_workgroup_size: 1024
    .name:           _ZL13mul_mat_vec_qIN3c104HalfELi256ELi8E12block_iq4_xsLi1EXadL_ZL19vec_dot_iq4_xs_q8_1PKvPK10block_q8_1RKiEEEvS4_S4_PT_iii
    .private_segment_fixed_size: 0
    .sgpr_count:     22
    .sgpr_spill_count: 0
    .symbol:         _ZL13mul_mat_vec_qIN3c104HalfELi256ELi8E12block_iq4_xsLi1EXadL_ZL19vec_dot_iq4_xs_q8_1PKvPK10block_q8_1RKiEEEvS4_S4_PT_iii.kd
    .uniform_work_group_size: 1
    .uses_dynamic_stack: false
    .vgpr_count:     64
    .vgpr_spill_count: 0
    .wavefront_size: 64
  - .agpr_count:     0
    .args:
      - .actual_access:  read_only
        .address_space:  global
        .offset:         0
        .size:           8
        .value_kind:     global_buffer
      - .actual_access:  read_only
        .address_space:  global
        .offset:         8
        .size:           8
        .value_kind:     global_buffer
      - .actual_access:  write_only
        .address_space:  global
        .offset:         16
        .size:           8
        .value_kind:     global_buffer
      - .offset:         24
        .size:           4
        .value_kind:     by_value
      - .offset:         28
        .size:           4
        .value_kind:     by_value
      - .offset:         32
        .size:           4
        .value_kind:     by_value
      - .offset:         40
        .size:           4
        .value_kind:     hidden_block_count_x
      - .offset:         44
        .size:           4
        .value_kind:     hidden_block_count_y
      - .offset:         48
        .size:           4
        .value_kind:     hidden_block_count_z
      - .offset:         52
        .size:           2
        .value_kind:     hidden_group_size_x
      - .offset:         54
        .size:           2
        .value_kind:     hidden_group_size_y
      - .offset:         56
        .size:           2
        .value_kind:     hidden_group_size_z
      - .offset:         58
        .size:           2
        .value_kind:     hidden_remainder_x
      - .offset:         60
        .size:           2
        .value_kind:     hidden_remainder_y
      - .offset:         62
        .size:           2
        .value_kind:     hidden_remainder_z
      - .offset:         80
        .size:           8
        .value_kind:     hidden_global_offset_x
      - .offset:         88
        .size:           8
        .value_kind:     hidden_global_offset_y
      - .offset:         96
        .size:           8
        .value_kind:     hidden_global_offset_z
      - .offset:         104
        .size:           2
        .value_kind:     hidden_grid_dims
    .group_segment_fixed_size: 0
    .kernarg_segment_align: 8
    .kernarg_segment_size: 296
    .language:       OpenCL C
    .language_version:
      - 2
      - 0
    .max_flat_workgroup_size: 1024
    .name:           _ZL13mul_mat_vec_qIN3c104HalfELi256ELi8E11block_iq1_mLi1EXadL_ZL18vec_dot_iq1_m_q8_1PKvPK10block_q8_1RKiEEEvS4_S4_PT_iii
    .private_segment_fixed_size: 0
    .sgpr_count:     28
    .sgpr_spill_count: 0
    .symbol:         _ZL13mul_mat_vec_qIN3c104HalfELi256ELi8E11block_iq1_mLi1EXadL_ZL18vec_dot_iq1_m_q8_1PKvPK10block_q8_1RKiEEEvS4_S4_PT_iii.kd
    .uniform_work_group_size: 1
    .uses_dynamic_stack: false
    .vgpr_count:     47
    .vgpr_spill_count: 0
    .wavefront_size: 64
  - .agpr_count:     0
    .args:
      - .actual_access:  read_only
        .address_space:  global
        .offset:         0
        .size:           8
        .value_kind:     global_buffer
      - .actual_access:  write_only
        .address_space:  global
        .offset:         8
        .size:           8
        .value_kind:     global_buffer
      - .offset:         16
        .size:           4
        .value_kind:     by_value
      - .offset:         20
        .size:           4
        .value_kind:     by_value
      - .offset:         24
        .size:           4
        .value_kind:     hidden_block_count_x
      - .offset:         28
        .size:           4
        .value_kind:     hidden_block_count_y
      - .offset:         32
        .size:           4
        .value_kind:     hidden_block_count_z
      - .offset:         36
        .size:           2
        .value_kind:     hidden_group_size_x
      - .offset:         38
        .size:           2
        .value_kind:     hidden_group_size_y
      - .offset:         40
        .size:           2
        .value_kind:     hidden_group_size_z
      - .offset:         42
        .size:           2
        .value_kind:     hidden_remainder_x
      - .offset:         44
        .size:           2
        .value_kind:     hidden_remainder_y
      - .offset:         46
        .size:           2
        .value_kind:     hidden_remainder_z
      - .offset:         64
        .size:           8
        .value_kind:     hidden_global_offset_x
      - .offset:         72
        .size:           8
        .value_kind:     hidden_global_offset_y
      - .offset:         80
        .size:           8
        .value_kind:     hidden_global_offset_z
      - .offset:         88
        .size:           2
        .value_kind:     hidden_grid_dims
    .group_segment_fixed_size: 0
    .kernarg_segment_align: 8
    .kernarg_segment_size: 280
    .language:       OpenCL C
    .language_version:
      - 2
      - 0
    .max_flat_workgroup_size: 1024
    .name:           _ZL13quantize_q8_1IN3c108BFloat16EEvPKT_Pvii
    .private_segment_fixed_size: 0
    .sgpr_count:     16
    .sgpr_spill_count: 0
    .symbol:         _ZL13quantize_q8_1IN3c108BFloat16EEvPKT_Pvii.kd
    .uniform_work_group_size: 1
    .uses_dynamic_stack: false
    .vgpr_count:     12
    .vgpr_spill_count: 0
    .wavefront_size: 64
  - .agpr_count:     0
    .args:
      - .actual_access:  read_only
        .address_space:  global
        .offset:         0
        .size:           8
        .value_kind:     global_buffer
      - .actual_access:  read_only
        .address_space:  global
        .offset:         8
        .size:           8
        .value_kind:     global_buffer
      - .actual_access:  write_only
        .address_space:  global
        .offset:         16
        .size:           8
        .value_kind:     global_buffer
      - .offset:         24
        .size:           4
        .value_kind:     by_value
      - .offset:         28
        .size:           4
        .value_kind:     by_value
      - .offset:         32
        .size:           4
        .value_kind:     by_value
      - .offset:         40
        .size:           4
        .value_kind:     hidden_block_count_x
      - .offset:         44
        .size:           4
        .value_kind:     hidden_block_count_y
      - .offset:         48
        .size:           4
        .value_kind:     hidden_block_count_z
      - .offset:         52
        .size:           2
        .value_kind:     hidden_group_size_x
      - .offset:         54
        .size:           2
        .value_kind:     hidden_group_size_y
      - .offset:         56
        .size:           2
        .value_kind:     hidden_group_size_z
      - .offset:         58
        .size:           2
        .value_kind:     hidden_remainder_x
      - .offset:         60
        .size:           2
        .value_kind:     hidden_remainder_y
      - .offset:         62
        .size:           2
        .value_kind:     hidden_remainder_z
      - .offset:         80
        .size:           8
        .value_kind:     hidden_global_offset_x
      - .offset:         88
        .size:           8
        .value_kind:     hidden_global_offset_y
      - .offset:         96
        .size:           8
        .value_kind:     hidden_global_offset_z
      - .offset:         104
        .size:           2
        .value_kind:     hidden_grid_dims
    .group_segment_fixed_size: 0
    .kernarg_segment_align: 8
    .kernarg_segment_size: 296
    .language:       OpenCL C
    .language_version:
      - 2
      - 0
    .max_flat_workgroup_size: 1024
    .name:           _ZL13mul_mat_vec_qIN3c108BFloat16ELi32ELi4E10block_q4_0Li2EXadL_ZL17vec_dot_q4_0_q8_1PKvPK10block_q8_1RKiEEEvS4_S4_PT_iii
    .private_segment_fixed_size: 0
    .sgpr_count:     22
    .sgpr_spill_count: 0
    .symbol:         _ZL13mul_mat_vec_qIN3c108BFloat16ELi32ELi4E10block_q4_0Li2EXadL_ZL17vec_dot_q4_0_q8_1PKvPK10block_q8_1RKiEEEvS4_S4_PT_iii.kd
    .uniform_work_group_size: 1
    .uses_dynamic_stack: false
    .vgpr_count:     24
    .vgpr_spill_count: 0
    .wavefront_size: 64
  - .agpr_count:     0
    .args:
      - .actual_access:  read_only
        .address_space:  global
        .offset:         0
        .size:           8
        .value_kind:     global_buffer
      - .actual_access:  read_only
        .address_space:  global
        .offset:         8
        .size:           8
        .value_kind:     global_buffer
      - .actual_access:  write_only
        .address_space:  global
        .offset:         16
        .size:           8
        .value_kind:     global_buffer
      - .offset:         24
        .size:           4
        .value_kind:     by_value
      - .offset:         28
        .size:           4
        .value_kind:     by_value
      - .offset:         32
        .size:           4
        .value_kind:     by_value
      - .offset:         40
        .size:           4
        .value_kind:     hidden_block_count_x
      - .offset:         44
        .size:           4
        .value_kind:     hidden_block_count_y
      - .offset:         48
        .size:           4
        .value_kind:     hidden_block_count_z
      - .offset:         52
        .size:           2
        .value_kind:     hidden_group_size_x
      - .offset:         54
        .size:           2
        .value_kind:     hidden_group_size_y
      - .offset:         56
        .size:           2
        .value_kind:     hidden_group_size_z
      - .offset:         58
        .size:           2
        .value_kind:     hidden_remainder_x
      - .offset:         60
        .size:           2
        .value_kind:     hidden_remainder_y
      - .offset:         62
        .size:           2
        .value_kind:     hidden_remainder_z
      - .offset:         80
        .size:           8
        .value_kind:     hidden_global_offset_x
      - .offset:         88
        .size:           8
        .value_kind:     hidden_global_offset_y
      - .offset:         96
        .size:           8
        .value_kind:     hidden_global_offset_z
      - .offset:         104
        .size:           2
        .value_kind:     hidden_grid_dims
    .group_segment_fixed_size: 0
    .kernarg_segment_align: 8
    .kernarg_segment_size: 296
    .language:       OpenCL C
    .language_version:
      - 2
      - 0
    .max_flat_workgroup_size: 1024
    .name:           _ZL13mul_mat_vec_qIN3c108BFloat16ELi32ELi4E10block_q4_1Li2EXadL_ZL17vec_dot_q4_1_q8_1PKvPK10block_q8_1RKiEEEvS4_S4_PT_iii
    .private_segment_fixed_size: 0
    .sgpr_count:     24
    .sgpr_spill_count: 0
    .symbol:         _ZL13mul_mat_vec_qIN3c108BFloat16ELi32ELi4E10block_q4_1Li2EXadL_ZL17vec_dot_q4_1_q8_1PKvPK10block_q8_1RKiEEEvS4_S4_PT_iii.kd
    .uniform_work_group_size: 1
    .uses_dynamic_stack: false
    .vgpr_count:     23
    .vgpr_spill_count: 0
    .wavefront_size: 64
  - .agpr_count:     0
    .args:
      - .actual_access:  read_only
        .address_space:  global
        .offset:         0
        .size:           8
        .value_kind:     global_buffer
      - .actual_access:  read_only
        .address_space:  global
        .offset:         8
        .size:           8
        .value_kind:     global_buffer
      - .actual_access:  write_only
        .address_space:  global
        .offset:         16
        .size:           8
        .value_kind:     global_buffer
      - .offset:         24
        .size:           4
        .value_kind:     by_value
      - .offset:         28
        .size:           4
        .value_kind:     by_value
      - .offset:         32
        .size:           4
        .value_kind:     by_value
      - .offset:         40
        .size:           4
        .value_kind:     hidden_block_count_x
      - .offset:         44
        .size:           4
        .value_kind:     hidden_block_count_y
      - .offset:         48
        .size:           4
        .value_kind:     hidden_block_count_z
      - .offset:         52
        .size:           2
        .value_kind:     hidden_group_size_x
      - .offset:         54
        .size:           2
        .value_kind:     hidden_group_size_y
      - .offset:         56
        .size:           2
        .value_kind:     hidden_group_size_z
      - .offset:         58
        .size:           2
        .value_kind:     hidden_remainder_x
      - .offset:         60
        .size:           2
        .value_kind:     hidden_remainder_y
      - .offset:         62
        .size:           2
        .value_kind:     hidden_remainder_z
      - .offset:         80
        .size:           8
        .value_kind:     hidden_global_offset_x
      - .offset:         88
        .size:           8
        .value_kind:     hidden_global_offset_y
      - .offset:         96
        .size:           8
        .value_kind:     hidden_global_offset_z
      - .offset:         104
        .size:           2
        .value_kind:     hidden_grid_dims
    .group_segment_fixed_size: 0
    .kernarg_segment_align: 8
    .kernarg_segment_size: 296
    .language:       OpenCL C
    .language_version:
      - 2
      - 0
    .max_flat_workgroup_size: 1024
    .name:           _ZL13mul_mat_vec_qIN3c108BFloat16ELi32ELi4E10block_q5_0Li2EXadL_ZL17vec_dot_q5_0_q8_1PKvPK10block_q8_1RKiEEEvS4_S4_PT_iii
    .private_segment_fixed_size: 0
    .sgpr_count:     24
    .sgpr_spill_count: 0
    .symbol:         _ZL13mul_mat_vec_qIN3c108BFloat16ELi32ELi4E10block_q5_0Li2EXadL_ZL17vec_dot_q5_0_q8_1PKvPK10block_q8_1RKiEEEvS4_S4_PT_iii.kd
    .uniform_work_group_size: 1
    .uses_dynamic_stack: false
    .vgpr_count:     37
    .vgpr_spill_count: 0
    .wavefront_size: 64
  - .agpr_count:     0
    .args:
      - .actual_access:  read_only
        .address_space:  global
        .offset:         0
        .size:           8
        .value_kind:     global_buffer
      - .actual_access:  read_only
        .address_space:  global
        .offset:         8
        .size:           8
        .value_kind:     global_buffer
      - .actual_access:  write_only
        .address_space:  global
        .offset:         16
        .size:           8
        .value_kind:     global_buffer
      - .offset:         24
        .size:           4
        .value_kind:     by_value
      - .offset:         28
        .size:           4
        .value_kind:     by_value
      - .offset:         32
        .size:           4
        .value_kind:     by_value
      - .offset:         40
        .size:           4
        .value_kind:     hidden_block_count_x
      - .offset:         44
        .size:           4
        .value_kind:     hidden_block_count_y
      - .offset:         48
        .size:           4
        .value_kind:     hidden_block_count_z
      - .offset:         52
        .size:           2
        .value_kind:     hidden_group_size_x
      - .offset:         54
        .size:           2
        .value_kind:     hidden_group_size_y
      - .offset:         56
        .size:           2
        .value_kind:     hidden_group_size_z
      - .offset:         58
        .size:           2
        .value_kind:     hidden_remainder_x
      - .offset:         60
        .size:           2
        .value_kind:     hidden_remainder_y
      - .offset:         62
        .size:           2
        .value_kind:     hidden_remainder_z
      - .offset:         80
        .size:           8
        .value_kind:     hidden_global_offset_x
      - .offset:         88
        .size:           8
        .value_kind:     hidden_global_offset_y
      - .offset:         96
        .size:           8
        .value_kind:     hidden_global_offset_z
      - .offset:         104
        .size:           2
        .value_kind:     hidden_grid_dims
    .group_segment_fixed_size: 0
    .kernarg_segment_align: 8
    .kernarg_segment_size: 296
    .language:       OpenCL C
    .language_version:
      - 2
      - 0
    .max_flat_workgroup_size: 1024
    .name:           _ZL13mul_mat_vec_qIN3c108BFloat16ELi32ELi4E10block_q5_1Li2EXadL_ZL17vec_dot_q5_1_q8_1PKvPK10block_q8_1RKiEEEvS4_S4_PT_iii
    .private_segment_fixed_size: 0
    .sgpr_count:     24
    .sgpr_spill_count: 0
    .symbol:         _ZL13mul_mat_vec_qIN3c108BFloat16ELi32ELi4E10block_q5_1Li2EXadL_ZL17vec_dot_q5_1_q8_1PKvPK10block_q8_1RKiEEEvS4_S4_PT_iii.kd
    .uniform_work_group_size: 1
    .uses_dynamic_stack: false
    .vgpr_count:     35
    .vgpr_spill_count: 0
    .wavefront_size: 64
  - .agpr_count:     0
    .args:
      - .actual_access:  read_only
        .address_space:  global
        .offset:         0
        .size:           8
        .value_kind:     global_buffer
      - .actual_access:  read_only
        .address_space:  global
        .offset:         8
        .size:           8
        .value_kind:     global_buffer
      - .actual_access:  write_only
        .address_space:  global
        .offset:         16
        .size:           8
        .value_kind:     global_buffer
      - .offset:         24
        .size:           4
        .value_kind:     by_value
      - .offset:         28
        .size:           4
        .value_kind:     by_value
      - .offset:         32
        .size:           4
        .value_kind:     by_value
      - .offset:         40
        .size:           4
        .value_kind:     hidden_block_count_x
      - .offset:         44
        .size:           4
        .value_kind:     hidden_block_count_y
      - .offset:         48
        .size:           4
        .value_kind:     hidden_block_count_z
      - .offset:         52
        .size:           2
        .value_kind:     hidden_group_size_x
      - .offset:         54
        .size:           2
        .value_kind:     hidden_group_size_y
      - .offset:         56
        .size:           2
        .value_kind:     hidden_group_size_z
      - .offset:         58
        .size:           2
        .value_kind:     hidden_remainder_x
      - .offset:         60
        .size:           2
        .value_kind:     hidden_remainder_y
      - .offset:         62
        .size:           2
        .value_kind:     hidden_remainder_z
      - .offset:         80
        .size:           8
        .value_kind:     hidden_global_offset_x
      - .offset:         88
        .size:           8
        .value_kind:     hidden_global_offset_y
      - .offset:         96
        .size:           8
        .value_kind:     hidden_global_offset_z
      - .offset:         104
        .size:           2
        .value_kind:     hidden_grid_dims
    .group_segment_fixed_size: 0
    .kernarg_segment_align: 8
    .kernarg_segment_size: 296
    .language:       OpenCL C
    .language_version:
      - 2
      - 0
    .max_flat_workgroup_size: 1024
    .name:           _ZL13mul_mat_vec_qIN3c108BFloat16ELi32ELi8E10block_q8_0Li2EXadL_ZL17vec_dot_q8_0_q8_1PKvPK10block_q8_1RKiEEEvS4_S4_PT_iii
    .private_segment_fixed_size: 0
    .sgpr_count:     22
    .sgpr_spill_count: 0
    .symbol:         _ZL13mul_mat_vec_qIN3c108BFloat16ELi32ELi8E10block_q8_0Li2EXadL_ZL17vec_dot_q8_0_q8_1PKvPK10block_q8_1RKiEEEvS4_S4_PT_iii.kd
    .uniform_work_group_size: 1
    .uses_dynamic_stack: false
    .vgpr_count:     21
    .vgpr_spill_count: 0
    .wavefront_size: 64
  - .agpr_count:     0
    .args:
      - .actual_access:  read_only
        .address_space:  global
        .offset:         0
        .size:           8
        .value_kind:     global_buffer
      - .actual_access:  read_only
        .address_space:  global
        .offset:         8
        .size:           8
        .value_kind:     global_buffer
      - .actual_access:  write_only
        .address_space:  global
        .offset:         16
        .size:           8
        .value_kind:     global_buffer
      - .offset:         24
        .size:           4
        .value_kind:     by_value
      - .offset:         28
        .size:           4
        .value_kind:     by_value
      - .offset:         32
        .size:           4
        .value_kind:     by_value
      - .offset:         40
        .size:           4
        .value_kind:     hidden_block_count_x
      - .offset:         44
        .size:           4
        .value_kind:     hidden_block_count_y
      - .offset:         48
        .size:           4
        .value_kind:     hidden_block_count_z
      - .offset:         52
        .size:           2
        .value_kind:     hidden_group_size_x
      - .offset:         54
        .size:           2
        .value_kind:     hidden_group_size_y
      - .offset:         56
        .size:           2
        .value_kind:     hidden_group_size_z
      - .offset:         58
        .size:           2
        .value_kind:     hidden_remainder_x
      - .offset:         60
        .size:           2
        .value_kind:     hidden_remainder_y
      - .offset:         62
        .size:           2
        .value_kind:     hidden_remainder_z
      - .offset:         80
        .size:           8
        .value_kind:     hidden_global_offset_x
      - .offset:         88
        .size:           8
        .value_kind:     hidden_global_offset_y
      - .offset:         96
        .size:           8
        .value_kind:     hidden_global_offset_z
      - .offset:         104
        .size:           2
        .value_kind:     hidden_grid_dims
    .group_segment_fixed_size: 0
    .kernarg_segment_align: 8
    .kernarg_segment_size: 296
    .language:       OpenCL C
    .language_version:
      - 2
      - 0
    .max_flat_workgroup_size: 1024
    .name:           _ZL13mul_mat_vec_qIN3c108BFloat16ELi256ELi16E10block_q2_KLi1EXadL_ZL17vec_dot_q2_K_q8_1PKvPK10block_q8_1RKiEEEvS4_S4_PT_iii
    .private_segment_fixed_size: 0
    .sgpr_count:     24
    .sgpr_spill_count: 0
    .symbol:         _ZL13mul_mat_vec_qIN3c108BFloat16ELi256ELi16E10block_q2_KLi1EXadL_ZL17vec_dot_q2_K_q8_1PKvPK10block_q8_1RKiEEEvS4_S4_PT_iii.kd
    .uniform_work_group_size: 1
    .uses_dynamic_stack: false
    .vgpr_count:     47
    .vgpr_spill_count: 0
    .wavefront_size: 64
  - .agpr_count:     0
    .args:
      - .actual_access:  read_only
        .address_space:  global
        .offset:         0
        .size:           8
        .value_kind:     global_buffer
      - .actual_access:  read_only
        .address_space:  global
        .offset:         8
        .size:           8
        .value_kind:     global_buffer
      - .actual_access:  write_only
        .address_space:  global
        .offset:         16
        .size:           8
        .value_kind:     global_buffer
      - .offset:         24
        .size:           4
        .value_kind:     by_value
      - .offset:         28
        .size:           4
        .value_kind:     by_value
      - .offset:         32
        .size:           4
        .value_kind:     by_value
      - .offset:         40
        .size:           4
        .value_kind:     hidden_block_count_x
      - .offset:         44
        .size:           4
        .value_kind:     hidden_block_count_y
      - .offset:         48
        .size:           4
        .value_kind:     hidden_block_count_z
      - .offset:         52
        .size:           2
        .value_kind:     hidden_group_size_x
      - .offset:         54
        .size:           2
        .value_kind:     hidden_group_size_y
      - .offset:         56
        .size:           2
        .value_kind:     hidden_group_size_z
      - .offset:         58
        .size:           2
        .value_kind:     hidden_remainder_x
      - .offset:         60
        .size:           2
        .value_kind:     hidden_remainder_y
      - .offset:         62
        .size:           2
        .value_kind:     hidden_remainder_z
      - .offset:         80
        .size:           8
        .value_kind:     hidden_global_offset_x
      - .offset:         88
        .size:           8
        .value_kind:     hidden_global_offset_y
      - .offset:         96
        .size:           8
        .value_kind:     hidden_global_offset_z
      - .offset:         104
        .size:           2
        .value_kind:     hidden_grid_dims
    .group_segment_fixed_size: 0
    .kernarg_segment_align: 8
    .kernarg_segment_size: 296
    .language:       OpenCL C
    .language_version:
      - 2
      - 0
    .max_flat_workgroup_size: 1024
    .name:           _ZL13mul_mat_vec_qIN3c108BFloat16ELi256ELi16E10block_q3_KLi1EXadL_ZL17vec_dot_q3_K_q8_1PKvPK10block_q8_1RKiEEEvS4_S4_PT_iii
    .private_segment_fixed_size: 0
    .sgpr_count:     24
    .sgpr_spill_count: 0
    .symbol:         _ZL13mul_mat_vec_qIN3c108BFloat16ELi256ELi16E10block_q3_KLi1EXadL_ZL17vec_dot_q3_K_q8_1PKvPK10block_q8_1RKiEEEvS4_S4_PT_iii.kd
    .uniform_work_group_size: 1
    .uses_dynamic_stack: false
    .vgpr_count:     56
    .vgpr_spill_count: 0
    .wavefront_size: 64
  - .agpr_count:     0
    .args:
      - .actual_access:  read_only
        .address_space:  global
        .offset:         0
        .size:           8
        .value_kind:     global_buffer
      - .actual_access:  read_only
        .address_space:  global
        .offset:         8
        .size:           8
        .value_kind:     global_buffer
      - .actual_access:  write_only
        .address_space:  global
        .offset:         16
        .size:           8
        .value_kind:     global_buffer
      - .offset:         24
        .size:           4
        .value_kind:     by_value
      - .offset:         28
        .size:           4
        .value_kind:     by_value
      - .offset:         32
        .size:           4
        .value_kind:     by_value
      - .offset:         40
        .size:           4
        .value_kind:     hidden_block_count_x
      - .offset:         44
        .size:           4
        .value_kind:     hidden_block_count_y
      - .offset:         48
        .size:           4
        .value_kind:     hidden_block_count_z
      - .offset:         52
        .size:           2
        .value_kind:     hidden_group_size_x
      - .offset:         54
        .size:           2
        .value_kind:     hidden_group_size_y
      - .offset:         56
        .size:           2
        .value_kind:     hidden_group_size_z
      - .offset:         58
        .size:           2
        .value_kind:     hidden_remainder_x
      - .offset:         60
        .size:           2
        .value_kind:     hidden_remainder_y
      - .offset:         62
        .size:           2
        .value_kind:     hidden_remainder_z
      - .offset:         80
        .size:           8
        .value_kind:     hidden_global_offset_x
      - .offset:         88
        .size:           8
        .value_kind:     hidden_global_offset_y
      - .offset:         96
        .size:           8
        .value_kind:     hidden_global_offset_z
      - .offset:         104
        .size:           2
        .value_kind:     hidden_grid_dims
    .group_segment_fixed_size: 0
    .kernarg_segment_align: 8
    .kernarg_segment_size: 296
    .language:       OpenCL C
    .language_version:
      - 2
      - 0
    .max_flat_workgroup_size: 1024
    .name:           _ZL13mul_mat_vec_qIN3c108BFloat16ELi256ELi32E10block_q4_KLi2EXadL_ZL17vec_dot_q4_K_q8_1PKvPK10block_q8_1RKiEEEvS4_S4_PT_iii
    .private_segment_fixed_size: 0
    .sgpr_count:     22
    .sgpr_spill_count: 0
    .symbol:         _ZL13mul_mat_vec_qIN3c108BFloat16ELi256ELi32E10block_q4_KLi2EXadL_ZL17vec_dot_q4_K_q8_1PKvPK10block_q8_1RKiEEEvS4_S4_PT_iii.kd
    .uniform_work_group_size: 1
    .uses_dynamic_stack: false
    .vgpr_count:     40
    .vgpr_spill_count: 0
    .wavefront_size: 64
  - .agpr_count:     0
    .args:
      - .actual_access:  read_only
        .address_space:  global
        .offset:         0
        .size:           8
        .value_kind:     global_buffer
      - .actual_access:  read_only
        .address_space:  global
        .offset:         8
        .size:           8
        .value_kind:     global_buffer
      - .actual_access:  write_only
        .address_space:  global
        .offset:         16
        .size:           8
        .value_kind:     global_buffer
      - .offset:         24
        .size:           4
        .value_kind:     by_value
      - .offset:         28
        .size:           4
        .value_kind:     by_value
      - .offset:         32
        .size:           4
        .value_kind:     by_value
      - .offset:         40
        .size:           4
        .value_kind:     hidden_block_count_x
      - .offset:         44
        .size:           4
        .value_kind:     hidden_block_count_y
      - .offset:         48
        .size:           4
        .value_kind:     hidden_block_count_z
      - .offset:         52
        .size:           2
        .value_kind:     hidden_group_size_x
      - .offset:         54
        .size:           2
        .value_kind:     hidden_group_size_y
      - .offset:         56
        .size:           2
        .value_kind:     hidden_group_size_z
      - .offset:         58
        .size:           2
        .value_kind:     hidden_remainder_x
      - .offset:         60
        .size:           2
        .value_kind:     hidden_remainder_y
      - .offset:         62
        .size:           2
        .value_kind:     hidden_remainder_z
      - .offset:         80
        .size:           8
        .value_kind:     hidden_global_offset_x
      - .offset:         88
        .size:           8
        .value_kind:     hidden_global_offset_y
      - .offset:         96
        .size:           8
        .value_kind:     hidden_global_offset_z
      - .offset:         104
        .size:           2
        .value_kind:     hidden_grid_dims
    .group_segment_fixed_size: 0
    .kernarg_segment_align: 8
    .kernarg_segment_size: 296
    .language:       OpenCL C
    .language_version:
      - 2
      - 0
    .max_flat_workgroup_size: 1024
    .name:           _ZL13mul_mat_vec_qIN3c108BFloat16ELi256ELi32E10block_q5_KLi2EXadL_ZL17vec_dot_q5_K_q8_1PKvPK10block_q8_1RKiEEEvS4_S4_PT_iii
    .private_segment_fixed_size: 0
    .sgpr_count:     22
    .sgpr_spill_count: 0
    .symbol:         _ZL13mul_mat_vec_qIN3c108BFloat16ELi256ELi32E10block_q5_KLi2EXadL_ZL17vec_dot_q5_K_q8_1PKvPK10block_q8_1RKiEEEvS4_S4_PT_iii.kd
    .uniform_work_group_size: 1
    .uses_dynamic_stack: false
    .vgpr_count:     42
    .vgpr_spill_count: 0
    .wavefront_size: 64
  - .agpr_count:     0
    .args:
      - .actual_access:  read_only
        .address_space:  global
        .offset:         0
        .size:           8
        .value_kind:     global_buffer
      - .actual_access:  read_only
        .address_space:  global
        .offset:         8
        .size:           8
        .value_kind:     global_buffer
      - .actual_access:  write_only
        .address_space:  global
        .offset:         16
        .size:           8
        .value_kind:     global_buffer
      - .offset:         24
        .size:           4
        .value_kind:     by_value
      - .offset:         28
        .size:           4
        .value_kind:     by_value
      - .offset:         32
        .size:           4
        .value_kind:     by_value
      - .offset:         40
        .size:           4
        .value_kind:     hidden_block_count_x
      - .offset:         44
        .size:           4
        .value_kind:     hidden_block_count_y
      - .offset:         48
        .size:           4
        .value_kind:     hidden_block_count_z
      - .offset:         52
        .size:           2
        .value_kind:     hidden_group_size_x
      - .offset:         54
        .size:           2
        .value_kind:     hidden_group_size_y
      - .offset:         56
        .size:           2
        .value_kind:     hidden_group_size_z
      - .offset:         58
        .size:           2
        .value_kind:     hidden_remainder_x
      - .offset:         60
        .size:           2
        .value_kind:     hidden_remainder_y
      - .offset:         62
        .size:           2
        .value_kind:     hidden_remainder_z
      - .offset:         80
        .size:           8
        .value_kind:     hidden_global_offset_x
      - .offset:         88
        .size:           8
        .value_kind:     hidden_global_offset_y
      - .offset:         96
        .size:           8
        .value_kind:     hidden_global_offset_z
      - .offset:         104
        .size:           2
        .value_kind:     hidden_grid_dims
    .group_segment_fixed_size: 0
    .kernarg_segment_align: 8
    .kernarg_segment_size: 296
    .language:       OpenCL C
    .language_version:
      - 2
      - 0
    .max_flat_workgroup_size: 1024
    .name:           _ZL13mul_mat_vec_qIN3c108BFloat16ELi256ELi32E10block_q6_KLi1EXadL_ZL17vec_dot_q6_K_q8_1PKvPK10block_q8_1RKiEEEvS4_S4_PT_iii
    .private_segment_fixed_size: 0
    .sgpr_count:     22
    .sgpr_spill_count: 0
    .symbol:         _ZL13mul_mat_vec_qIN3c108BFloat16ELi256ELi32E10block_q6_KLi1EXadL_ZL17vec_dot_q6_K_q8_1PKvPK10block_q8_1RKiEEEvS4_S4_PT_iii.kd
    .uniform_work_group_size: 1
    .uses_dynamic_stack: false
    .vgpr_count:     37
    .vgpr_spill_count: 0
    .wavefront_size: 64
  - .agpr_count:     0
    .args:
      - .actual_access:  read_only
        .address_space:  global
        .offset:         0
        .size:           8
        .value_kind:     global_buffer
      - .actual_access:  read_only
        .address_space:  global
        .offset:         8
        .size:           8
        .value_kind:     global_buffer
      - .actual_access:  write_only
        .address_space:  global
        .offset:         16
        .size:           8
        .value_kind:     global_buffer
      - .offset:         24
        .size:           4
        .value_kind:     by_value
      - .offset:         28
        .size:           4
        .value_kind:     by_value
      - .offset:         32
        .size:           4
        .value_kind:     by_value
      - .offset:         40
        .size:           4
        .value_kind:     hidden_block_count_x
      - .offset:         44
        .size:           4
        .value_kind:     hidden_block_count_y
      - .offset:         48
        .size:           4
        .value_kind:     hidden_block_count_z
      - .offset:         52
        .size:           2
        .value_kind:     hidden_group_size_x
      - .offset:         54
        .size:           2
        .value_kind:     hidden_group_size_y
      - .offset:         56
        .size:           2
        .value_kind:     hidden_group_size_z
      - .offset:         58
        .size:           2
        .value_kind:     hidden_remainder_x
      - .offset:         60
        .size:           2
        .value_kind:     hidden_remainder_y
      - .offset:         62
        .size:           2
        .value_kind:     hidden_remainder_z
      - .offset:         80
        .size:           8
        .value_kind:     hidden_global_offset_x
      - .offset:         88
        .size:           8
        .value_kind:     hidden_global_offset_y
      - .offset:         96
        .size:           8
        .value_kind:     hidden_global_offset_z
      - .offset:         104
        .size:           2
        .value_kind:     hidden_grid_dims
    .group_segment_fixed_size: 0
    .kernarg_segment_align: 8
    .kernarg_segment_size: 296
    .language:       OpenCL C
    .language_version:
      - 2
      - 0
    .max_flat_workgroup_size: 1024
    .name:           _ZL13mul_mat_vec_qIN3c108BFloat16ELi256ELi8E13block_iq2_xxsLi1EXadL_ZL20vec_dot_iq2_xxs_q8_1PKvPK10block_q8_1RKiEEEvS4_S4_PT_iii
    .private_segment_fixed_size: 0
    .sgpr_count:     22
    .sgpr_spill_count: 0
    .symbol:         _ZL13mul_mat_vec_qIN3c108BFloat16ELi256ELi8E13block_iq2_xxsLi1EXadL_ZL20vec_dot_iq2_xxs_q8_1PKvPK10block_q8_1RKiEEEvS4_S4_PT_iii.kd
    .uniform_work_group_size: 1
    .uses_dynamic_stack: false
    .vgpr_count:     31
    .vgpr_spill_count: 0
    .wavefront_size: 64
  - .agpr_count:     0
    .args:
      - .actual_access:  read_only
        .address_space:  global
        .offset:         0
        .size:           8
        .value_kind:     global_buffer
      - .actual_access:  read_only
        .address_space:  global
        .offset:         8
        .size:           8
        .value_kind:     global_buffer
      - .actual_access:  write_only
        .address_space:  global
        .offset:         16
        .size:           8
        .value_kind:     global_buffer
      - .offset:         24
        .size:           4
        .value_kind:     by_value
      - .offset:         28
        .size:           4
        .value_kind:     by_value
      - .offset:         32
        .size:           4
        .value_kind:     by_value
      - .offset:         40
        .size:           4
        .value_kind:     hidden_block_count_x
      - .offset:         44
        .size:           4
        .value_kind:     hidden_block_count_y
      - .offset:         48
        .size:           4
        .value_kind:     hidden_block_count_z
      - .offset:         52
        .size:           2
        .value_kind:     hidden_group_size_x
      - .offset:         54
        .size:           2
        .value_kind:     hidden_group_size_y
      - .offset:         56
        .size:           2
        .value_kind:     hidden_group_size_z
      - .offset:         58
        .size:           2
        .value_kind:     hidden_remainder_x
      - .offset:         60
        .size:           2
        .value_kind:     hidden_remainder_y
      - .offset:         62
        .size:           2
        .value_kind:     hidden_remainder_z
      - .offset:         80
        .size:           8
        .value_kind:     hidden_global_offset_x
      - .offset:         88
        .size:           8
        .value_kind:     hidden_global_offset_y
      - .offset:         96
        .size:           8
        .value_kind:     hidden_global_offset_z
      - .offset:         104
        .size:           2
        .value_kind:     hidden_grid_dims
    .group_segment_fixed_size: 0
    .kernarg_segment_align: 8
    .kernarg_segment_size: 296
    .language:       OpenCL C
    .language_version:
      - 2
      - 0
    .max_flat_workgroup_size: 1024
    .name:           _ZL13mul_mat_vec_qIN3c108BFloat16ELi256ELi8E12block_iq2_xsLi1EXadL_ZL19vec_dot_iq2_xs_q8_1PKvPK10block_q8_1RKiEEEvS4_S4_PT_iii
    .private_segment_fixed_size: 0
    .sgpr_count:     22
    .sgpr_spill_count: 0
    .symbol:         _ZL13mul_mat_vec_qIN3c108BFloat16ELi256ELi8E12block_iq2_xsLi1EXadL_ZL19vec_dot_iq2_xs_q8_1PKvPK10block_q8_1RKiEEEvS4_S4_PT_iii.kd
    .uniform_work_group_size: 1
    .uses_dynamic_stack: false
    .vgpr_count:     39
    .vgpr_spill_count: 0
    .wavefront_size: 64
  - .agpr_count:     0
    .args:
      - .actual_access:  read_only
        .address_space:  global
        .offset:         0
        .size:           8
        .value_kind:     global_buffer
      - .actual_access:  read_only
        .address_space:  global
        .offset:         8
        .size:           8
        .value_kind:     global_buffer
      - .actual_access:  write_only
        .address_space:  global
        .offset:         16
        .size:           8
        .value_kind:     global_buffer
      - .offset:         24
        .size:           4
        .value_kind:     by_value
      - .offset:         28
        .size:           4
        .value_kind:     by_value
      - .offset:         32
        .size:           4
        .value_kind:     by_value
      - .offset:         40
        .size:           4
        .value_kind:     hidden_block_count_x
      - .offset:         44
        .size:           4
        .value_kind:     hidden_block_count_y
      - .offset:         48
        .size:           4
        .value_kind:     hidden_block_count_z
      - .offset:         52
        .size:           2
        .value_kind:     hidden_group_size_x
      - .offset:         54
        .size:           2
        .value_kind:     hidden_group_size_y
      - .offset:         56
        .size:           2
        .value_kind:     hidden_group_size_z
      - .offset:         58
        .size:           2
        .value_kind:     hidden_remainder_x
      - .offset:         60
        .size:           2
        .value_kind:     hidden_remainder_y
      - .offset:         62
        .size:           2
        .value_kind:     hidden_remainder_z
      - .offset:         80
        .size:           8
        .value_kind:     hidden_global_offset_x
      - .offset:         88
        .size:           8
        .value_kind:     hidden_global_offset_y
      - .offset:         96
        .size:           8
        .value_kind:     hidden_global_offset_z
      - .offset:         104
        .size:           2
        .value_kind:     hidden_grid_dims
    .group_segment_fixed_size: 0
    .kernarg_segment_align: 8
    .kernarg_segment_size: 296
    .language:       OpenCL C
    .language_version:
      - 2
      - 0
    .max_flat_workgroup_size: 1024
    .name:           _ZL13mul_mat_vec_qIN3c108BFloat16ELi256ELi8E13block_iq3_xxsLi1EXadL_ZL20vec_dot_iq3_xxs_q8_1PKvPK10block_q8_1RKiEEEvS4_S4_PT_iii
    .private_segment_fixed_size: 0
    .sgpr_count:     24
    .sgpr_spill_count: 0
    .symbol:         _ZL13mul_mat_vec_qIN3c108BFloat16ELi256ELi8E13block_iq3_xxsLi1EXadL_ZL20vec_dot_iq3_xxs_q8_1PKvPK10block_q8_1RKiEEEvS4_S4_PT_iii.kd
    .uniform_work_group_size: 1
    .uses_dynamic_stack: false
    .vgpr_count:     61
    .vgpr_spill_count: 0
    .wavefront_size: 64
  - .agpr_count:     0
    .args:
      - .actual_access:  read_only
        .address_space:  global
        .offset:         0
        .size:           8
        .value_kind:     global_buffer
      - .actual_access:  read_only
        .address_space:  global
        .offset:         8
        .size:           8
        .value_kind:     global_buffer
      - .actual_access:  write_only
        .address_space:  global
        .offset:         16
        .size:           8
        .value_kind:     global_buffer
      - .offset:         24
        .size:           4
        .value_kind:     by_value
      - .offset:         28
        .size:           4
        .value_kind:     by_value
      - .offset:         32
        .size:           4
        .value_kind:     by_value
      - .offset:         40
        .size:           4
        .value_kind:     hidden_block_count_x
      - .offset:         44
        .size:           4
        .value_kind:     hidden_block_count_y
      - .offset:         48
        .size:           4
        .value_kind:     hidden_block_count_z
      - .offset:         52
        .size:           2
        .value_kind:     hidden_group_size_x
      - .offset:         54
        .size:           2
        .value_kind:     hidden_group_size_y
      - .offset:         56
        .size:           2
        .value_kind:     hidden_group_size_z
      - .offset:         58
        .size:           2
        .value_kind:     hidden_remainder_x
      - .offset:         60
        .size:           2
        .value_kind:     hidden_remainder_y
      - .offset:         62
        .size:           2
        .value_kind:     hidden_remainder_z
      - .offset:         80
        .size:           8
        .value_kind:     hidden_global_offset_x
      - .offset:         88
        .size:           8
        .value_kind:     hidden_global_offset_y
      - .offset:         96
        .size:           8
        .value_kind:     hidden_global_offset_z
      - .offset:         104
        .size:           2
        .value_kind:     hidden_grid_dims
    .group_segment_fixed_size: 0
    .kernarg_segment_align: 8
    .kernarg_segment_size: 296
    .language:       OpenCL C
    .language_version:
      - 2
      - 0
    .max_flat_workgroup_size: 1024
    .name:           _ZL13mul_mat_vec_qIN3c108BFloat16ELi256ELi8E11block_iq1_sLi1EXadL_ZL18vec_dot_iq1_s_q8_1PKvPK10block_q8_1RKiEEEvS4_S4_PT_iii
    .private_segment_fixed_size: 0
    .sgpr_count:     24
    .sgpr_spill_count: 0
    .symbol:         _ZL13mul_mat_vec_qIN3c108BFloat16ELi256ELi8E11block_iq1_sLi1EXadL_ZL18vec_dot_iq1_s_q8_1PKvPK10block_q8_1RKiEEEvS4_S4_PT_iii.kd
    .uniform_work_group_size: 1
    .uses_dynamic_stack: false
    .vgpr_count:     34
    .vgpr_spill_count: 0
    .wavefront_size: 64
  - .agpr_count:     0
    .args:
      - .actual_access:  read_only
        .address_space:  global
        .offset:         0
        .size:           8
        .value_kind:     global_buffer
      - .actual_access:  read_only
        .address_space:  global
        .offset:         8
        .size:           8
        .value_kind:     global_buffer
      - .actual_access:  write_only
        .address_space:  global
        .offset:         16
        .size:           8
        .value_kind:     global_buffer
      - .offset:         24
        .size:           4
        .value_kind:     by_value
      - .offset:         28
        .size:           4
        .value_kind:     by_value
      - .offset:         32
        .size:           4
        .value_kind:     by_value
      - .offset:         40
        .size:           4
        .value_kind:     hidden_block_count_x
      - .offset:         44
        .size:           4
        .value_kind:     hidden_block_count_y
      - .offset:         48
        .size:           4
        .value_kind:     hidden_block_count_z
      - .offset:         52
        .size:           2
        .value_kind:     hidden_group_size_x
      - .offset:         54
        .size:           2
        .value_kind:     hidden_group_size_y
      - .offset:         56
        .size:           2
        .value_kind:     hidden_group_size_z
      - .offset:         58
        .size:           2
        .value_kind:     hidden_remainder_x
      - .offset:         60
        .size:           2
        .value_kind:     hidden_remainder_y
      - .offset:         62
        .size:           2
        .value_kind:     hidden_remainder_z
      - .offset:         80
        .size:           8
        .value_kind:     hidden_global_offset_x
      - .offset:         88
        .size:           8
        .value_kind:     hidden_global_offset_y
      - .offset:         96
        .size:           8
        .value_kind:     hidden_global_offset_z
      - .offset:         104
        .size:           2
        .value_kind:     hidden_grid_dims
    .group_segment_fixed_size: 0
    .kernarg_segment_align: 8
    .kernarg_segment_size: 296
    .language:       OpenCL C
    .language_version:
      - 2
      - 0
    .max_flat_workgroup_size: 1024
    .name:           _ZL13mul_mat_vec_qIN3c108BFloat16ELi32ELi4E12block_iq4_nlLi2EXadL_ZL19vec_dot_iq4_nl_q8_1PKvPK10block_q8_1RKiEEEvS4_S4_PT_iii
    .private_segment_fixed_size: 0
    .sgpr_count:     24
    .sgpr_spill_count: 0
    .symbol:         _ZL13mul_mat_vec_qIN3c108BFloat16ELi32ELi4E12block_iq4_nlLi2EXadL_ZL19vec_dot_iq4_nl_q8_1PKvPK10block_q8_1RKiEEEvS4_S4_PT_iii.kd
    .uniform_work_group_size: 1
    .uses_dynamic_stack: false
    .vgpr_count:     47
    .vgpr_spill_count: 0
    .wavefront_size: 64
  - .agpr_count:     0
    .args:
      - .actual_access:  read_only
        .address_space:  global
        .offset:         0
        .size:           8
        .value_kind:     global_buffer
      - .actual_access:  read_only
        .address_space:  global
        .offset:         8
        .size:           8
        .value_kind:     global_buffer
      - .actual_access:  write_only
        .address_space:  global
        .offset:         16
        .size:           8
        .value_kind:     global_buffer
      - .offset:         24
        .size:           4
        .value_kind:     by_value
      - .offset:         28
        .size:           4
        .value_kind:     by_value
      - .offset:         32
        .size:           4
        .value_kind:     by_value
      - .offset:         40
        .size:           4
        .value_kind:     hidden_block_count_x
      - .offset:         44
        .size:           4
        .value_kind:     hidden_block_count_y
      - .offset:         48
        .size:           4
        .value_kind:     hidden_block_count_z
      - .offset:         52
        .size:           2
        .value_kind:     hidden_group_size_x
      - .offset:         54
        .size:           2
        .value_kind:     hidden_group_size_y
      - .offset:         56
        .size:           2
        .value_kind:     hidden_group_size_z
      - .offset:         58
        .size:           2
        .value_kind:     hidden_remainder_x
      - .offset:         60
        .size:           2
        .value_kind:     hidden_remainder_y
      - .offset:         62
        .size:           2
        .value_kind:     hidden_remainder_z
      - .offset:         80
        .size:           8
        .value_kind:     hidden_global_offset_x
      - .offset:         88
        .size:           8
        .value_kind:     hidden_global_offset_y
      - .offset:         96
        .size:           8
        .value_kind:     hidden_global_offset_z
      - .offset:         104
        .size:           2
        .value_kind:     hidden_grid_dims
    .group_segment_fixed_size: 0
    .kernarg_segment_align: 8
    .kernarg_segment_size: 296
    .language:       OpenCL C
    .language_version:
      - 2
      - 0
    .max_flat_workgroup_size: 1024
    .name:           _ZL13mul_mat_vec_qIN3c108BFloat16ELi256ELi8E11block_iq3_sLi1EXadL_ZL18vec_dot_iq3_s_q8_1PKvPK10block_q8_1RKiEEEvS4_S4_PT_iii
    .private_segment_fixed_size: 0
    .sgpr_count:     25
    .sgpr_spill_count: 0
    .symbol:         _ZL13mul_mat_vec_qIN3c108BFloat16ELi256ELi8E11block_iq3_sLi1EXadL_ZL18vec_dot_iq3_s_q8_1PKvPK10block_q8_1RKiEEEvS4_S4_PT_iii.kd
    .uniform_work_group_size: 1
    .uses_dynamic_stack: false
    .vgpr_count:     48
    .vgpr_spill_count: 0
    .wavefront_size: 64
  - .agpr_count:     0
    .args:
      - .actual_access:  read_only
        .address_space:  global
        .offset:         0
        .size:           8
        .value_kind:     global_buffer
      - .actual_access:  read_only
        .address_space:  global
        .offset:         8
        .size:           8
        .value_kind:     global_buffer
      - .actual_access:  write_only
        .address_space:  global
        .offset:         16
        .size:           8
        .value_kind:     global_buffer
      - .offset:         24
        .size:           4
        .value_kind:     by_value
      - .offset:         28
        .size:           4
        .value_kind:     by_value
      - .offset:         32
        .size:           4
        .value_kind:     by_value
      - .offset:         40
        .size:           4
        .value_kind:     hidden_block_count_x
      - .offset:         44
        .size:           4
        .value_kind:     hidden_block_count_y
      - .offset:         48
        .size:           4
        .value_kind:     hidden_block_count_z
      - .offset:         52
        .size:           2
        .value_kind:     hidden_group_size_x
      - .offset:         54
        .size:           2
        .value_kind:     hidden_group_size_y
      - .offset:         56
        .size:           2
        .value_kind:     hidden_group_size_z
      - .offset:         58
        .size:           2
        .value_kind:     hidden_remainder_x
      - .offset:         60
        .size:           2
        .value_kind:     hidden_remainder_y
      - .offset:         62
        .size:           2
        .value_kind:     hidden_remainder_z
      - .offset:         80
        .size:           8
        .value_kind:     hidden_global_offset_x
      - .offset:         88
        .size:           8
        .value_kind:     hidden_global_offset_y
      - .offset:         96
        .size:           8
        .value_kind:     hidden_global_offset_z
      - .offset:         104
        .size:           2
        .value_kind:     hidden_grid_dims
    .group_segment_fixed_size: 0
    .kernarg_segment_align: 8
    .kernarg_segment_size: 296
    .language:       OpenCL C
    .language_version:
      - 2
      - 0
    .max_flat_workgroup_size: 1024
    .name:           _ZL13mul_mat_vec_qIN3c108BFloat16ELi256ELi8E11block_iq2_sLi1EXadL_ZL18vec_dot_iq2_s_q8_1PKvPK10block_q8_1RKiEEEvS4_S4_PT_iii
    .private_segment_fixed_size: 0
    .sgpr_count:     24
    .sgpr_spill_count: 0
    .symbol:         _ZL13mul_mat_vec_qIN3c108BFloat16ELi256ELi8E11block_iq2_sLi1EXadL_ZL18vec_dot_iq2_s_q8_1PKvPK10block_q8_1RKiEEEvS4_S4_PT_iii.kd
    .uniform_work_group_size: 1
    .uses_dynamic_stack: false
    .vgpr_count:     65
    .vgpr_spill_count: 0
    .wavefront_size: 64
  - .agpr_count:     0
    .args:
      - .actual_access:  read_only
        .address_space:  global
        .offset:         0
        .size:           8
        .value_kind:     global_buffer
      - .actual_access:  read_only
        .address_space:  global
        .offset:         8
        .size:           8
        .value_kind:     global_buffer
      - .actual_access:  write_only
        .address_space:  global
        .offset:         16
        .size:           8
        .value_kind:     global_buffer
      - .offset:         24
        .size:           4
        .value_kind:     by_value
      - .offset:         28
        .size:           4
        .value_kind:     by_value
      - .offset:         32
        .size:           4
        .value_kind:     by_value
      - .offset:         40
        .size:           4
        .value_kind:     hidden_block_count_x
      - .offset:         44
        .size:           4
        .value_kind:     hidden_block_count_y
      - .offset:         48
        .size:           4
        .value_kind:     hidden_block_count_z
      - .offset:         52
        .size:           2
        .value_kind:     hidden_group_size_x
      - .offset:         54
        .size:           2
        .value_kind:     hidden_group_size_y
      - .offset:         56
        .size:           2
        .value_kind:     hidden_group_size_z
      - .offset:         58
        .size:           2
        .value_kind:     hidden_remainder_x
      - .offset:         60
        .size:           2
        .value_kind:     hidden_remainder_y
      - .offset:         62
        .size:           2
        .value_kind:     hidden_remainder_z
      - .offset:         80
        .size:           8
        .value_kind:     hidden_global_offset_x
      - .offset:         88
        .size:           8
        .value_kind:     hidden_global_offset_y
      - .offset:         96
        .size:           8
        .value_kind:     hidden_global_offset_z
      - .offset:         104
        .size:           2
        .value_kind:     hidden_grid_dims
    .group_segment_fixed_size: 0
    .kernarg_segment_align: 8
    .kernarg_segment_size: 296
    .language:       OpenCL C
    .language_version:
      - 2
      - 0
    .max_flat_workgroup_size: 1024
    .name:           _ZL13mul_mat_vec_qIN3c108BFloat16ELi256ELi8E12block_iq4_xsLi1EXadL_ZL19vec_dot_iq4_xs_q8_1PKvPK10block_q8_1RKiEEEvS4_S4_PT_iii
    .private_segment_fixed_size: 0
    .sgpr_count:     22
    .sgpr_spill_count: 0
    .symbol:         _ZL13mul_mat_vec_qIN3c108BFloat16ELi256ELi8E12block_iq4_xsLi1EXadL_ZL19vec_dot_iq4_xs_q8_1PKvPK10block_q8_1RKiEEEvS4_S4_PT_iii.kd
    .uniform_work_group_size: 1
    .uses_dynamic_stack: false
    .vgpr_count:     64
    .vgpr_spill_count: 0
    .wavefront_size: 64
  - .agpr_count:     0
    .args:
      - .actual_access:  read_only
        .address_space:  global
        .offset:         0
        .size:           8
        .value_kind:     global_buffer
      - .actual_access:  read_only
        .address_space:  global
        .offset:         8
        .size:           8
        .value_kind:     global_buffer
      - .actual_access:  write_only
        .address_space:  global
        .offset:         16
        .size:           8
        .value_kind:     global_buffer
      - .offset:         24
        .size:           4
        .value_kind:     by_value
      - .offset:         28
        .size:           4
        .value_kind:     by_value
      - .offset:         32
        .size:           4
        .value_kind:     by_value
      - .offset:         40
        .size:           4
        .value_kind:     hidden_block_count_x
      - .offset:         44
        .size:           4
        .value_kind:     hidden_block_count_y
      - .offset:         48
        .size:           4
        .value_kind:     hidden_block_count_z
      - .offset:         52
        .size:           2
        .value_kind:     hidden_group_size_x
      - .offset:         54
        .size:           2
        .value_kind:     hidden_group_size_y
      - .offset:         56
        .size:           2
        .value_kind:     hidden_group_size_z
      - .offset:         58
        .size:           2
        .value_kind:     hidden_remainder_x
      - .offset:         60
        .size:           2
        .value_kind:     hidden_remainder_y
      - .offset:         62
        .size:           2
        .value_kind:     hidden_remainder_z
      - .offset:         80
        .size:           8
        .value_kind:     hidden_global_offset_x
      - .offset:         88
        .size:           8
        .value_kind:     hidden_global_offset_y
      - .offset:         96
        .size:           8
        .value_kind:     hidden_global_offset_z
      - .offset:         104
        .size:           2
        .value_kind:     hidden_grid_dims
    .group_segment_fixed_size: 0
    .kernarg_segment_align: 8
    .kernarg_segment_size: 296
    .language:       OpenCL C
    .language_version:
      - 2
      - 0
    .max_flat_workgroup_size: 1024
    .name:           _ZL13mul_mat_vec_qIN3c108BFloat16ELi256ELi8E11block_iq1_mLi1EXadL_ZL18vec_dot_iq1_m_q8_1PKvPK10block_q8_1RKiEEEvS4_S4_PT_iii
    .private_segment_fixed_size: 0
    .sgpr_count:     28
    .sgpr_spill_count: 0
    .symbol:         _ZL13mul_mat_vec_qIN3c108BFloat16ELi256ELi8E11block_iq1_mLi1EXadL_ZL18vec_dot_iq1_m_q8_1PKvPK10block_q8_1RKiEEEvS4_S4_PT_iii.kd
    .uniform_work_group_size: 1
    .uses_dynamic_stack: false
    .vgpr_count:     47
    .vgpr_spill_count: 0
    .wavefront_size: 64
  - .agpr_count:     0
    .args:
      - .actual_access:  read_only
        .address_space:  global
        .offset:         0
        .size:           8
        .value_kind:     global_buffer
      - .actual_access:  read_only
        .address_space:  global
        .offset:         8
        .size:           8
        .value_kind:     global_buffer
      - .actual_access:  write_only
        .address_space:  global
        .offset:         16
        .size:           8
        .value_kind:     global_buffer
      - .offset:         24
        .size:           4
        .value_kind:     by_value
      - .offset:         28
        .size:           4
        .value_kind:     by_value
      - .offset:         32
        .size:           4
        .value_kind:     by_value
      - .offset:         36
        .size:           4
        .value_kind:     by_value
      - .offset:         40
        .size:           4
        .value_kind:     by_value
    .group_segment_fixed_size: 30336
    .kernarg_segment_align: 8
    .kernarg_segment_size: 44
    .language:       OpenCL C
    .language_version:
      - 2
      - 0
    .max_flat_workgroup_size: 256
    .name:           _ZL12mul_mat_q4_0IfLb0EEvPKvS1_PT_iiiii
    .private_segment_fixed_size: 0
    .sgpr_count:     26
    .sgpr_spill_count: 0
    .symbol:         _ZL12mul_mat_q4_0IfLb0EEvPKvS1_PT_iiiii.kd
    .uniform_work_group_size: 1
    .uses_dynamic_stack: false
    .vgpr_count:     176
    .vgpr_spill_count: 0
    .wavefront_size: 64
  - .agpr_count:     0
    .args:
      - .actual_access:  read_only
        .address_space:  global
        .offset:         0
        .size:           8
        .value_kind:     global_buffer
      - .actual_access:  read_only
        .address_space:  global
        .offset:         8
        .size:           8
        .value_kind:     global_buffer
      - .actual_access:  write_only
        .address_space:  global
        .offset:         16
        .size:           8
        .value_kind:     global_buffer
      - .offset:         24
        .size:           4
        .value_kind:     by_value
      - .offset:         28
        .size:           4
        .value_kind:     by_value
      - .offset:         32
        .size:           4
        .value_kind:     by_value
      - .offset:         36
        .size:           4
        .value_kind:     by_value
      - .offset:         40
        .size:           4
        .value_kind:     by_value
    .group_segment_fixed_size: 30336
    .kernarg_segment_align: 8
    .kernarg_segment_size: 44
    .language:       OpenCL C
    .language_version:
      - 2
      - 0
    .max_flat_workgroup_size: 256
    .name:           _ZL12mul_mat_q4_0IfLb1EEvPKvS1_PT_iiiii
    .private_segment_fixed_size: 0
    .sgpr_count:     26
    .sgpr_spill_count: 0
    .symbol:         _ZL12mul_mat_q4_0IfLb1EEvPKvS1_PT_iiiii.kd
    .uniform_work_group_size: 1
    .uses_dynamic_stack: false
    .vgpr_count:     176
    .vgpr_spill_count: 0
    .wavefront_size: 64
  - .agpr_count:     0
    .args:
      - .actual_access:  read_only
        .address_space:  global
        .offset:         0
        .size:           8
        .value_kind:     global_buffer
      - .actual_access:  read_only
        .address_space:  global
        .offset:         8
        .size:           8
        .value_kind:     global_buffer
      - .actual_access:  write_only
        .address_space:  global
        .offset:         16
        .size:           8
        .value_kind:     global_buffer
      - .offset:         24
        .size:           4
        .value_kind:     by_value
      - .offset:         28
        .size:           4
        .value_kind:     by_value
      - .offset:         32
        .size:           4
        .value_kind:     by_value
      - .offset:         36
        .size:           4
        .value_kind:     by_value
      - .offset:         40
        .size:           4
        .value_kind:     by_value
    .group_segment_fixed_size: 30336
    .kernarg_segment_align: 8
    .kernarg_segment_size: 44
    .language:       OpenCL C
    .language_version:
      - 2
      - 0
    .max_flat_workgroup_size: 256
    .name:           _ZL12mul_mat_q4_1IfLb0EEvPKvS1_PT_iiiii
    .private_segment_fixed_size: 0
    .sgpr_count:     24
    .sgpr_spill_count: 0
    .symbol:         _ZL12mul_mat_q4_1IfLb0EEvPKvS1_PT_iiiii.kd
    .uniform_work_group_size: 1
    .uses_dynamic_stack: false
    .vgpr_count:     172
    .vgpr_spill_count: 0
    .wavefront_size: 64
  - .agpr_count:     0
    .args:
      - .actual_access:  read_only
        .address_space:  global
        .offset:         0
        .size:           8
        .value_kind:     global_buffer
      - .actual_access:  read_only
        .address_space:  global
        .offset:         8
        .size:           8
        .value_kind:     global_buffer
      - .actual_access:  write_only
        .address_space:  global
        .offset:         16
        .size:           8
        .value_kind:     global_buffer
      - .offset:         24
        .size:           4
        .value_kind:     by_value
      - .offset:         28
        .size:           4
        .value_kind:     by_value
      - .offset:         32
        .size:           4
        .value_kind:     by_value
      - .offset:         36
        .size:           4
        .value_kind:     by_value
      - .offset:         40
        .size:           4
        .value_kind:     by_value
    .group_segment_fixed_size: 30336
    .kernarg_segment_align: 8
    .kernarg_segment_size: 44
    .language:       OpenCL C
    .language_version:
      - 2
      - 0
    .max_flat_workgroup_size: 256
    .name:           _ZL12mul_mat_q4_1IfLb1EEvPKvS1_PT_iiiii
    .private_segment_fixed_size: 0
    .sgpr_count:     24
    .sgpr_spill_count: 0
    .symbol:         _ZL12mul_mat_q4_1IfLb1EEvPKvS1_PT_iiiii.kd
    .uniform_work_group_size: 1
    .uses_dynamic_stack: false
    .vgpr_count:     172
    .vgpr_spill_count: 0
    .wavefront_size: 64
  - .agpr_count:     0
    .args:
      - .actual_access:  read_only
        .address_space:  global
        .offset:         0
        .size:           8
        .value_kind:     global_buffer
      - .actual_access:  read_only
        .address_space:  global
        .offset:         8
        .size:           8
        .value_kind:     global_buffer
      - .actual_access:  write_only
        .address_space:  global
        .offset:         16
        .size:           8
        .value_kind:     global_buffer
      - .offset:         24
        .size:           4
        .value_kind:     by_value
      - .offset:         28
        .size:           4
        .value_kind:     by_value
      - .offset:         32
        .size:           4
        .value_kind:     by_value
      - .offset:         36
        .size:           4
        .value_kind:     by_value
      - .offset:         40
        .size:           4
        .value_kind:     by_value
    .group_segment_fixed_size: 46720
    .kernarg_segment_align: 8
    .kernarg_segment_size: 44
    .language:       OpenCL C
    .language_version:
      - 2
      - 0
    .max_flat_workgroup_size: 256
    .name:           _ZL12mul_mat_q5_0IfLb0EEvPKvS1_PT_iiiii
    .private_segment_fixed_size: 0
    .sgpr_count:     26
    .sgpr_spill_count: 0
    .symbol:         _ZL12mul_mat_q5_0IfLb0EEvPKvS1_PT_iiiii.kd
    .uniform_work_group_size: 1
    .uses_dynamic_stack: false
    .vgpr_count:     175
    .vgpr_spill_count: 0
    .wavefront_size: 64
  - .agpr_count:     0
    .args:
      - .actual_access:  read_only
        .address_space:  global
        .offset:         0
        .size:           8
        .value_kind:     global_buffer
      - .actual_access:  read_only
        .address_space:  global
        .offset:         8
        .size:           8
        .value_kind:     global_buffer
      - .actual_access:  write_only
        .address_space:  global
        .offset:         16
        .size:           8
        .value_kind:     global_buffer
      - .offset:         24
        .size:           4
        .value_kind:     by_value
      - .offset:         28
        .size:           4
        .value_kind:     by_value
      - .offset:         32
        .size:           4
        .value_kind:     by_value
      - .offset:         36
        .size:           4
        .value_kind:     by_value
      - .offset:         40
        .size:           4
        .value_kind:     by_value
    .group_segment_fixed_size: 46720
    .kernarg_segment_align: 8
    .kernarg_segment_size: 44
    .language:       OpenCL C
    .language_version:
      - 2
      - 0
    .max_flat_workgroup_size: 256
    .name:           _ZL12mul_mat_q5_0IfLb1EEvPKvS1_PT_iiiii
    .private_segment_fixed_size: 0
    .sgpr_count:     26
    .sgpr_spill_count: 0
    .symbol:         _ZL12mul_mat_q5_0IfLb1EEvPKvS1_PT_iiiii.kd
    .uniform_work_group_size: 1
    .uses_dynamic_stack: false
    .vgpr_count:     175
    .vgpr_spill_count: 0
    .wavefront_size: 64
  - .agpr_count:     0
    .args:
      - .actual_access:  read_only
        .address_space:  global
        .offset:         0
        .size:           8
        .value_kind:     global_buffer
      - .actual_access:  read_only
        .address_space:  global
        .offset:         8
        .size:           8
        .value_kind:     global_buffer
      - .actual_access:  write_only
        .address_space:  global
        .offset:         16
        .size:           8
        .value_kind:     global_buffer
      - .offset:         24
        .size:           4
        .value_kind:     by_value
      - .offset:         28
        .size:           4
        .value_kind:     by_value
      - .offset:         32
        .size:           4
        .value_kind:     by_value
      - .offset:         36
        .size:           4
        .value_kind:     by_value
      - .offset:         40
        .size:           4
        .value_kind:     by_value
    .group_segment_fixed_size: 46720
    .kernarg_segment_align: 8
    .kernarg_segment_size: 44
    .language:       OpenCL C
    .language_version:
      - 2
      - 0
    .max_flat_workgroup_size: 256
    .name:           _ZL12mul_mat_q5_1IfLb0EEvPKvS1_PT_iiiii
    .private_segment_fixed_size: 0
    .sgpr_count:     23
    .sgpr_spill_count: 0
    .symbol:         _ZL12mul_mat_q5_1IfLb0EEvPKvS1_PT_iiiii.kd
    .uniform_work_group_size: 1
    .uses_dynamic_stack: false
    .vgpr_count:     169
    .vgpr_spill_count: 0
    .wavefront_size: 64
  - .agpr_count:     0
    .args:
      - .actual_access:  read_only
        .address_space:  global
        .offset:         0
        .size:           8
        .value_kind:     global_buffer
      - .actual_access:  read_only
        .address_space:  global
        .offset:         8
        .size:           8
        .value_kind:     global_buffer
      - .actual_access:  write_only
        .address_space:  global
        .offset:         16
        .size:           8
        .value_kind:     global_buffer
      - .offset:         24
        .size:           4
        .value_kind:     by_value
      - .offset:         28
        .size:           4
        .value_kind:     by_value
      - .offset:         32
        .size:           4
        .value_kind:     by_value
      - .offset:         36
        .size:           4
        .value_kind:     by_value
      - .offset:         40
        .size:           4
        .value_kind:     by_value
    .group_segment_fixed_size: 46720
    .kernarg_segment_align: 8
    .kernarg_segment_size: 44
    .language:       OpenCL C
    .language_version:
      - 2
      - 0
    .max_flat_workgroup_size: 256
    .name:           _ZL12mul_mat_q5_1IfLb1EEvPKvS1_PT_iiiii
    .private_segment_fixed_size: 0
    .sgpr_count:     24
    .sgpr_spill_count: 0
    .symbol:         _ZL12mul_mat_q5_1IfLb1EEvPKvS1_PT_iiiii.kd
    .uniform_work_group_size: 1
    .uses_dynamic_stack: false
    .vgpr_count:     169
    .vgpr_spill_count: 0
    .wavefront_size: 64
  - .agpr_count:     0
    .args:
      - .actual_access:  read_only
        .address_space:  global
        .offset:         0
        .size:           8
        .value_kind:     global_buffer
      - .actual_access:  read_only
        .address_space:  global
        .offset:         8
        .size:           8
        .value_kind:     global_buffer
      - .actual_access:  write_only
        .address_space:  global
        .offset:         16
        .size:           8
        .value_kind:     global_buffer
      - .offset:         24
        .size:           4
        .value_kind:     by_value
      - .offset:         28
        .size:           4
        .value_kind:     by_value
      - .offset:         32
        .size:           4
        .value_kind:     by_value
      - .offset:         36
        .size:           4
        .value_kind:     by_value
      - .offset:         40
        .size:           4
        .value_kind:     by_value
    .group_segment_fixed_size: 28224
    .kernarg_segment_align: 8
    .kernarg_segment_size: 44
    .language:       OpenCL C
    .language_version:
      - 2
      - 0
    .max_flat_workgroup_size: 256
    .name:           _ZL12mul_mat_q8_0IfLb0EEvPKvS1_PT_iiiii
    .private_segment_fixed_size: 0
    .sgpr_count:     24
    .sgpr_spill_count: 0
    .symbol:         _ZL12mul_mat_q8_0IfLb0EEvPKvS1_PT_iiiii.kd
    .uniform_work_group_size: 1
    .uses_dynamic_stack: false
    .vgpr_count:     163
    .vgpr_spill_count: 0
    .wavefront_size: 64
  - .agpr_count:     0
    .args:
      - .actual_access:  read_only
        .address_space:  global
        .offset:         0
        .size:           8
        .value_kind:     global_buffer
      - .actual_access:  read_only
        .address_space:  global
        .offset:         8
        .size:           8
        .value_kind:     global_buffer
      - .actual_access:  write_only
        .address_space:  global
        .offset:         16
        .size:           8
        .value_kind:     global_buffer
      - .offset:         24
        .size:           4
        .value_kind:     by_value
      - .offset:         28
        .size:           4
        .value_kind:     by_value
      - .offset:         32
        .size:           4
        .value_kind:     by_value
      - .offset:         36
        .size:           4
        .value_kind:     by_value
      - .offset:         40
        .size:           4
        .value_kind:     by_value
    .group_segment_fixed_size: 28224
    .kernarg_segment_align: 8
    .kernarg_segment_size: 44
    .language:       OpenCL C
    .language_version:
      - 2
      - 0
    .max_flat_workgroup_size: 256
    .name:           _ZL12mul_mat_q8_0IfLb1EEvPKvS1_PT_iiiii
    .private_segment_fixed_size: 0
    .sgpr_count:     24
    .sgpr_spill_count: 0
    .symbol:         _ZL12mul_mat_q8_0IfLb1EEvPKvS1_PT_iiiii.kd
    .uniform_work_group_size: 1
    .uses_dynamic_stack: false
    .vgpr_count:     164
    .vgpr_spill_count: 0
    .wavefront_size: 64
  - .agpr_count:     0
    .args:
      - .actual_access:  read_only
        .address_space:  global
        .offset:         0
        .size:           8
        .value_kind:     global_buffer
      - .actual_access:  read_only
        .address_space:  global
        .offset:         8
        .size:           8
        .value_kind:     global_buffer
      - .actual_access:  write_only
        .address_space:  global
        .offset:         16
        .size:           8
        .value_kind:     global_buffer
      - .offset:         24
        .size:           4
        .value_kind:     by_value
      - .offset:         28
        .size:           4
        .value_kind:     by_value
      - .offset:         32
        .size:           4
        .value_kind:     by_value
      - .offset:         36
        .size:           4
        .value_kind:     by_value
      - .offset:         40
        .size:           4
        .value_kind:     by_value
    .group_segment_fixed_size: 31392
    .kernarg_segment_align: 8
    .kernarg_segment_size: 44
    .language:       OpenCL C
    .language_version:
      - 2
      - 0
    .max_flat_workgroup_size: 256
    .name:           _ZL12mul_mat_q2_KIfLb0EEvPKvS1_PT_iiiii
    .private_segment_fixed_size: 0
    .sgpr_count:     28
    .sgpr_spill_count: 0
    .symbol:         _ZL12mul_mat_q2_KIfLb0EEvPKvS1_PT_iiiii.kd
    .uniform_work_group_size: 1
    .uses_dynamic_stack: false
    .vgpr_count:     225
    .vgpr_spill_count: 0
    .wavefront_size: 64
  - .agpr_count:     0
    .args:
      - .actual_access:  read_only
        .address_space:  global
        .offset:         0
        .size:           8
        .value_kind:     global_buffer
      - .actual_access:  read_only
        .address_space:  global
        .offset:         8
        .size:           8
        .value_kind:     global_buffer
      - .actual_access:  write_only
        .address_space:  global
        .offset:         16
        .size:           8
        .value_kind:     global_buffer
      - .offset:         24
        .size:           4
        .value_kind:     by_value
      - .offset:         28
        .size:           4
        .value_kind:     by_value
      - .offset:         32
        .size:           4
        .value_kind:     by_value
      - .offset:         36
        .size:           4
        .value_kind:     by_value
      - .offset:         40
        .size:           4
        .value_kind:     by_value
    .group_segment_fixed_size: 31392
    .kernarg_segment_align: 8
    .kernarg_segment_size: 44
    .language:       OpenCL C
    .language_version:
      - 2
      - 0
    .max_flat_workgroup_size: 256
    .name:           _ZL12mul_mat_q2_KIfLb1EEvPKvS1_PT_iiiii
    .private_segment_fixed_size: 0
    .sgpr_count:     28
    .sgpr_spill_count: 0
    .symbol:         _ZL12mul_mat_q2_KIfLb1EEvPKvS1_PT_iiiii.kd
    .uniform_work_group_size: 1
    .uses_dynamic_stack: false
    .vgpr_count:     225
    .vgpr_spill_count: 0
    .wavefront_size: 64
  - .agpr_count:     0
    .args:
      - .actual_access:  read_only
        .address_space:  global
        .offset:         0
        .size:           8
        .value_kind:     global_buffer
      - .actual_access:  read_only
        .address_space:  global
        .offset:         8
        .size:           8
        .value_kind:     global_buffer
      - .actual_access:  write_only
        .address_space:  global
        .offset:         16
        .size:           8
        .value_kind:     global_buffer
      - .offset:         24
        .size:           4
        .value_kind:     by_value
      - .offset:         28
        .size:           4
        .value_kind:     by_value
      - .offset:         32
        .size:           4
        .value_kind:     by_value
      - .offset:         36
        .size:           4
        .value_kind:     by_value
      - .offset:         40
        .size:           4
        .value_kind:     by_value
    .group_segment_fixed_size: 39840
    .kernarg_segment_align: 8
    .kernarg_segment_size: 44
    .language:       OpenCL C
    .language_version:
      - 2
      - 0
    .max_flat_workgroup_size: 256
    .name:           _ZL12mul_mat_q3_KIfLb0EEvPKvS1_PT_iiiii
    .private_segment_fixed_size: 0
    .sgpr_count:     36
    .sgpr_spill_count: 0
    .symbol:         _ZL12mul_mat_q3_KIfLb0EEvPKvS1_PT_iiiii.kd
    .uniform_work_group_size: 1
    .uses_dynamic_stack: false
    .vgpr_count:     216
    .vgpr_spill_count: 0
    .wavefront_size: 64
  - .agpr_count:     0
    .args:
      - .actual_access:  read_only
        .address_space:  global
        .offset:         0
        .size:           8
        .value_kind:     global_buffer
      - .actual_access:  read_only
        .address_space:  global
        .offset:         8
        .size:           8
        .value_kind:     global_buffer
      - .actual_access:  write_only
        .address_space:  global
        .offset:         16
        .size:           8
        .value_kind:     global_buffer
      - .offset:         24
        .size:           4
        .value_kind:     by_value
      - .offset:         28
        .size:           4
        .value_kind:     by_value
      - .offset:         32
        .size:           4
        .value_kind:     by_value
      - .offset:         36
        .size:           4
        .value_kind:     by_value
      - .offset:         40
        .size:           4
        .value_kind:     by_value
    .group_segment_fixed_size: 39840
    .kernarg_segment_align: 8
    .kernarg_segment_size: 44
    .language:       OpenCL C
    .language_version:
      - 2
      - 0
    .max_flat_workgroup_size: 256
    .name:           _ZL12mul_mat_q3_KIfLb1EEvPKvS1_PT_iiiii
    .private_segment_fixed_size: 0
    .sgpr_count:     36
    .sgpr_spill_count: 0
    .symbol:         _ZL12mul_mat_q3_KIfLb1EEvPKvS1_PT_iiiii.kd
    .uniform_work_group_size: 1
    .uses_dynamic_stack: false
    .vgpr_count:     216
    .vgpr_spill_count: 0
    .wavefront_size: 64
  - .agpr_count:     0
    .args:
      - .actual_access:  read_only
        .address_space:  global
        .offset:         0
        .size:           8
        .value_kind:     global_buffer
      - .actual_access:  read_only
        .address_space:  global
        .offset:         8
        .size:           8
        .value_kind:     global_buffer
      - .actual_access:  write_only
        .address_space:  global
        .offset:         16
        .size:           8
        .value_kind:     global_buffer
      - .offset:         24
        .size:           4
        .value_kind:     by_value
      - .offset:         28
        .size:           4
        .value_kind:     by_value
      - .offset:         32
        .size:           4
        .value_kind:     by_value
      - .offset:         36
        .size:           4
        .value_kind:     by_value
      - .offset:         40
        .size:           4
        .value_kind:     by_value
    .group_segment_fixed_size: 28752
    .kernarg_segment_align: 8
    .kernarg_segment_size: 44
    .language:       OpenCL C
    .language_version:
      - 2
      - 0
    .max_flat_workgroup_size: 256
    .name:           _ZL12mul_mat_q4_KIfLb0EEvPKvS1_PT_iiiii
    .private_segment_fixed_size: 36
    .sgpr_count:     26
    .sgpr_spill_count: 0
    .symbol:         _ZL12mul_mat_q4_KIfLb0EEvPKvS1_PT_iiiii.kd
    .uniform_work_group_size: 1
    .uses_dynamic_stack: false
    .vgpr_count:     256
    .vgpr_spill_count: 8
    .wavefront_size: 64
  - .agpr_count:     0
    .args:
      - .actual_access:  read_only
        .address_space:  global
        .offset:         0
        .size:           8
        .value_kind:     global_buffer
      - .actual_access:  read_only
        .address_space:  global
        .offset:         8
        .size:           8
        .value_kind:     global_buffer
      - .actual_access:  write_only
        .address_space:  global
        .offset:         16
        .size:           8
        .value_kind:     global_buffer
      - .offset:         24
        .size:           4
        .value_kind:     by_value
      - .offset:         28
        .size:           4
        .value_kind:     by_value
      - .offset:         32
        .size:           4
        .value_kind:     by_value
      - .offset:         36
        .size:           4
        .value_kind:     by_value
      - .offset:         40
        .size:           4
        .value_kind:     by_value
    .group_segment_fixed_size: 28752
    .kernarg_segment_align: 8
    .kernarg_segment_size: 44
    .language:       OpenCL C
    .language_version:
      - 2
      - 0
    .max_flat_workgroup_size: 256
    .name:           _ZL12mul_mat_q4_KIfLb1EEvPKvS1_PT_iiiii
    .private_segment_fixed_size: 100
    .sgpr_count:     26
    .sgpr_spill_count: 0
    .symbol:         _ZL12mul_mat_q4_KIfLb1EEvPKvS1_PT_iiiii.kd
    .uniform_work_group_size: 1
    .uses_dynamic_stack: false
    .vgpr_count:     256
    .vgpr_spill_count: 24
    .wavefront_size: 64
  - .agpr_count:     0
    .args:
      - .actual_access:  read_only
        .address_space:  global
        .offset:         0
        .size:           8
        .value_kind:     global_buffer
      - .actual_access:  read_only
        .address_space:  global
        .offset:         8
        .size:           8
        .value_kind:     global_buffer
      - .actual_access:  write_only
        .address_space:  global
        .offset:         16
        .size:           8
        .value_kind:     global_buffer
      - .offset:         24
        .size:           4
        .value_kind:     by_value
      - .offset:         28
        .size:           4
        .value_kind:     by_value
      - .offset:         32
        .size:           4
        .value_kind:     by_value
      - .offset:         36
        .size:           4
        .value_kind:     by_value
      - .offset:         40
        .size:           4
        .value_kind:     by_value
    .group_segment_fixed_size: 45136
    .kernarg_segment_align: 8
    .kernarg_segment_size: 44
    .language:       OpenCL C
    .language_version:
      - 2
      - 0
    .max_flat_workgroup_size: 256
    .name:           _ZL12mul_mat_q5_KIfLb0EEvPKvS1_PT_iiiii
    .private_segment_fixed_size: 36
    .sgpr_count:     27
    .sgpr_spill_count: 0
    .symbol:         _ZL12mul_mat_q5_KIfLb0EEvPKvS1_PT_iiiii.kd
    .uniform_work_group_size: 1
    .uses_dynamic_stack: false
    .vgpr_count:     256
    .vgpr_spill_count: 8
    .wavefront_size: 64
  - .agpr_count:     0
    .args:
      - .actual_access:  read_only
        .address_space:  global
        .offset:         0
        .size:           8
        .value_kind:     global_buffer
      - .actual_access:  read_only
        .address_space:  global
        .offset:         8
        .size:           8
        .value_kind:     global_buffer
      - .actual_access:  write_only
        .address_space:  global
        .offset:         16
        .size:           8
        .value_kind:     global_buffer
      - .offset:         24
        .size:           4
        .value_kind:     by_value
      - .offset:         28
        .size:           4
        .value_kind:     by_value
      - .offset:         32
        .size:           4
        .value_kind:     by_value
      - .offset:         36
        .size:           4
        .value_kind:     by_value
      - .offset:         40
        .size:           4
        .value_kind:     by_value
    .group_segment_fixed_size: 45136
    .kernarg_segment_align: 8
    .kernarg_segment_size: 44
    .language:       OpenCL C
    .language_version:
      - 2
      - 0
    .max_flat_workgroup_size: 256
    .name:           _ZL12mul_mat_q5_KIfLb1EEvPKvS1_PT_iiiii
    .private_segment_fixed_size: 116
    .sgpr_count:     27
    .sgpr_spill_count: 0
    .symbol:         _ZL12mul_mat_q5_KIfLb1EEvPKvS1_PT_iiiii.kd
    .uniform_work_group_size: 1
    .uses_dynamic_stack: false
    .vgpr_count:     256
    .vgpr_spill_count: 28
    .wavefront_size: 64
  - .agpr_count:     0
    .args:
      - .actual_access:  read_only
        .address_space:  global
        .offset:         0
        .size:           8
        .value_kind:     global_buffer
      - .actual_access:  read_only
        .address_space:  global
        .offset:         8
        .size:           8
        .value_kind:     global_buffer
      - .actual_access:  write_only
        .address_space:  global
        .offset:         16
        .size:           8
        .value_kind:     global_buffer
      - .offset:         24
        .size:           4
        .value_kind:     by_value
      - .offset:         28
        .size:           4
        .value_kind:     by_value
      - .offset:         32
        .size:           4
        .value_kind:     by_value
      - .offset:         36
        .size:           4
        .value_kind:     by_value
      - .offset:         40
        .size:           4
        .value_kind:     by_value
    .group_segment_fixed_size: 45136
    .kernarg_segment_align: 8
    .kernarg_segment_size: 44
    .language:       OpenCL C
    .language_version:
      - 2
      - 0
    .max_flat_workgroup_size: 256
    .name:           _ZL12mul_mat_q6_KIfLb0EEvPKvS1_PT_iiiii
    .private_segment_fixed_size: 0
    .sgpr_count:     32
    .sgpr_spill_count: 0
    .symbol:         _ZL12mul_mat_q6_KIfLb0EEvPKvS1_PT_iiiii.kd
    .uniform_work_group_size: 1
    .uses_dynamic_stack: false
    .vgpr_count:     232
    .vgpr_spill_count: 0
    .wavefront_size: 64
  - .agpr_count:     0
    .args:
      - .actual_access:  read_only
        .address_space:  global
        .offset:         0
        .size:           8
        .value_kind:     global_buffer
      - .actual_access:  read_only
        .address_space:  global
        .offset:         8
        .size:           8
        .value_kind:     global_buffer
      - .actual_access:  write_only
        .address_space:  global
        .offset:         16
        .size:           8
        .value_kind:     global_buffer
      - .offset:         24
        .size:           4
        .value_kind:     by_value
      - .offset:         28
        .size:           4
        .value_kind:     by_value
      - .offset:         32
        .size:           4
        .value_kind:     by_value
      - .offset:         36
        .size:           4
        .value_kind:     by_value
      - .offset:         40
        .size:           4
        .value_kind:     by_value
    .group_segment_fixed_size: 45136
    .kernarg_segment_align: 8
    .kernarg_segment_size: 44
    .language:       OpenCL C
    .language_version:
      - 2
      - 0
    .max_flat_workgroup_size: 256
    .name:           _ZL12mul_mat_q6_KIfLb1EEvPKvS1_PT_iiiii
    .private_segment_fixed_size: 0
    .sgpr_count:     32
    .sgpr_spill_count: 0
    .symbol:         _ZL12mul_mat_q6_KIfLb1EEvPKvS1_PT_iiiii.kd
    .uniform_work_group_size: 1
    .uses_dynamic_stack: false
    .vgpr_count:     232
    .vgpr_spill_count: 0
    .wavefront_size: 64
  - .agpr_count:     0
    .args:
      - .actual_access:  read_only
        .address_space:  global
        .offset:         0
        .size:           8
        .value_kind:     global_buffer
      - .actual_access:  read_only
        .address_space:  global
        .offset:         8
        .size:           8
        .value_kind:     global_buffer
      - .actual_access:  write_only
        .address_space:  global
        .offset:         16
        .size:           8
        .value_kind:     global_buffer
      - .offset:         24
        .size:           4
        .value_kind:     by_value
      - .offset:         28
        .size:           4
        .value_kind:     by_value
      - .offset:         32
        .size:           4
        .value_kind:     by_value
      - .offset:         36
        .size:           4
        .value_kind:     by_value
      - .offset:         40
        .size:           4
        .value_kind:     by_value
    .group_segment_fixed_size: 30336
    .kernarg_segment_align: 8
    .kernarg_segment_size: 44
    .language:       OpenCL C
    .language_version:
      - 2
      - 0
    .max_flat_workgroup_size: 256
    .name:           _ZL12mul_mat_q4_0IN3c104HalfELb0EEvPKvS3_PT_iiiii
    .private_segment_fixed_size: 0
    .sgpr_count:     26
    .sgpr_spill_count: 0
    .symbol:         _ZL12mul_mat_q4_0IN3c104HalfELb0EEvPKvS3_PT_iiiii.kd
    .uniform_work_group_size: 1
    .uses_dynamic_stack: false
    .vgpr_count:     176
    .vgpr_spill_count: 0
    .wavefront_size: 64
  - .agpr_count:     0
    .args:
      - .actual_access:  read_only
        .address_space:  global
        .offset:         0
        .size:           8
        .value_kind:     global_buffer
      - .actual_access:  read_only
        .address_space:  global
        .offset:         8
        .size:           8
        .value_kind:     global_buffer
      - .actual_access:  write_only
        .address_space:  global
        .offset:         16
        .size:           8
        .value_kind:     global_buffer
      - .offset:         24
        .size:           4
        .value_kind:     by_value
      - .offset:         28
        .size:           4
        .value_kind:     by_value
      - .offset:         32
        .size:           4
        .value_kind:     by_value
      - .offset:         36
        .size:           4
        .value_kind:     by_value
      - .offset:         40
        .size:           4
        .value_kind:     by_value
    .group_segment_fixed_size: 30336
    .kernarg_segment_align: 8
    .kernarg_segment_size: 44
    .language:       OpenCL C
    .language_version:
      - 2
      - 0
    .max_flat_workgroup_size: 256
    .name:           _ZL12mul_mat_q4_0IN3c104HalfELb1EEvPKvS3_PT_iiiii
    .private_segment_fixed_size: 0
    .sgpr_count:     26
    .sgpr_spill_count: 0
    .symbol:         _ZL12mul_mat_q4_0IN3c104HalfELb1EEvPKvS3_PT_iiiii.kd
    .uniform_work_group_size: 1
    .uses_dynamic_stack: false
    .vgpr_count:     176
    .vgpr_spill_count: 0
    .wavefront_size: 64
  - .agpr_count:     0
    .args:
      - .actual_access:  read_only
        .address_space:  global
        .offset:         0
        .size:           8
        .value_kind:     global_buffer
      - .actual_access:  read_only
        .address_space:  global
        .offset:         8
        .size:           8
        .value_kind:     global_buffer
      - .actual_access:  write_only
        .address_space:  global
        .offset:         16
        .size:           8
        .value_kind:     global_buffer
      - .offset:         24
        .size:           4
        .value_kind:     by_value
      - .offset:         28
        .size:           4
        .value_kind:     by_value
      - .offset:         32
        .size:           4
        .value_kind:     by_value
      - .offset:         36
        .size:           4
        .value_kind:     by_value
      - .offset:         40
        .size:           4
        .value_kind:     by_value
    .group_segment_fixed_size: 30336
    .kernarg_segment_align: 8
    .kernarg_segment_size: 44
    .language:       OpenCL C
    .language_version:
      - 2
      - 0
    .max_flat_workgroup_size: 256
    .name:           _ZL12mul_mat_q4_1IN3c104HalfELb0EEvPKvS3_PT_iiiii
    .private_segment_fixed_size: 0
    .sgpr_count:     24
    .sgpr_spill_count: 0
    .symbol:         _ZL12mul_mat_q4_1IN3c104HalfELb0EEvPKvS3_PT_iiiii.kd
    .uniform_work_group_size: 1
    .uses_dynamic_stack: false
    .vgpr_count:     172
    .vgpr_spill_count: 0
    .wavefront_size: 64
  - .agpr_count:     0
    .args:
      - .actual_access:  read_only
        .address_space:  global
        .offset:         0
        .size:           8
        .value_kind:     global_buffer
      - .actual_access:  read_only
        .address_space:  global
        .offset:         8
        .size:           8
        .value_kind:     global_buffer
      - .actual_access:  write_only
        .address_space:  global
        .offset:         16
        .size:           8
        .value_kind:     global_buffer
      - .offset:         24
        .size:           4
        .value_kind:     by_value
      - .offset:         28
        .size:           4
        .value_kind:     by_value
      - .offset:         32
        .size:           4
        .value_kind:     by_value
      - .offset:         36
        .size:           4
        .value_kind:     by_value
      - .offset:         40
        .size:           4
        .value_kind:     by_value
    .group_segment_fixed_size: 30336
    .kernarg_segment_align: 8
    .kernarg_segment_size: 44
    .language:       OpenCL C
    .language_version:
      - 2
      - 0
    .max_flat_workgroup_size: 256
    .name:           _ZL12mul_mat_q4_1IN3c104HalfELb1EEvPKvS3_PT_iiiii
    .private_segment_fixed_size: 0
    .sgpr_count:     24
    .sgpr_spill_count: 0
    .symbol:         _ZL12mul_mat_q4_1IN3c104HalfELb1EEvPKvS3_PT_iiiii.kd
    .uniform_work_group_size: 1
    .uses_dynamic_stack: false
    .vgpr_count:     172
    .vgpr_spill_count: 0
    .wavefront_size: 64
  - .agpr_count:     0
    .args:
      - .actual_access:  read_only
        .address_space:  global
        .offset:         0
        .size:           8
        .value_kind:     global_buffer
      - .actual_access:  read_only
        .address_space:  global
        .offset:         8
        .size:           8
        .value_kind:     global_buffer
      - .actual_access:  write_only
        .address_space:  global
        .offset:         16
        .size:           8
        .value_kind:     global_buffer
      - .offset:         24
        .size:           4
        .value_kind:     by_value
      - .offset:         28
        .size:           4
        .value_kind:     by_value
      - .offset:         32
        .size:           4
        .value_kind:     by_value
      - .offset:         36
        .size:           4
        .value_kind:     by_value
      - .offset:         40
        .size:           4
        .value_kind:     by_value
    .group_segment_fixed_size: 46720
    .kernarg_segment_align: 8
    .kernarg_segment_size: 44
    .language:       OpenCL C
    .language_version:
      - 2
      - 0
    .max_flat_workgroup_size: 256
    .name:           _ZL12mul_mat_q5_0IN3c104HalfELb0EEvPKvS3_PT_iiiii
    .private_segment_fixed_size: 0
    .sgpr_count:     26
    .sgpr_spill_count: 0
    .symbol:         _ZL12mul_mat_q5_0IN3c104HalfELb0EEvPKvS3_PT_iiiii.kd
    .uniform_work_group_size: 1
    .uses_dynamic_stack: false
    .vgpr_count:     175
    .vgpr_spill_count: 0
    .wavefront_size: 64
  - .agpr_count:     0
    .args:
      - .actual_access:  read_only
        .address_space:  global
        .offset:         0
        .size:           8
        .value_kind:     global_buffer
      - .actual_access:  read_only
        .address_space:  global
        .offset:         8
        .size:           8
        .value_kind:     global_buffer
      - .actual_access:  write_only
        .address_space:  global
        .offset:         16
        .size:           8
        .value_kind:     global_buffer
      - .offset:         24
        .size:           4
        .value_kind:     by_value
      - .offset:         28
        .size:           4
        .value_kind:     by_value
      - .offset:         32
        .size:           4
        .value_kind:     by_value
      - .offset:         36
        .size:           4
        .value_kind:     by_value
      - .offset:         40
        .size:           4
        .value_kind:     by_value
    .group_segment_fixed_size: 46720
    .kernarg_segment_align: 8
    .kernarg_segment_size: 44
    .language:       OpenCL C
    .language_version:
      - 2
      - 0
    .max_flat_workgroup_size: 256
    .name:           _ZL12mul_mat_q5_0IN3c104HalfELb1EEvPKvS3_PT_iiiii
    .private_segment_fixed_size: 0
    .sgpr_count:     26
    .sgpr_spill_count: 0
    .symbol:         _ZL12mul_mat_q5_0IN3c104HalfELb1EEvPKvS3_PT_iiiii.kd
    .uniform_work_group_size: 1
    .uses_dynamic_stack: false
    .vgpr_count:     175
    .vgpr_spill_count: 0
    .wavefront_size: 64
  - .agpr_count:     0
    .args:
      - .actual_access:  read_only
        .address_space:  global
        .offset:         0
        .size:           8
        .value_kind:     global_buffer
      - .actual_access:  read_only
        .address_space:  global
        .offset:         8
        .size:           8
        .value_kind:     global_buffer
      - .actual_access:  write_only
        .address_space:  global
        .offset:         16
        .size:           8
        .value_kind:     global_buffer
      - .offset:         24
        .size:           4
        .value_kind:     by_value
      - .offset:         28
        .size:           4
        .value_kind:     by_value
      - .offset:         32
        .size:           4
        .value_kind:     by_value
      - .offset:         36
        .size:           4
        .value_kind:     by_value
      - .offset:         40
        .size:           4
        .value_kind:     by_value
    .group_segment_fixed_size: 46720
    .kernarg_segment_align: 8
    .kernarg_segment_size: 44
    .language:       OpenCL C
    .language_version:
      - 2
      - 0
    .max_flat_workgroup_size: 256
    .name:           _ZL12mul_mat_q5_1IN3c104HalfELb0EEvPKvS3_PT_iiiii
    .private_segment_fixed_size: 0
    .sgpr_count:     23
    .sgpr_spill_count: 0
    .symbol:         _ZL12mul_mat_q5_1IN3c104HalfELb0EEvPKvS3_PT_iiiii.kd
    .uniform_work_group_size: 1
    .uses_dynamic_stack: false
    .vgpr_count:     169
    .vgpr_spill_count: 0
    .wavefront_size: 64
  - .agpr_count:     0
    .args:
      - .actual_access:  read_only
        .address_space:  global
        .offset:         0
        .size:           8
        .value_kind:     global_buffer
      - .actual_access:  read_only
        .address_space:  global
        .offset:         8
        .size:           8
        .value_kind:     global_buffer
      - .actual_access:  write_only
        .address_space:  global
        .offset:         16
        .size:           8
        .value_kind:     global_buffer
      - .offset:         24
        .size:           4
        .value_kind:     by_value
      - .offset:         28
        .size:           4
        .value_kind:     by_value
      - .offset:         32
        .size:           4
        .value_kind:     by_value
      - .offset:         36
        .size:           4
        .value_kind:     by_value
      - .offset:         40
        .size:           4
        .value_kind:     by_value
    .group_segment_fixed_size: 46720
    .kernarg_segment_align: 8
    .kernarg_segment_size: 44
    .language:       OpenCL C
    .language_version:
      - 2
      - 0
    .max_flat_workgroup_size: 256
    .name:           _ZL12mul_mat_q5_1IN3c104HalfELb1EEvPKvS3_PT_iiiii
    .private_segment_fixed_size: 0
    .sgpr_count:     24
    .sgpr_spill_count: 0
    .symbol:         _ZL12mul_mat_q5_1IN3c104HalfELb1EEvPKvS3_PT_iiiii.kd
    .uniform_work_group_size: 1
    .uses_dynamic_stack: false
    .vgpr_count:     169
    .vgpr_spill_count: 0
    .wavefront_size: 64
  - .agpr_count:     0
    .args:
      - .actual_access:  read_only
        .address_space:  global
        .offset:         0
        .size:           8
        .value_kind:     global_buffer
      - .actual_access:  read_only
        .address_space:  global
        .offset:         8
        .size:           8
        .value_kind:     global_buffer
      - .actual_access:  write_only
        .address_space:  global
        .offset:         16
        .size:           8
        .value_kind:     global_buffer
      - .offset:         24
        .size:           4
        .value_kind:     by_value
      - .offset:         28
        .size:           4
        .value_kind:     by_value
      - .offset:         32
        .size:           4
        .value_kind:     by_value
      - .offset:         36
        .size:           4
        .value_kind:     by_value
      - .offset:         40
        .size:           4
        .value_kind:     by_value
    .group_segment_fixed_size: 28224
    .kernarg_segment_align: 8
    .kernarg_segment_size: 44
    .language:       OpenCL C
    .language_version:
      - 2
      - 0
    .max_flat_workgroup_size: 256
    .name:           _ZL12mul_mat_q8_0IN3c104HalfELb0EEvPKvS3_PT_iiiii
    .private_segment_fixed_size: 0
    .sgpr_count:     24
    .sgpr_spill_count: 0
    .symbol:         _ZL12mul_mat_q8_0IN3c104HalfELb0EEvPKvS3_PT_iiiii.kd
    .uniform_work_group_size: 1
    .uses_dynamic_stack: false
    .vgpr_count:     163
    .vgpr_spill_count: 0
    .wavefront_size: 64
  - .agpr_count:     0
    .args:
      - .actual_access:  read_only
        .address_space:  global
        .offset:         0
        .size:           8
        .value_kind:     global_buffer
      - .actual_access:  read_only
        .address_space:  global
        .offset:         8
        .size:           8
        .value_kind:     global_buffer
      - .actual_access:  write_only
        .address_space:  global
        .offset:         16
        .size:           8
        .value_kind:     global_buffer
      - .offset:         24
        .size:           4
        .value_kind:     by_value
      - .offset:         28
        .size:           4
        .value_kind:     by_value
      - .offset:         32
        .size:           4
        .value_kind:     by_value
      - .offset:         36
        .size:           4
        .value_kind:     by_value
      - .offset:         40
        .size:           4
        .value_kind:     by_value
    .group_segment_fixed_size: 28224
    .kernarg_segment_align: 8
    .kernarg_segment_size: 44
    .language:       OpenCL C
    .language_version:
      - 2
      - 0
    .max_flat_workgroup_size: 256
    .name:           _ZL12mul_mat_q8_0IN3c104HalfELb1EEvPKvS3_PT_iiiii
    .private_segment_fixed_size: 0
    .sgpr_count:     24
    .sgpr_spill_count: 0
    .symbol:         _ZL12mul_mat_q8_0IN3c104HalfELb1EEvPKvS3_PT_iiiii.kd
    .uniform_work_group_size: 1
    .uses_dynamic_stack: false
    .vgpr_count:     164
    .vgpr_spill_count: 0
    .wavefront_size: 64
  - .agpr_count:     0
    .args:
      - .actual_access:  read_only
        .address_space:  global
        .offset:         0
        .size:           8
        .value_kind:     global_buffer
      - .actual_access:  read_only
        .address_space:  global
        .offset:         8
        .size:           8
        .value_kind:     global_buffer
      - .actual_access:  write_only
        .address_space:  global
        .offset:         16
        .size:           8
        .value_kind:     global_buffer
      - .offset:         24
        .size:           4
        .value_kind:     by_value
      - .offset:         28
        .size:           4
        .value_kind:     by_value
      - .offset:         32
        .size:           4
        .value_kind:     by_value
      - .offset:         36
        .size:           4
        .value_kind:     by_value
      - .offset:         40
        .size:           4
        .value_kind:     by_value
    .group_segment_fixed_size: 31392
    .kernarg_segment_align: 8
    .kernarg_segment_size: 44
    .language:       OpenCL C
    .language_version:
      - 2
      - 0
    .max_flat_workgroup_size: 256
    .name:           _ZL12mul_mat_q2_KIN3c104HalfELb0EEvPKvS3_PT_iiiii
    .private_segment_fixed_size: 0
    .sgpr_count:     28
    .sgpr_spill_count: 0
    .symbol:         _ZL12mul_mat_q2_KIN3c104HalfELb0EEvPKvS3_PT_iiiii.kd
    .uniform_work_group_size: 1
    .uses_dynamic_stack: false
    .vgpr_count:     225
    .vgpr_spill_count: 0
    .wavefront_size: 64
  - .agpr_count:     0
    .args:
      - .actual_access:  read_only
        .address_space:  global
        .offset:         0
        .size:           8
        .value_kind:     global_buffer
      - .actual_access:  read_only
        .address_space:  global
        .offset:         8
        .size:           8
        .value_kind:     global_buffer
      - .actual_access:  write_only
        .address_space:  global
        .offset:         16
        .size:           8
        .value_kind:     global_buffer
      - .offset:         24
        .size:           4
        .value_kind:     by_value
      - .offset:         28
        .size:           4
        .value_kind:     by_value
      - .offset:         32
        .size:           4
        .value_kind:     by_value
      - .offset:         36
        .size:           4
        .value_kind:     by_value
      - .offset:         40
        .size:           4
        .value_kind:     by_value
    .group_segment_fixed_size: 31392
    .kernarg_segment_align: 8
    .kernarg_segment_size: 44
    .language:       OpenCL C
    .language_version:
      - 2
      - 0
    .max_flat_workgroup_size: 256
    .name:           _ZL12mul_mat_q2_KIN3c104HalfELb1EEvPKvS3_PT_iiiii
    .private_segment_fixed_size: 0
    .sgpr_count:     28
    .sgpr_spill_count: 0
    .symbol:         _ZL12mul_mat_q2_KIN3c104HalfELb1EEvPKvS3_PT_iiiii.kd
    .uniform_work_group_size: 1
    .uses_dynamic_stack: false
    .vgpr_count:     225
    .vgpr_spill_count: 0
    .wavefront_size: 64
  - .agpr_count:     0
    .args:
      - .actual_access:  read_only
        .address_space:  global
        .offset:         0
        .size:           8
        .value_kind:     global_buffer
      - .actual_access:  read_only
        .address_space:  global
        .offset:         8
        .size:           8
        .value_kind:     global_buffer
      - .actual_access:  write_only
        .address_space:  global
        .offset:         16
        .size:           8
        .value_kind:     global_buffer
      - .offset:         24
        .size:           4
        .value_kind:     by_value
      - .offset:         28
        .size:           4
        .value_kind:     by_value
      - .offset:         32
        .size:           4
        .value_kind:     by_value
      - .offset:         36
        .size:           4
        .value_kind:     by_value
      - .offset:         40
        .size:           4
        .value_kind:     by_value
    .group_segment_fixed_size: 39840
    .kernarg_segment_align: 8
    .kernarg_segment_size: 44
    .language:       OpenCL C
    .language_version:
      - 2
      - 0
    .max_flat_workgroup_size: 256
    .name:           _ZL12mul_mat_q3_KIN3c104HalfELb0EEvPKvS3_PT_iiiii
    .private_segment_fixed_size: 0
    .sgpr_count:     36
    .sgpr_spill_count: 0
    .symbol:         _ZL12mul_mat_q3_KIN3c104HalfELb0EEvPKvS3_PT_iiiii.kd
    .uniform_work_group_size: 1
    .uses_dynamic_stack: false
    .vgpr_count:     216
    .vgpr_spill_count: 0
    .wavefront_size: 64
  - .agpr_count:     0
    .args:
      - .actual_access:  read_only
        .address_space:  global
        .offset:         0
        .size:           8
        .value_kind:     global_buffer
      - .actual_access:  read_only
        .address_space:  global
        .offset:         8
        .size:           8
        .value_kind:     global_buffer
      - .actual_access:  write_only
        .address_space:  global
        .offset:         16
        .size:           8
        .value_kind:     global_buffer
      - .offset:         24
        .size:           4
        .value_kind:     by_value
      - .offset:         28
        .size:           4
        .value_kind:     by_value
      - .offset:         32
        .size:           4
        .value_kind:     by_value
      - .offset:         36
        .size:           4
        .value_kind:     by_value
      - .offset:         40
        .size:           4
        .value_kind:     by_value
    .group_segment_fixed_size: 39840
    .kernarg_segment_align: 8
    .kernarg_segment_size: 44
    .language:       OpenCL C
    .language_version:
      - 2
      - 0
    .max_flat_workgroup_size: 256
    .name:           _ZL12mul_mat_q3_KIN3c104HalfELb1EEvPKvS3_PT_iiiii
    .private_segment_fixed_size: 0
    .sgpr_count:     36
    .sgpr_spill_count: 0
    .symbol:         _ZL12mul_mat_q3_KIN3c104HalfELb1EEvPKvS3_PT_iiiii.kd
    .uniform_work_group_size: 1
    .uses_dynamic_stack: false
    .vgpr_count:     216
    .vgpr_spill_count: 0
    .wavefront_size: 64
  - .agpr_count:     0
    .args:
      - .actual_access:  read_only
        .address_space:  global
        .offset:         0
        .size:           8
        .value_kind:     global_buffer
      - .actual_access:  read_only
        .address_space:  global
        .offset:         8
        .size:           8
        .value_kind:     global_buffer
      - .actual_access:  write_only
        .address_space:  global
        .offset:         16
        .size:           8
        .value_kind:     global_buffer
      - .offset:         24
        .size:           4
        .value_kind:     by_value
      - .offset:         28
        .size:           4
        .value_kind:     by_value
      - .offset:         32
        .size:           4
        .value_kind:     by_value
      - .offset:         36
        .size:           4
        .value_kind:     by_value
      - .offset:         40
        .size:           4
        .value_kind:     by_value
    .group_segment_fixed_size: 28752
    .kernarg_segment_align: 8
    .kernarg_segment_size: 44
    .language:       OpenCL C
    .language_version:
      - 2
      - 0
    .max_flat_workgroup_size: 256
    .name:           _ZL12mul_mat_q4_KIN3c104HalfELb0EEvPKvS3_PT_iiiii
    .private_segment_fixed_size: 36
    .sgpr_count:     26
    .sgpr_spill_count: 0
    .symbol:         _ZL12mul_mat_q4_KIN3c104HalfELb0EEvPKvS3_PT_iiiii.kd
    .uniform_work_group_size: 1
    .uses_dynamic_stack: false
    .vgpr_count:     256
    .vgpr_spill_count: 8
    .wavefront_size: 64
  - .agpr_count:     0
    .args:
      - .actual_access:  read_only
        .address_space:  global
        .offset:         0
        .size:           8
        .value_kind:     global_buffer
      - .actual_access:  read_only
        .address_space:  global
        .offset:         8
        .size:           8
        .value_kind:     global_buffer
      - .actual_access:  write_only
        .address_space:  global
        .offset:         16
        .size:           8
        .value_kind:     global_buffer
      - .offset:         24
        .size:           4
        .value_kind:     by_value
      - .offset:         28
        .size:           4
        .value_kind:     by_value
      - .offset:         32
        .size:           4
        .value_kind:     by_value
      - .offset:         36
        .size:           4
        .value_kind:     by_value
      - .offset:         40
        .size:           4
        .value_kind:     by_value
    .group_segment_fixed_size: 28752
    .kernarg_segment_align: 8
    .kernarg_segment_size: 44
    .language:       OpenCL C
    .language_version:
      - 2
      - 0
    .max_flat_workgroup_size: 256
    .name:           _ZL12mul_mat_q4_KIN3c104HalfELb1EEvPKvS3_PT_iiiii
    .private_segment_fixed_size: 100
    .sgpr_count:     26
    .sgpr_spill_count: 0
    .symbol:         _ZL12mul_mat_q4_KIN3c104HalfELb1EEvPKvS3_PT_iiiii.kd
    .uniform_work_group_size: 1
    .uses_dynamic_stack: false
    .vgpr_count:     256
    .vgpr_spill_count: 24
    .wavefront_size: 64
  - .agpr_count:     0
    .args:
      - .actual_access:  read_only
        .address_space:  global
        .offset:         0
        .size:           8
        .value_kind:     global_buffer
      - .actual_access:  read_only
        .address_space:  global
        .offset:         8
        .size:           8
        .value_kind:     global_buffer
      - .actual_access:  write_only
        .address_space:  global
        .offset:         16
        .size:           8
        .value_kind:     global_buffer
      - .offset:         24
        .size:           4
        .value_kind:     by_value
      - .offset:         28
        .size:           4
        .value_kind:     by_value
      - .offset:         32
        .size:           4
        .value_kind:     by_value
      - .offset:         36
        .size:           4
        .value_kind:     by_value
      - .offset:         40
        .size:           4
        .value_kind:     by_value
    .group_segment_fixed_size: 45136
    .kernarg_segment_align: 8
    .kernarg_segment_size: 44
    .language:       OpenCL C
    .language_version:
      - 2
      - 0
    .max_flat_workgroup_size: 256
    .name:           _ZL12mul_mat_q5_KIN3c104HalfELb0EEvPKvS3_PT_iiiii
    .private_segment_fixed_size: 36
    .sgpr_count:     27
    .sgpr_spill_count: 0
    .symbol:         _ZL12mul_mat_q5_KIN3c104HalfELb0EEvPKvS3_PT_iiiii.kd
    .uniform_work_group_size: 1
    .uses_dynamic_stack: false
    .vgpr_count:     256
    .vgpr_spill_count: 8
    .wavefront_size: 64
  - .agpr_count:     0
    .args:
      - .actual_access:  read_only
        .address_space:  global
        .offset:         0
        .size:           8
        .value_kind:     global_buffer
      - .actual_access:  read_only
        .address_space:  global
        .offset:         8
        .size:           8
        .value_kind:     global_buffer
      - .actual_access:  write_only
        .address_space:  global
        .offset:         16
        .size:           8
        .value_kind:     global_buffer
      - .offset:         24
        .size:           4
        .value_kind:     by_value
      - .offset:         28
        .size:           4
        .value_kind:     by_value
      - .offset:         32
        .size:           4
        .value_kind:     by_value
      - .offset:         36
        .size:           4
        .value_kind:     by_value
      - .offset:         40
        .size:           4
        .value_kind:     by_value
    .group_segment_fixed_size: 45136
    .kernarg_segment_align: 8
    .kernarg_segment_size: 44
    .language:       OpenCL C
    .language_version:
      - 2
      - 0
    .max_flat_workgroup_size: 256
    .name:           _ZL12mul_mat_q5_KIN3c104HalfELb1EEvPKvS3_PT_iiiii
    .private_segment_fixed_size: 116
    .sgpr_count:     27
    .sgpr_spill_count: 0
    .symbol:         _ZL12mul_mat_q5_KIN3c104HalfELb1EEvPKvS3_PT_iiiii.kd
    .uniform_work_group_size: 1
    .uses_dynamic_stack: false
    .vgpr_count:     256
    .vgpr_spill_count: 28
    .wavefront_size: 64
  - .agpr_count:     0
    .args:
      - .actual_access:  read_only
        .address_space:  global
        .offset:         0
        .size:           8
        .value_kind:     global_buffer
      - .actual_access:  read_only
        .address_space:  global
        .offset:         8
        .size:           8
        .value_kind:     global_buffer
      - .actual_access:  write_only
        .address_space:  global
        .offset:         16
        .size:           8
        .value_kind:     global_buffer
      - .offset:         24
        .size:           4
        .value_kind:     by_value
      - .offset:         28
        .size:           4
        .value_kind:     by_value
      - .offset:         32
        .size:           4
        .value_kind:     by_value
      - .offset:         36
        .size:           4
        .value_kind:     by_value
      - .offset:         40
        .size:           4
        .value_kind:     by_value
    .group_segment_fixed_size: 45136
    .kernarg_segment_align: 8
    .kernarg_segment_size: 44
    .language:       OpenCL C
    .language_version:
      - 2
      - 0
    .max_flat_workgroup_size: 256
    .name:           _ZL12mul_mat_q6_KIN3c104HalfELb0EEvPKvS3_PT_iiiii
    .private_segment_fixed_size: 0
    .sgpr_count:     32
    .sgpr_spill_count: 0
    .symbol:         _ZL12mul_mat_q6_KIN3c104HalfELb0EEvPKvS3_PT_iiiii.kd
    .uniform_work_group_size: 1
    .uses_dynamic_stack: false
    .vgpr_count:     232
    .vgpr_spill_count: 0
    .wavefront_size: 64
  - .agpr_count:     0
    .args:
      - .actual_access:  read_only
        .address_space:  global
        .offset:         0
        .size:           8
        .value_kind:     global_buffer
      - .actual_access:  read_only
        .address_space:  global
        .offset:         8
        .size:           8
        .value_kind:     global_buffer
      - .actual_access:  write_only
        .address_space:  global
        .offset:         16
        .size:           8
        .value_kind:     global_buffer
      - .offset:         24
        .size:           4
        .value_kind:     by_value
      - .offset:         28
        .size:           4
        .value_kind:     by_value
      - .offset:         32
        .size:           4
        .value_kind:     by_value
      - .offset:         36
        .size:           4
        .value_kind:     by_value
      - .offset:         40
        .size:           4
        .value_kind:     by_value
    .group_segment_fixed_size: 45136
    .kernarg_segment_align: 8
    .kernarg_segment_size: 44
    .language:       OpenCL C
    .language_version:
      - 2
      - 0
    .max_flat_workgroup_size: 256
    .name:           _ZL12mul_mat_q6_KIN3c104HalfELb1EEvPKvS3_PT_iiiii
    .private_segment_fixed_size: 0
    .sgpr_count:     32
    .sgpr_spill_count: 0
    .symbol:         _ZL12mul_mat_q6_KIN3c104HalfELb1EEvPKvS3_PT_iiiii.kd
    .uniform_work_group_size: 1
    .uses_dynamic_stack: false
    .vgpr_count:     232
    .vgpr_spill_count: 0
    .wavefront_size: 64
  - .agpr_count:     0
    .args:
      - .actual_access:  read_only
        .address_space:  global
        .offset:         0
        .size:           8
        .value_kind:     global_buffer
      - .actual_access:  read_only
        .address_space:  global
        .offset:         8
        .size:           8
        .value_kind:     global_buffer
      - .actual_access:  write_only
        .address_space:  global
        .offset:         16
        .size:           8
        .value_kind:     global_buffer
      - .offset:         24
        .size:           4
        .value_kind:     by_value
      - .offset:         28
        .size:           4
        .value_kind:     by_value
      - .offset:         32
        .size:           4
        .value_kind:     by_value
      - .offset:         36
        .size:           4
        .value_kind:     by_value
      - .offset:         40
        .size:           4
        .value_kind:     by_value
    .group_segment_fixed_size: 30336
    .kernarg_segment_align: 8
    .kernarg_segment_size: 44
    .language:       OpenCL C
    .language_version:
      - 2
      - 0
    .max_flat_workgroup_size: 256
    .name:           _ZL12mul_mat_q4_0IN3c108BFloat16ELb0EEvPKvS3_PT_iiiii
    .private_segment_fixed_size: 0
    .sgpr_count:     26
    .sgpr_spill_count: 0
    .symbol:         _ZL12mul_mat_q4_0IN3c108BFloat16ELb0EEvPKvS3_PT_iiiii.kd
    .uniform_work_group_size: 1
    .uses_dynamic_stack: false
    .vgpr_count:     176
    .vgpr_spill_count: 0
    .wavefront_size: 64
  - .agpr_count:     0
    .args:
      - .actual_access:  read_only
        .address_space:  global
        .offset:         0
        .size:           8
        .value_kind:     global_buffer
      - .actual_access:  read_only
        .address_space:  global
        .offset:         8
        .size:           8
        .value_kind:     global_buffer
      - .actual_access:  write_only
        .address_space:  global
        .offset:         16
        .size:           8
        .value_kind:     global_buffer
      - .offset:         24
        .size:           4
        .value_kind:     by_value
      - .offset:         28
        .size:           4
        .value_kind:     by_value
      - .offset:         32
        .size:           4
        .value_kind:     by_value
      - .offset:         36
        .size:           4
        .value_kind:     by_value
      - .offset:         40
        .size:           4
        .value_kind:     by_value
    .group_segment_fixed_size: 30336
    .kernarg_segment_align: 8
    .kernarg_segment_size: 44
    .language:       OpenCL C
    .language_version:
      - 2
      - 0
    .max_flat_workgroup_size: 256
    .name:           _ZL12mul_mat_q4_0IN3c108BFloat16ELb1EEvPKvS3_PT_iiiii
    .private_segment_fixed_size: 0
    .sgpr_count:     26
    .sgpr_spill_count: 0
    .symbol:         _ZL12mul_mat_q4_0IN3c108BFloat16ELb1EEvPKvS3_PT_iiiii.kd
    .uniform_work_group_size: 1
    .uses_dynamic_stack: false
    .vgpr_count:     176
    .vgpr_spill_count: 0
    .wavefront_size: 64
  - .agpr_count:     0
    .args:
      - .actual_access:  read_only
        .address_space:  global
        .offset:         0
        .size:           8
        .value_kind:     global_buffer
      - .actual_access:  read_only
        .address_space:  global
        .offset:         8
        .size:           8
        .value_kind:     global_buffer
      - .actual_access:  write_only
        .address_space:  global
        .offset:         16
        .size:           8
        .value_kind:     global_buffer
      - .offset:         24
        .size:           4
        .value_kind:     by_value
      - .offset:         28
        .size:           4
        .value_kind:     by_value
      - .offset:         32
        .size:           4
        .value_kind:     by_value
      - .offset:         36
        .size:           4
        .value_kind:     by_value
      - .offset:         40
        .size:           4
        .value_kind:     by_value
    .group_segment_fixed_size: 30336
    .kernarg_segment_align: 8
    .kernarg_segment_size: 44
    .language:       OpenCL C
    .language_version:
      - 2
      - 0
    .max_flat_workgroup_size: 256
    .name:           _ZL12mul_mat_q4_1IN3c108BFloat16ELb0EEvPKvS3_PT_iiiii
    .private_segment_fixed_size: 0
    .sgpr_count:     24
    .sgpr_spill_count: 0
    .symbol:         _ZL12mul_mat_q4_1IN3c108BFloat16ELb0EEvPKvS3_PT_iiiii.kd
    .uniform_work_group_size: 1
    .uses_dynamic_stack: false
    .vgpr_count:     172
    .vgpr_spill_count: 0
    .wavefront_size: 64
  - .agpr_count:     0
    .args:
      - .actual_access:  read_only
        .address_space:  global
        .offset:         0
        .size:           8
        .value_kind:     global_buffer
      - .actual_access:  read_only
        .address_space:  global
        .offset:         8
        .size:           8
        .value_kind:     global_buffer
      - .actual_access:  write_only
        .address_space:  global
        .offset:         16
        .size:           8
        .value_kind:     global_buffer
      - .offset:         24
        .size:           4
        .value_kind:     by_value
      - .offset:         28
        .size:           4
        .value_kind:     by_value
      - .offset:         32
        .size:           4
        .value_kind:     by_value
      - .offset:         36
        .size:           4
        .value_kind:     by_value
      - .offset:         40
        .size:           4
        .value_kind:     by_value
    .group_segment_fixed_size: 30336
    .kernarg_segment_align: 8
    .kernarg_segment_size: 44
    .language:       OpenCL C
    .language_version:
      - 2
      - 0
    .max_flat_workgroup_size: 256
    .name:           _ZL12mul_mat_q4_1IN3c108BFloat16ELb1EEvPKvS3_PT_iiiii
    .private_segment_fixed_size: 0
    .sgpr_count:     24
    .sgpr_spill_count: 0
    .symbol:         _ZL12mul_mat_q4_1IN3c108BFloat16ELb1EEvPKvS3_PT_iiiii.kd
    .uniform_work_group_size: 1
    .uses_dynamic_stack: false
    .vgpr_count:     172
    .vgpr_spill_count: 0
    .wavefront_size: 64
  - .agpr_count:     0
    .args:
      - .actual_access:  read_only
        .address_space:  global
        .offset:         0
        .size:           8
        .value_kind:     global_buffer
      - .actual_access:  read_only
        .address_space:  global
        .offset:         8
        .size:           8
        .value_kind:     global_buffer
      - .actual_access:  write_only
        .address_space:  global
        .offset:         16
        .size:           8
        .value_kind:     global_buffer
      - .offset:         24
        .size:           4
        .value_kind:     by_value
      - .offset:         28
        .size:           4
        .value_kind:     by_value
      - .offset:         32
        .size:           4
        .value_kind:     by_value
      - .offset:         36
        .size:           4
        .value_kind:     by_value
      - .offset:         40
        .size:           4
        .value_kind:     by_value
    .group_segment_fixed_size: 46720
    .kernarg_segment_align: 8
    .kernarg_segment_size: 44
    .language:       OpenCL C
    .language_version:
      - 2
      - 0
    .max_flat_workgroup_size: 256
    .name:           _ZL12mul_mat_q5_0IN3c108BFloat16ELb0EEvPKvS3_PT_iiiii
    .private_segment_fixed_size: 0
    .sgpr_count:     26
    .sgpr_spill_count: 0
    .symbol:         _ZL12mul_mat_q5_0IN3c108BFloat16ELb0EEvPKvS3_PT_iiiii.kd
    .uniform_work_group_size: 1
    .uses_dynamic_stack: false
    .vgpr_count:     175
    .vgpr_spill_count: 0
    .wavefront_size: 64
  - .agpr_count:     0
    .args:
      - .actual_access:  read_only
        .address_space:  global
        .offset:         0
        .size:           8
        .value_kind:     global_buffer
      - .actual_access:  read_only
        .address_space:  global
        .offset:         8
        .size:           8
        .value_kind:     global_buffer
      - .actual_access:  write_only
        .address_space:  global
        .offset:         16
        .size:           8
        .value_kind:     global_buffer
      - .offset:         24
        .size:           4
        .value_kind:     by_value
      - .offset:         28
        .size:           4
        .value_kind:     by_value
      - .offset:         32
        .size:           4
        .value_kind:     by_value
      - .offset:         36
        .size:           4
        .value_kind:     by_value
      - .offset:         40
        .size:           4
        .value_kind:     by_value
    .group_segment_fixed_size: 46720
    .kernarg_segment_align: 8
    .kernarg_segment_size: 44
    .language:       OpenCL C
    .language_version:
      - 2
      - 0
    .max_flat_workgroup_size: 256
    .name:           _ZL12mul_mat_q5_0IN3c108BFloat16ELb1EEvPKvS3_PT_iiiii
    .private_segment_fixed_size: 0
    .sgpr_count:     26
    .sgpr_spill_count: 0
    .symbol:         _ZL12mul_mat_q5_0IN3c108BFloat16ELb1EEvPKvS3_PT_iiiii.kd
    .uniform_work_group_size: 1
    .uses_dynamic_stack: false
    .vgpr_count:     175
    .vgpr_spill_count: 0
    .wavefront_size: 64
  - .agpr_count:     0
    .args:
      - .actual_access:  read_only
        .address_space:  global
        .offset:         0
        .size:           8
        .value_kind:     global_buffer
      - .actual_access:  read_only
        .address_space:  global
        .offset:         8
        .size:           8
        .value_kind:     global_buffer
      - .actual_access:  write_only
        .address_space:  global
        .offset:         16
        .size:           8
        .value_kind:     global_buffer
      - .offset:         24
        .size:           4
        .value_kind:     by_value
      - .offset:         28
        .size:           4
        .value_kind:     by_value
      - .offset:         32
        .size:           4
        .value_kind:     by_value
      - .offset:         36
        .size:           4
        .value_kind:     by_value
      - .offset:         40
        .size:           4
        .value_kind:     by_value
    .group_segment_fixed_size: 46720
    .kernarg_segment_align: 8
    .kernarg_segment_size: 44
    .language:       OpenCL C
    .language_version:
      - 2
      - 0
    .max_flat_workgroup_size: 256
    .name:           _ZL12mul_mat_q5_1IN3c108BFloat16ELb0EEvPKvS3_PT_iiiii
    .private_segment_fixed_size: 0
    .sgpr_count:     23
    .sgpr_spill_count: 0
    .symbol:         _ZL12mul_mat_q5_1IN3c108BFloat16ELb0EEvPKvS3_PT_iiiii.kd
    .uniform_work_group_size: 1
    .uses_dynamic_stack: false
    .vgpr_count:     169
    .vgpr_spill_count: 0
    .wavefront_size: 64
  - .agpr_count:     0
    .args:
      - .actual_access:  read_only
        .address_space:  global
        .offset:         0
        .size:           8
        .value_kind:     global_buffer
      - .actual_access:  read_only
        .address_space:  global
        .offset:         8
        .size:           8
        .value_kind:     global_buffer
      - .actual_access:  write_only
        .address_space:  global
        .offset:         16
        .size:           8
        .value_kind:     global_buffer
      - .offset:         24
        .size:           4
        .value_kind:     by_value
      - .offset:         28
        .size:           4
        .value_kind:     by_value
      - .offset:         32
        .size:           4
        .value_kind:     by_value
      - .offset:         36
        .size:           4
        .value_kind:     by_value
      - .offset:         40
        .size:           4
        .value_kind:     by_value
    .group_segment_fixed_size: 46720
    .kernarg_segment_align: 8
    .kernarg_segment_size: 44
    .language:       OpenCL C
    .language_version:
      - 2
      - 0
    .max_flat_workgroup_size: 256
    .name:           _ZL12mul_mat_q5_1IN3c108BFloat16ELb1EEvPKvS3_PT_iiiii
    .private_segment_fixed_size: 0
    .sgpr_count:     24
    .sgpr_spill_count: 0
    .symbol:         _ZL12mul_mat_q5_1IN3c108BFloat16ELb1EEvPKvS3_PT_iiiii.kd
    .uniform_work_group_size: 1
    .uses_dynamic_stack: false
    .vgpr_count:     169
    .vgpr_spill_count: 0
    .wavefront_size: 64
  - .agpr_count:     0
    .args:
      - .actual_access:  read_only
        .address_space:  global
        .offset:         0
        .size:           8
        .value_kind:     global_buffer
      - .actual_access:  read_only
        .address_space:  global
        .offset:         8
        .size:           8
        .value_kind:     global_buffer
      - .actual_access:  write_only
        .address_space:  global
        .offset:         16
        .size:           8
        .value_kind:     global_buffer
      - .offset:         24
        .size:           4
        .value_kind:     by_value
      - .offset:         28
        .size:           4
        .value_kind:     by_value
      - .offset:         32
        .size:           4
        .value_kind:     by_value
      - .offset:         36
        .size:           4
        .value_kind:     by_value
      - .offset:         40
        .size:           4
        .value_kind:     by_value
    .group_segment_fixed_size: 28224
    .kernarg_segment_align: 8
    .kernarg_segment_size: 44
    .language:       OpenCL C
    .language_version:
      - 2
      - 0
    .max_flat_workgroup_size: 256
    .name:           _ZL12mul_mat_q8_0IN3c108BFloat16ELb0EEvPKvS3_PT_iiiii
    .private_segment_fixed_size: 0
    .sgpr_count:     24
    .sgpr_spill_count: 0
    .symbol:         _ZL12mul_mat_q8_0IN3c108BFloat16ELb0EEvPKvS3_PT_iiiii.kd
    .uniform_work_group_size: 1
    .uses_dynamic_stack: false
    .vgpr_count:     163
    .vgpr_spill_count: 0
    .wavefront_size: 64
  - .agpr_count:     0
    .args:
      - .actual_access:  read_only
        .address_space:  global
        .offset:         0
        .size:           8
        .value_kind:     global_buffer
      - .actual_access:  read_only
        .address_space:  global
        .offset:         8
        .size:           8
        .value_kind:     global_buffer
      - .actual_access:  write_only
        .address_space:  global
        .offset:         16
        .size:           8
        .value_kind:     global_buffer
      - .offset:         24
        .size:           4
        .value_kind:     by_value
      - .offset:         28
        .size:           4
        .value_kind:     by_value
      - .offset:         32
        .size:           4
        .value_kind:     by_value
      - .offset:         36
        .size:           4
        .value_kind:     by_value
      - .offset:         40
        .size:           4
        .value_kind:     by_value
    .group_segment_fixed_size: 28224
    .kernarg_segment_align: 8
    .kernarg_segment_size: 44
    .language:       OpenCL C
    .language_version:
      - 2
      - 0
    .max_flat_workgroup_size: 256
    .name:           _ZL12mul_mat_q8_0IN3c108BFloat16ELb1EEvPKvS3_PT_iiiii
    .private_segment_fixed_size: 0
    .sgpr_count:     24
    .sgpr_spill_count: 0
    .symbol:         _ZL12mul_mat_q8_0IN3c108BFloat16ELb1EEvPKvS3_PT_iiiii.kd
    .uniform_work_group_size: 1
    .uses_dynamic_stack: false
    .vgpr_count:     164
    .vgpr_spill_count: 0
    .wavefront_size: 64
  - .agpr_count:     0
    .args:
      - .actual_access:  read_only
        .address_space:  global
        .offset:         0
        .size:           8
        .value_kind:     global_buffer
      - .actual_access:  read_only
        .address_space:  global
        .offset:         8
        .size:           8
        .value_kind:     global_buffer
      - .actual_access:  write_only
        .address_space:  global
        .offset:         16
        .size:           8
        .value_kind:     global_buffer
      - .offset:         24
        .size:           4
        .value_kind:     by_value
      - .offset:         28
        .size:           4
        .value_kind:     by_value
      - .offset:         32
        .size:           4
        .value_kind:     by_value
      - .offset:         36
        .size:           4
        .value_kind:     by_value
      - .offset:         40
        .size:           4
        .value_kind:     by_value
    .group_segment_fixed_size: 31392
    .kernarg_segment_align: 8
    .kernarg_segment_size: 44
    .language:       OpenCL C
    .language_version:
      - 2
      - 0
    .max_flat_workgroup_size: 256
    .name:           _ZL12mul_mat_q2_KIN3c108BFloat16ELb0EEvPKvS3_PT_iiiii
    .private_segment_fixed_size: 0
    .sgpr_count:     28
    .sgpr_spill_count: 0
    .symbol:         _ZL12mul_mat_q2_KIN3c108BFloat16ELb0EEvPKvS3_PT_iiiii.kd
    .uniform_work_group_size: 1
    .uses_dynamic_stack: false
    .vgpr_count:     225
    .vgpr_spill_count: 0
    .wavefront_size: 64
  - .agpr_count:     0
    .args:
      - .actual_access:  read_only
        .address_space:  global
        .offset:         0
        .size:           8
        .value_kind:     global_buffer
      - .actual_access:  read_only
        .address_space:  global
        .offset:         8
        .size:           8
        .value_kind:     global_buffer
      - .actual_access:  write_only
        .address_space:  global
        .offset:         16
        .size:           8
        .value_kind:     global_buffer
      - .offset:         24
        .size:           4
        .value_kind:     by_value
      - .offset:         28
        .size:           4
        .value_kind:     by_value
      - .offset:         32
        .size:           4
        .value_kind:     by_value
      - .offset:         36
        .size:           4
        .value_kind:     by_value
      - .offset:         40
        .size:           4
        .value_kind:     by_value
    .group_segment_fixed_size: 31392
    .kernarg_segment_align: 8
    .kernarg_segment_size: 44
    .language:       OpenCL C
    .language_version:
      - 2
      - 0
    .max_flat_workgroup_size: 256
    .name:           _ZL12mul_mat_q2_KIN3c108BFloat16ELb1EEvPKvS3_PT_iiiii
    .private_segment_fixed_size: 0
    .sgpr_count:     28
    .sgpr_spill_count: 0
    .symbol:         _ZL12mul_mat_q2_KIN3c108BFloat16ELb1EEvPKvS3_PT_iiiii.kd
    .uniform_work_group_size: 1
    .uses_dynamic_stack: false
    .vgpr_count:     225
    .vgpr_spill_count: 0
    .wavefront_size: 64
  - .agpr_count:     0
    .args:
      - .actual_access:  read_only
        .address_space:  global
        .offset:         0
        .size:           8
        .value_kind:     global_buffer
      - .actual_access:  read_only
        .address_space:  global
        .offset:         8
        .size:           8
        .value_kind:     global_buffer
      - .actual_access:  write_only
        .address_space:  global
        .offset:         16
        .size:           8
        .value_kind:     global_buffer
      - .offset:         24
        .size:           4
        .value_kind:     by_value
      - .offset:         28
        .size:           4
        .value_kind:     by_value
      - .offset:         32
        .size:           4
        .value_kind:     by_value
      - .offset:         36
        .size:           4
        .value_kind:     by_value
      - .offset:         40
        .size:           4
        .value_kind:     by_value
    .group_segment_fixed_size: 39840
    .kernarg_segment_align: 8
    .kernarg_segment_size: 44
    .language:       OpenCL C
    .language_version:
      - 2
      - 0
    .max_flat_workgroup_size: 256
    .name:           _ZL12mul_mat_q3_KIN3c108BFloat16ELb0EEvPKvS3_PT_iiiii
    .private_segment_fixed_size: 0
    .sgpr_count:     36
    .sgpr_spill_count: 0
    .symbol:         _ZL12mul_mat_q3_KIN3c108BFloat16ELb0EEvPKvS3_PT_iiiii.kd
    .uniform_work_group_size: 1
    .uses_dynamic_stack: false
    .vgpr_count:     216
    .vgpr_spill_count: 0
    .wavefront_size: 64
  - .agpr_count:     0
    .args:
      - .actual_access:  read_only
        .address_space:  global
        .offset:         0
        .size:           8
        .value_kind:     global_buffer
      - .actual_access:  read_only
        .address_space:  global
        .offset:         8
        .size:           8
        .value_kind:     global_buffer
      - .actual_access:  write_only
        .address_space:  global
        .offset:         16
        .size:           8
        .value_kind:     global_buffer
      - .offset:         24
        .size:           4
        .value_kind:     by_value
      - .offset:         28
        .size:           4
        .value_kind:     by_value
      - .offset:         32
        .size:           4
        .value_kind:     by_value
      - .offset:         36
        .size:           4
        .value_kind:     by_value
      - .offset:         40
        .size:           4
        .value_kind:     by_value
    .group_segment_fixed_size: 39840
    .kernarg_segment_align: 8
    .kernarg_segment_size: 44
    .language:       OpenCL C
    .language_version:
      - 2
      - 0
    .max_flat_workgroup_size: 256
    .name:           _ZL12mul_mat_q3_KIN3c108BFloat16ELb1EEvPKvS3_PT_iiiii
    .private_segment_fixed_size: 0
    .sgpr_count:     36
    .sgpr_spill_count: 0
    .symbol:         _ZL12mul_mat_q3_KIN3c108BFloat16ELb1EEvPKvS3_PT_iiiii.kd
    .uniform_work_group_size: 1
    .uses_dynamic_stack: false
    .vgpr_count:     216
    .vgpr_spill_count: 0
    .wavefront_size: 64
  - .agpr_count:     0
    .args:
      - .actual_access:  read_only
        .address_space:  global
        .offset:         0
        .size:           8
        .value_kind:     global_buffer
      - .actual_access:  read_only
        .address_space:  global
        .offset:         8
        .size:           8
        .value_kind:     global_buffer
      - .actual_access:  write_only
        .address_space:  global
        .offset:         16
        .size:           8
        .value_kind:     global_buffer
      - .offset:         24
        .size:           4
        .value_kind:     by_value
      - .offset:         28
        .size:           4
        .value_kind:     by_value
      - .offset:         32
        .size:           4
        .value_kind:     by_value
      - .offset:         36
        .size:           4
        .value_kind:     by_value
      - .offset:         40
        .size:           4
        .value_kind:     by_value
    .group_segment_fixed_size: 28752
    .kernarg_segment_align: 8
    .kernarg_segment_size: 44
    .language:       OpenCL C
    .language_version:
      - 2
      - 0
    .max_flat_workgroup_size: 256
    .name:           _ZL12mul_mat_q4_KIN3c108BFloat16ELb0EEvPKvS3_PT_iiiii
    .private_segment_fixed_size: 36
    .sgpr_count:     26
    .sgpr_spill_count: 0
    .symbol:         _ZL12mul_mat_q4_KIN3c108BFloat16ELb0EEvPKvS3_PT_iiiii.kd
    .uniform_work_group_size: 1
    .uses_dynamic_stack: false
    .vgpr_count:     256
    .vgpr_spill_count: 8
    .wavefront_size: 64
  - .agpr_count:     0
    .args:
      - .actual_access:  read_only
        .address_space:  global
        .offset:         0
        .size:           8
        .value_kind:     global_buffer
      - .actual_access:  read_only
        .address_space:  global
        .offset:         8
        .size:           8
        .value_kind:     global_buffer
      - .actual_access:  write_only
        .address_space:  global
        .offset:         16
        .size:           8
        .value_kind:     global_buffer
      - .offset:         24
        .size:           4
        .value_kind:     by_value
      - .offset:         28
        .size:           4
        .value_kind:     by_value
      - .offset:         32
        .size:           4
        .value_kind:     by_value
      - .offset:         36
        .size:           4
        .value_kind:     by_value
      - .offset:         40
        .size:           4
        .value_kind:     by_value
    .group_segment_fixed_size: 28752
    .kernarg_segment_align: 8
    .kernarg_segment_size: 44
    .language:       OpenCL C
    .language_version:
      - 2
      - 0
    .max_flat_workgroup_size: 256
    .name:           _ZL12mul_mat_q4_KIN3c108BFloat16ELb1EEvPKvS3_PT_iiiii
    .private_segment_fixed_size: 100
    .sgpr_count:     26
    .sgpr_spill_count: 0
    .symbol:         _ZL12mul_mat_q4_KIN3c108BFloat16ELb1EEvPKvS3_PT_iiiii.kd
    .uniform_work_group_size: 1
    .uses_dynamic_stack: false
    .vgpr_count:     256
    .vgpr_spill_count: 24
    .wavefront_size: 64
  - .agpr_count:     0
    .args:
      - .actual_access:  read_only
        .address_space:  global
        .offset:         0
        .size:           8
        .value_kind:     global_buffer
      - .actual_access:  read_only
        .address_space:  global
        .offset:         8
        .size:           8
        .value_kind:     global_buffer
      - .actual_access:  write_only
        .address_space:  global
        .offset:         16
        .size:           8
        .value_kind:     global_buffer
      - .offset:         24
        .size:           4
        .value_kind:     by_value
      - .offset:         28
        .size:           4
        .value_kind:     by_value
      - .offset:         32
        .size:           4
        .value_kind:     by_value
      - .offset:         36
        .size:           4
        .value_kind:     by_value
      - .offset:         40
        .size:           4
        .value_kind:     by_value
    .group_segment_fixed_size: 45136
    .kernarg_segment_align: 8
    .kernarg_segment_size: 44
    .language:       OpenCL C
    .language_version:
      - 2
      - 0
    .max_flat_workgroup_size: 256
    .name:           _ZL12mul_mat_q5_KIN3c108BFloat16ELb0EEvPKvS3_PT_iiiii
    .private_segment_fixed_size: 36
    .sgpr_count:     27
    .sgpr_spill_count: 0
    .symbol:         _ZL12mul_mat_q5_KIN3c108BFloat16ELb0EEvPKvS3_PT_iiiii.kd
    .uniform_work_group_size: 1
    .uses_dynamic_stack: false
    .vgpr_count:     256
    .vgpr_spill_count: 8
    .wavefront_size: 64
  - .agpr_count:     0
    .args:
      - .actual_access:  read_only
        .address_space:  global
        .offset:         0
        .size:           8
        .value_kind:     global_buffer
      - .actual_access:  read_only
        .address_space:  global
        .offset:         8
        .size:           8
        .value_kind:     global_buffer
      - .actual_access:  write_only
        .address_space:  global
        .offset:         16
        .size:           8
        .value_kind:     global_buffer
      - .offset:         24
        .size:           4
        .value_kind:     by_value
      - .offset:         28
        .size:           4
        .value_kind:     by_value
      - .offset:         32
        .size:           4
        .value_kind:     by_value
      - .offset:         36
        .size:           4
        .value_kind:     by_value
      - .offset:         40
        .size:           4
        .value_kind:     by_value
    .group_segment_fixed_size: 45136
    .kernarg_segment_align: 8
    .kernarg_segment_size: 44
    .language:       OpenCL C
    .language_version:
      - 2
      - 0
    .max_flat_workgroup_size: 256
    .name:           _ZL12mul_mat_q5_KIN3c108BFloat16ELb1EEvPKvS3_PT_iiiii
    .private_segment_fixed_size: 116
    .sgpr_count:     27
    .sgpr_spill_count: 0
    .symbol:         _ZL12mul_mat_q5_KIN3c108BFloat16ELb1EEvPKvS3_PT_iiiii.kd
    .uniform_work_group_size: 1
    .uses_dynamic_stack: false
    .vgpr_count:     256
    .vgpr_spill_count: 28
    .wavefront_size: 64
  - .agpr_count:     0
    .args:
      - .actual_access:  read_only
        .address_space:  global
        .offset:         0
        .size:           8
        .value_kind:     global_buffer
      - .actual_access:  read_only
        .address_space:  global
        .offset:         8
        .size:           8
        .value_kind:     global_buffer
      - .actual_access:  write_only
        .address_space:  global
        .offset:         16
        .size:           8
        .value_kind:     global_buffer
      - .offset:         24
        .size:           4
        .value_kind:     by_value
      - .offset:         28
        .size:           4
        .value_kind:     by_value
      - .offset:         32
        .size:           4
        .value_kind:     by_value
      - .offset:         36
        .size:           4
        .value_kind:     by_value
      - .offset:         40
        .size:           4
        .value_kind:     by_value
    .group_segment_fixed_size: 45136
    .kernarg_segment_align: 8
    .kernarg_segment_size: 44
    .language:       OpenCL C
    .language_version:
      - 2
      - 0
    .max_flat_workgroup_size: 256
    .name:           _ZL12mul_mat_q6_KIN3c108BFloat16ELb0EEvPKvS3_PT_iiiii
    .private_segment_fixed_size: 0
    .sgpr_count:     32
    .sgpr_spill_count: 0
    .symbol:         _ZL12mul_mat_q6_KIN3c108BFloat16ELb0EEvPKvS3_PT_iiiii.kd
    .uniform_work_group_size: 1
    .uses_dynamic_stack: false
    .vgpr_count:     232
    .vgpr_spill_count: 0
    .wavefront_size: 64
  - .agpr_count:     0
    .args:
      - .actual_access:  read_only
        .address_space:  global
        .offset:         0
        .size:           8
        .value_kind:     global_buffer
      - .actual_access:  read_only
        .address_space:  global
        .offset:         8
        .size:           8
        .value_kind:     global_buffer
      - .actual_access:  write_only
        .address_space:  global
        .offset:         16
        .size:           8
        .value_kind:     global_buffer
      - .offset:         24
        .size:           4
        .value_kind:     by_value
      - .offset:         28
        .size:           4
        .value_kind:     by_value
      - .offset:         32
        .size:           4
        .value_kind:     by_value
      - .offset:         36
        .size:           4
        .value_kind:     by_value
      - .offset:         40
        .size:           4
        .value_kind:     by_value
    .group_segment_fixed_size: 45136
    .kernarg_segment_align: 8
    .kernarg_segment_size: 44
    .language:       OpenCL C
    .language_version:
      - 2
      - 0
    .max_flat_workgroup_size: 256
    .name:           _ZL12mul_mat_q6_KIN3c108BFloat16ELb1EEvPKvS3_PT_iiiii
    .private_segment_fixed_size: 0
    .sgpr_count:     32
    .sgpr_spill_count: 0
    .symbol:         _ZL12mul_mat_q6_KIN3c108BFloat16ELb1EEvPKvS3_PT_iiiii.kd
    .uniform_work_group_size: 1
    .uses_dynamic_stack: false
    .vgpr_count:     232
    .vgpr_spill_count: 0
    .wavefront_size: 64
  - .agpr_count:     0
    .args:
      - .actual_access:  read_only
        .address_space:  global
        .offset:         0
        .size:           8
        .value_kind:     global_buffer
      - .actual_access:  read_only
        .address_space:  global
        .offset:         8
        .size:           8
        .value_kind:     global_buffer
      - .actual_access:  write_only
        .address_space:  global
        .offset:         16
        .size:           8
        .value_kind:     global_buffer
      - .address_space:  global
        .offset:         24
        .size:           8
        .value_kind:     global_buffer
      - .address_space:  global
        .offset:         32
        .size:           8
        .value_kind:     global_buffer
      - .address_space:  global
        .offset:         40
        .size:           8
        .value_kind:     global_buffer
      - .offset:         48
        .size:           4
        .value_kind:     by_value
      - .offset:         52
        .size:           4
        .value_kind:     by_value
      - .offset:         56
        .size:           4
        .value_kind:     by_value
      - .offset:         60
        .size:           4
        .value_kind:     by_value
      - .offset:         64
        .size:           4
        .value_kind:     by_value
      - .offset:         68
        .size:           4
        .value_kind:     by_value
      - .offset:         72
        .size:           4
        .value_kind:     by_value
    .group_segment_fixed_size: 22272
    .kernarg_segment_align: 8
    .kernarg_segment_size: 76
    .language:       OpenCL C
    .language_version:
      - 2
      - 0
    .max_flat_workgroup_size: 256
    .name:           _ZL8moe_q4_0IfLb0EEvPKvS1_PT_PKiS5_S5_iiiiiii
    .private_segment_fixed_size: 0
    .sgpr_count:     31
    .sgpr_spill_count: 0
    .symbol:         _ZL8moe_q4_0IfLb0EEvPKvS1_PT_PKiS5_S5_iiiiiii.kd
    .uniform_work_group_size: 1
    .uses_dynamic_stack: false
    .vgpr_count:     167
    .vgpr_spill_count: 0
    .wavefront_size: 64
  - .agpr_count:     0
    .args:
      - .actual_access:  read_only
        .address_space:  global
        .offset:         0
        .size:           8
        .value_kind:     global_buffer
      - .actual_access:  read_only
        .address_space:  global
        .offset:         8
        .size:           8
        .value_kind:     global_buffer
      - .actual_access:  write_only
        .address_space:  global
        .offset:         16
        .size:           8
        .value_kind:     global_buffer
      - .address_space:  global
        .offset:         24
        .size:           8
        .value_kind:     global_buffer
      - .address_space:  global
        .offset:         32
        .size:           8
        .value_kind:     global_buffer
      - .address_space:  global
        .offset:         40
        .size:           8
        .value_kind:     global_buffer
      - .offset:         48
        .size:           4
        .value_kind:     by_value
      - .offset:         52
        .size:           4
        .value_kind:     by_value
      - .offset:         56
        .size:           4
        .value_kind:     by_value
      - .offset:         60
        .size:           4
        .value_kind:     by_value
      - .offset:         64
        .size:           4
        .value_kind:     by_value
      - .offset:         68
        .size:           4
        .value_kind:     by_value
      - .offset:         72
        .size:           4
        .value_kind:     by_value
    .group_segment_fixed_size: 22272
    .kernarg_segment_align: 8
    .kernarg_segment_size: 76
    .language:       OpenCL C
    .language_version:
      - 2
      - 0
    .max_flat_workgroup_size: 256
    .name:           _ZL8moe_q4_0IfLb1EEvPKvS1_PT_PKiS5_S5_iiiiiii
    .private_segment_fixed_size: 0
    .sgpr_count:     31
    .sgpr_spill_count: 0
    .symbol:         _ZL8moe_q4_0IfLb1EEvPKvS1_PT_PKiS5_S5_iiiiiii.kd
    .uniform_work_group_size: 1
    .uses_dynamic_stack: false
    .vgpr_count:     167
    .vgpr_spill_count: 0
    .wavefront_size: 64
  - .agpr_count:     0
    .args:
      - .actual_access:  read_only
        .address_space:  global
        .offset:         0
        .size:           8
        .value_kind:     global_buffer
      - .actual_access:  read_only
        .address_space:  global
        .offset:         8
        .size:           8
        .value_kind:     global_buffer
      - .actual_access:  write_only
        .address_space:  global
        .offset:         16
        .size:           8
        .value_kind:     global_buffer
      - .address_space:  global
        .offset:         24
        .size:           8
        .value_kind:     global_buffer
      - .address_space:  global
        .offset:         32
        .size:           8
        .value_kind:     global_buffer
      - .address_space:  global
        .offset:         40
        .size:           8
        .value_kind:     global_buffer
      - .offset:         48
        .size:           4
        .value_kind:     by_value
      - .offset:         52
        .size:           4
        .value_kind:     by_value
      - .offset:         56
        .size:           4
        .value_kind:     by_value
      - .offset:         60
        .size:           4
        .value_kind:     by_value
      - .offset:         64
        .size:           4
        .value_kind:     by_value
      - .offset:         68
        .size:           4
        .value_kind:     by_value
      - .offset:         72
        .size:           4
        .value_kind:     by_value
    .group_segment_fixed_size: 22272
    .kernarg_segment_align: 8
    .kernarg_segment_size: 76
    .language:       OpenCL C
    .language_version:
      - 2
      - 0
    .max_flat_workgroup_size: 256
    .name:           _ZL8moe_q4_1IfLb0EEvPKvS1_PT_PKiS5_S5_iiiiiii
    .private_segment_fixed_size: 0
    .sgpr_count:     31
    .sgpr_spill_count: 0
    .symbol:         _ZL8moe_q4_1IfLb0EEvPKvS1_PT_PKiS5_S5_iiiiiii.kd
    .uniform_work_group_size: 1
    .uses_dynamic_stack: false
    .vgpr_count:     168
    .vgpr_spill_count: 0
    .wavefront_size: 64
  - .agpr_count:     0
    .args:
      - .actual_access:  read_only
        .address_space:  global
        .offset:         0
        .size:           8
        .value_kind:     global_buffer
      - .actual_access:  read_only
        .address_space:  global
        .offset:         8
        .size:           8
        .value_kind:     global_buffer
      - .actual_access:  write_only
        .address_space:  global
        .offset:         16
        .size:           8
        .value_kind:     global_buffer
      - .address_space:  global
        .offset:         24
        .size:           8
        .value_kind:     global_buffer
      - .address_space:  global
        .offset:         32
        .size:           8
        .value_kind:     global_buffer
      - .address_space:  global
        .offset:         40
        .size:           8
        .value_kind:     global_buffer
      - .offset:         48
        .size:           4
        .value_kind:     by_value
      - .offset:         52
        .size:           4
        .value_kind:     by_value
      - .offset:         56
        .size:           4
        .value_kind:     by_value
      - .offset:         60
        .size:           4
        .value_kind:     by_value
      - .offset:         64
        .size:           4
        .value_kind:     by_value
      - .offset:         68
        .size:           4
        .value_kind:     by_value
      - .offset:         72
        .size:           4
        .value_kind:     by_value
    .group_segment_fixed_size: 22272
    .kernarg_segment_align: 8
    .kernarg_segment_size: 76
    .language:       OpenCL C
    .language_version:
      - 2
      - 0
    .max_flat_workgroup_size: 256
    .name:           _ZL8moe_q4_1IfLb1EEvPKvS1_PT_PKiS5_S5_iiiiiii
    .private_segment_fixed_size: 0
    .sgpr_count:     31
    .sgpr_spill_count: 0
    .symbol:         _ZL8moe_q4_1IfLb1EEvPKvS1_PT_PKiS5_S5_iiiiiii.kd
    .uniform_work_group_size: 1
    .uses_dynamic_stack: false
    .vgpr_count:     168
    .vgpr_spill_count: 0
    .wavefront_size: 64
  - .agpr_count:     0
    .args:
      - .actual_access:  read_only
        .address_space:  global
        .offset:         0
        .size:           8
        .value_kind:     global_buffer
      - .actual_access:  read_only
        .address_space:  global
        .offset:         8
        .size:           8
        .value_kind:     global_buffer
      - .actual_access:  write_only
        .address_space:  global
        .offset:         16
        .size:           8
        .value_kind:     global_buffer
      - .address_space:  global
        .offset:         24
        .size:           8
        .value_kind:     global_buffer
      - .address_space:  global
        .offset:         32
        .size:           8
        .value_kind:     global_buffer
      - .address_space:  global
        .offset:         40
        .size:           8
        .value_kind:     global_buffer
      - .offset:         48
        .size:           4
        .value_kind:     by_value
      - .offset:         52
        .size:           4
        .value_kind:     by_value
      - .offset:         56
        .size:           4
        .value_kind:     by_value
      - .offset:         60
        .size:           4
        .value_kind:     by_value
      - .offset:         64
        .size:           4
        .value_kind:     by_value
      - .offset:         68
        .size:           4
        .value_kind:     by_value
      - .offset:         72
        .size:           4
        .value_kind:     by_value
    .group_segment_fixed_size: 38656
    .kernarg_segment_align: 8
    .kernarg_segment_size: 76
    .language:       OpenCL C
    .language_version:
      - 2
      - 0
    .max_flat_workgroup_size: 256
    .name:           _ZL8moe_q5_0IfLb0EEvPKvS1_PT_PKiS5_S5_iiiiiii
    .private_segment_fixed_size: 0
    .sgpr_count:     34
    .sgpr_spill_count: 0
    .symbol:         _ZL8moe_q5_0IfLb0EEvPKvS1_PT_PKiS5_S5_iiiiiii.kd
    .uniform_work_group_size: 1
    .uses_dynamic_stack: false
    .vgpr_count:     169
    .vgpr_spill_count: 0
    .wavefront_size: 64
  - .agpr_count:     0
    .args:
      - .actual_access:  read_only
        .address_space:  global
        .offset:         0
        .size:           8
        .value_kind:     global_buffer
      - .actual_access:  read_only
        .address_space:  global
        .offset:         8
        .size:           8
        .value_kind:     global_buffer
      - .actual_access:  write_only
        .address_space:  global
        .offset:         16
        .size:           8
        .value_kind:     global_buffer
      - .address_space:  global
        .offset:         24
        .size:           8
        .value_kind:     global_buffer
      - .address_space:  global
        .offset:         32
        .size:           8
        .value_kind:     global_buffer
      - .address_space:  global
        .offset:         40
        .size:           8
        .value_kind:     global_buffer
      - .offset:         48
        .size:           4
        .value_kind:     by_value
      - .offset:         52
        .size:           4
        .value_kind:     by_value
      - .offset:         56
        .size:           4
        .value_kind:     by_value
      - .offset:         60
        .size:           4
        .value_kind:     by_value
      - .offset:         64
        .size:           4
        .value_kind:     by_value
      - .offset:         68
        .size:           4
        .value_kind:     by_value
      - .offset:         72
        .size:           4
        .value_kind:     by_value
    .group_segment_fixed_size: 38656
    .kernarg_segment_align: 8
    .kernarg_segment_size: 76
    .language:       OpenCL C
    .language_version:
      - 2
      - 0
    .max_flat_workgroup_size: 256
    .name:           _ZL8moe_q5_0IfLb1EEvPKvS1_PT_PKiS5_S5_iiiiiii
    .private_segment_fixed_size: 0
    .sgpr_count:     34
    .sgpr_spill_count: 0
    .symbol:         _ZL8moe_q5_0IfLb1EEvPKvS1_PT_PKiS5_S5_iiiiiii.kd
    .uniform_work_group_size: 1
    .uses_dynamic_stack: false
    .vgpr_count:     169
    .vgpr_spill_count: 0
    .wavefront_size: 64
  - .agpr_count:     0
    .args:
      - .actual_access:  read_only
        .address_space:  global
        .offset:         0
        .size:           8
        .value_kind:     global_buffer
      - .actual_access:  read_only
        .address_space:  global
        .offset:         8
        .size:           8
        .value_kind:     global_buffer
      - .actual_access:  write_only
        .address_space:  global
        .offset:         16
        .size:           8
        .value_kind:     global_buffer
      - .address_space:  global
        .offset:         24
        .size:           8
        .value_kind:     global_buffer
      - .address_space:  global
        .offset:         32
        .size:           8
        .value_kind:     global_buffer
      - .address_space:  global
        .offset:         40
        .size:           8
        .value_kind:     global_buffer
      - .offset:         48
        .size:           4
        .value_kind:     by_value
      - .offset:         52
        .size:           4
        .value_kind:     by_value
      - .offset:         56
        .size:           4
        .value_kind:     by_value
      - .offset:         60
        .size:           4
        .value_kind:     by_value
      - .offset:         64
        .size:           4
        .value_kind:     by_value
      - .offset:         68
        .size:           4
        .value_kind:     by_value
      - .offset:         72
        .size:           4
        .value_kind:     by_value
    .group_segment_fixed_size: 38656
    .kernarg_segment_align: 8
    .kernarg_segment_size: 76
    .language:       OpenCL C
    .language_version:
      - 2
      - 0
    .max_flat_workgroup_size: 256
    .name:           _ZL8moe_q5_1IfLb0EEvPKvS1_PT_PKiS5_S5_iiiiiii
    .private_segment_fixed_size: 0
    .sgpr_count:     31
    .sgpr_spill_count: 0
    .symbol:         _ZL8moe_q5_1IfLb0EEvPKvS1_PT_PKiS5_S5_iiiiiii.kd
    .uniform_work_group_size: 1
    .uses_dynamic_stack: false
    .vgpr_count:     178
    .vgpr_spill_count: 0
    .wavefront_size: 64
  - .agpr_count:     0
    .args:
      - .actual_access:  read_only
        .address_space:  global
        .offset:         0
        .size:           8
        .value_kind:     global_buffer
      - .actual_access:  read_only
        .address_space:  global
        .offset:         8
        .size:           8
        .value_kind:     global_buffer
      - .actual_access:  write_only
        .address_space:  global
        .offset:         16
        .size:           8
        .value_kind:     global_buffer
      - .address_space:  global
        .offset:         24
        .size:           8
        .value_kind:     global_buffer
      - .address_space:  global
        .offset:         32
        .size:           8
        .value_kind:     global_buffer
      - .address_space:  global
        .offset:         40
        .size:           8
        .value_kind:     global_buffer
      - .offset:         48
        .size:           4
        .value_kind:     by_value
      - .offset:         52
        .size:           4
        .value_kind:     by_value
      - .offset:         56
        .size:           4
        .value_kind:     by_value
      - .offset:         60
        .size:           4
        .value_kind:     by_value
      - .offset:         64
        .size:           4
        .value_kind:     by_value
      - .offset:         68
        .size:           4
        .value_kind:     by_value
      - .offset:         72
        .size:           4
        .value_kind:     by_value
    .group_segment_fixed_size: 38656
    .kernarg_segment_align: 8
    .kernarg_segment_size: 76
    .language:       OpenCL C
    .language_version:
      - 2
      - 0
    .max_flat_workgroup_size: 256
    .name:           _ZL8moe_q5_1IfLb1EEvPKvS1_PT_PKiS5_S5_iiiiiii
    .private_segment_fixed_size: 0
    .sgpr_count:     31
    .sgpr_spill_count: 0
    .symbol:         _ZL8moe_q5_1IfLb1EEvPKvS1_PT_PKiS5_S5_iiiiiii.kd
    .uniform_work_group_size: 1
    .uses_dynamic_stack: false
    .vgpr_count:     178
    .vgpr_spill_count: 0
    .wavefront_size: 64
  - .agpr_count:     0
    .args:
      - .actual_access:  read_only
        .address_space:  global
        .offset:         0
        .size:           8
        .value_kind:     global_buffer
      - .actual_access:  read_only
        .address_space:  global
        .offset:         8
        .size:           8
        .value_kind:     global_buffer
      - .actual_access:  write_only
        .address_space:  global
        .offset:         16
        .size:           8
        .value_kind:     global_buffer
      - .address_space:  global
        .offset:         24
        .size:           8
        .value_kind:     global_buffer
      - .address_space:  global
        .offset:         32
        .size:           8
        .value_kind:     global_buffer
      - .address_space:  global
        .offset:         40
        .size:           8
        .value_kind:     global_buffer
      - .offset:         48
        .size:           4
        .value_kind:     by_value
      - .offset:         52
        .size:           4
        .value_kind:     by_value
      - .offset:         56
        .size:           4
        .value_kind:     by_value
      - .offset:         60
        .size:           4
        .value_kind:     by_value
      - .offset:         64
        .size:           4
        .value_kind:     by_value
      - .offset:         68
        .size:           4
        .value_kind:     by_value
      - .offset:         72
        .size:           4
        .value_kind:     by_value
    .group_segment_fixed_size: 20160
    .kernarg_segment_align: 8
    .kernarg_segment_size: 76
    .language:       OpenCL C
    .language_version:
      - 2
      - 0
    .max_flat_workgroup_size: 256
    .name:           _ZL8moe_q8_0IfLb0EEvPKvS1_PT_PKiS5_S5_iiiiiii
    .private_segment_fixed_size: 0
    .sgpr_count:     30
    .sgpr_spill_count: 0
    .symbol:         _ZL8moe_q8_0IfLb0EEvPKvS1_PT_PKiS5_S5_iiiiiii.kd
    .uniform_work_group_size: 1
    .uses_dynamic_stack: false
    .vgpr_count:     149
    .vgpr_spill_count: 0
    .wavefront_size: 64
  - .agpr_count:     0
    .args:
      - .actual_access:  read_only
        .address_space:  global
        .offset:         0
        .size:           8
        .value_kind:     global_buffer
      - .actual_access:  read_only
        .address_space:  global
        .offset:         8
        .size:           8
        .value_kind:     global_buffer
      - .actual_access:  write_only
        .address_space:  global
        .offset:         16
        .size:           8
        .value_kind:     global_buffer
      - .address_space:  global
        .offset:         24
        .size:           8
        .value_kind:     global_buffer
      - .address_space:  global
        .offset:         32
        .size:           8
        .value_kind:     global_buffer
      - .address_space:  global
        .offset:         40
        .size:           8
        .value_kind:     global_buffer
      - .offset:         48
        .size:           4
        .value_kind:     by_value
      - .offset:         52
        .size:           4
        .value_kind:     by_value
      - .offset:         56
        .size:           4
        .value_kind:     by_value
      - .offset:         60
        .size:           4
        .value_kind:     by_value
      - .offset:         64
        .size:           4
        .value_kind:     by_value
      - .offset:         68
        .size:           4
        .value_kind:     by_value
      - .offset:         72
        .size:           4
        .value_kind:     by_value
    .group_segment_fixed_size: 20160
    .kernarg_segment_align: 8
    .kernarg_segment_size: 76
    .language:       OpenCL C
    .language_version:
      - 2
      - 0
    .max_flat_workgroup_size: 256
    .name:           _ZL8moe_q8_0IfLb1EEvPKvS1_PT_PKiS5_S5_iiiiiii
    .private_segment_fixed_size: 0
    .sgpr_count:     30
    .sgpr_spill_count: 0
    .symbol:         _ZL8moe_q8_0IfLb1EEvPKvS1_PT_PKiS5_S5_iiiiiii.kd
    .uniform_work_group_size: 1
    .uses_dynamic_stack: false
    .vgpr_count:     148
    .vgpr_spill_count: 0
    .wavefront_size: 64
  - .agpr_count:     0
    .args:
      - .actual_access:  read_only
        .address_space:  global
        .offset:         0
        .size:           8
        .value_kind:     global_buffer
      - .actual_access:  read_only
        .address_space:  global
        .offset:         8
        .size:           8
        .value_kind:     global_buffer
      - .actual_access:  write_only
        .address_space:  global
        .offset:         16
        .size:           8
        .value_kind:     global_buffer
      - .address_space:  global
        .offset:         24
        .size:           8
        .value_kind:     global_buffer
      - .address_space:  global
        .offset:         32
        .size:           8
        .value_kind:     global_buffer
      - .address_space:  global
        .offset:         40
        .size:           8
        .value_kind:     global_buffer
      - .offset:         48
        .size:           4
        .value_kind:     by_value
      - .offset:         52
        .size:           4
        .value_kind:     by_value
      - .offset:         56
        .size:           4
        .value_kind:     by_value
      - .offset:         60
        .size:           4
        .value_kind:     by_value
      - .offset:         64
        .size:           4
        .value_kind:     by_value
      - .offset:         68
        .size:           4
        .value_kind:     by_value
      - .offset:         72
        .size:           4
        .value_kind:     by_value
    .group_segment_fixed_size: 23328
    .kernarg_segment_align: 8
    .kernarg_segment_size: 76
    .language:       OpenCL C
    .language_version:
      - 2
      - 0
    .max_flat_workgroup_size: 256
    .name:           _ZL8moe_q2_KIfLb0EEvPKvS1_PT_PKiS5_S5_iiiiiii
    .private_segment_fixed_size: 0
    .sgpr_count:     40
    .sgpr_spill_count: 0
    .symbol:         _ZL8moe_q2_KIfLb0EEvPKvS1_PT_PKiS5_S5_iiiiiii.kd
    .uniform_work_group_size: 1
    .uses_dynamic_stack: false
    .vgpr_count:     172
    .vgpr_spill_count: 0
    .wavefront_size: 64
  - .agpr_count:     0
    .args:
      - .actual_access:  read_only
        .address_space:  global
        .offset:         0
        .size:           8
        .value_kind:     global_buffer
      - .actual_access:  read_only
        .address_space:  global
        .offset:         8
        .size:           8
        .value_kind:     global_buffer
      - .actual_access:  write_only
        .address_space:  global
        .offset:         16
        .size:           8
        .value_kind:     global_buffer
      - .address_space:  global
        .offset:         24
        .size:           8
        .value_kind:     global_buffer
      - .address_space:  global
        .offset:         32
        .size:           8
        .value_kind:     global_buffer
      - .address_space:  global
        .offset:         40
        .size:           8
        .value_kind:     global_buffer
      - .offset:         48
        .size:           4
        .value_kind:     by_value
      - .offset:         52
        .size:           4
        .value_kind:     by_value
      - .offset:         56
        .size:           4
        .value_kind:     by_value
      - .offset:         60
        .size:           4
        .value_kind:     by_value
      - .offset:         64
        .size:           4
        .value_kind:     by_value
      - .offset:         68
        .size:           4
        .value_kind:     by_value
      - .offset:         72
        .size:           4
        .value_kind:     by_value
    .group_segment_fixed_size: 23328
    .kernarg_segment_align: 8
    .kernarg_segment_size: 76
    .language:       OpenCL C
    .language_version:
      - 2
      - 0
    .max_flat_workgroup_size: 256
    .name:           _ZL8moe_q2_KIfLb1EEvPKvS1_PT_PKiS5_S5_iiiiiii
    .private_segment_fixed_size: 0
    .sgpr_count:     40
    .sgpr_spill_count: 0
    .symbol:         _ZL8moe_q2_KIfLb1EEvPKvS1_PT_PKiS5_S5_iiiiiii.kd
    .uniform_work_group_size: 1
    .uses_dynamic_stack: false
    .vgpr_count:     172
    .vgpr_spill_count: 0
    .wavefront_size: 64
  - .agpr_count:     0
    .args:
      - .actual_access:  read_only
        .address_space:  global
        .offset:         0
        .size:           8
        .value_kind:     global_buffer
      - .actual_access:  read_only
        .address_space:  global
        .offset:         8
        .size:           8
        .value_kind:     global_buffer
      - .actual_access:  write_only
        .address_space:  global
        .offset:         16
        .size:           8
        .value_kind:     global_buffer
      - .address_space:  global
        .offset:         24
        .size:           8
        .value_kind:     global_buffer
      - .address_space:  global
        .offset:         32
        .size:           8
        .value_kind:     global_buffer
      - .address_space:  global
        .offset:         40
        .size:           8
        .value_kind:     global_buffer
      - .offset:         48
        .size:           4
        .value_kind:     by_value
      - .offset:         52
        .size:           4
        .value_kind:     by_value
      - .offset:         56
        .size:           4
        .value_kind:     by_value
      - .offset:         60
        .size:           4
        .value_kind:     by_value
      - .offset:         64
        .size:           4
        .value_kind:     by_value
      - .offset:         68
        .size:           4
        .value_kind:     by_value
      - .offset:         72
        .size:           4
        .value_kind:     by_value
    .group_segment_fixed_size: 31776
    .kernarg_segment_align: 8
    .kernarg_segment_size: 76
    .language:       OpenCL C
    .language_version:
      - 2
      - 0
    .max_flat_workgroup_size: 256
    .name:           _ZL8moe_q3_KIfLb0EEvPKvS1_PT_PKiS5_S5_iiiiiii
    .private_segment_fixed_size: 0
    .sgpr_count:     48
    .sgpr_spill_count: 0
    .symbol:         _ZL8moe_q3_KIfLb0EEvPKvS1_PT_PKiS5_S5_iiiiiii.kd
    .uniform_work_group_size: 1
    .uses_dynamic_stack: false
    .vgpr_count:     153
    .vgpr_spill_count: 0
    .wavefront_size: 64
  - .agpr_count:     0
    .args:
      - .actual_access:  read_only
        .address_space:  global
        .offset:         0
        .size:           8
        .value_kind:     global_buffer
      - .actual_access:  read_only
        .address_space:  global
        .offset:         8
        .size:           8
        .value_kind:     global_buffer
      - .actual_access:  write_only
        .address_space:  global
        .offset:         16
        .size:           8
        .value_kind:     global_buffer
      - .address_space:  global
        .offset:         24
        .size:           8
        .value_kind:     global_buffer
      - .address_space:  global
        .offset:         32
        .size:           8
        .value_kind:     global_buffer
      - .address_space:  global
        .offset:         40
        .size:           8
        .value_kind:     global_buffer
      - .offset:         48
        .size:           4
        .value_kind:     by_value
      - .offset:         52
        .size:           4
        .value_kind:     by_value
      - .offset:         56
        .size:           4
        .value_kind:     by_value
      - .offset:         60
        .size:           4
        .value_kind:     by_value
      - .offset:         64
        .size:           4
        .value_kind:     by_value
      - .offset:         68
        .size:           4
        .value_kind:     by_value
      - .offset:         72
        .size:           4
        .value_kind:     by_value
    .group_segment_fixed_size: 31776
    .kernarg_segment_align: 8
    .kernarg_segment_size: 76
    .language:       OpenCL C
    .language_version:
      - 2
      - 0
    .max_flat_workgroup_size: 256
    .name:           _ZL8moe_q3_KIfLb1EEvPKvS1_PT_PKiS5_S5_iiiiiii
    .private_segment_fixed_size: 0
    .sgpr_count:     48
    .sgpr_spill_count: 0
    .symbol:         _ZL8moe_q3_KIfLb1EEvPKvS1_PT_PKiS5_S5_iiiiiii.kd
    .uniform_work_group_size: 1
    .uses_dynamic_stack: false
    .vgpr_count:     153
    .vgpr_spill_count: 0
    .wavefront_size: 64
  - .agpr_count:     0
    .args:
      - .actual_access:  read_only
        .address_space:  global
        .offset:         0
        .size:           8
        .value_kind:     global_buffer
      - .actual_access:  read_only
        .address_space:  global
        .offset:         8
        .size:           8
        .value_kind:     global_buffer
      - .actual_access:  write_only
        .address_space:  global
        .offset:         16
        .size:           8
        .value_kind:     global_buffer
      - .address_space:  global
        .offset:         24
        .size:           8
        .value_kind:     global_buffer
      - .address_space:  global
        .offset:         32
        .size:           8
        .value_kind:     global_buffer
      - .address_space:  global
        .offset:         40
        .size:           8
        .value_kind:     global_buffer
      - .offset:         48
        .size:           4
        .value_kind:     by_value
      - .offset:         52
        .size:           4
        .value_kind:     by_value
      - .offset:         56
        .size:           4
        .value_kind:     by_value
      - .offset:         60
        .size:           4
        .value_kind:     by_value
      - .offset:         64
        .size:           4
        .value_kind:     by_value
      - .offset:         68
        .size:           4
        .value_kind:     by_value
      - .offset:         72
        .size:           4
        .value_kind:     by_value
    .group_segment_fixed_size: 20688
    .kernarg_segment_align: 8
    .kernarg_segment_size: 76
    .language:       OpenCL C
    .language_version:
      - 2
      - 0
    .max_flat_workgroup_size: 256
    .name:           _ZL8moe_q4_KIfLb0EEvPKvS1_PT_PKiS5_S5_iiiiiii
    .private_segment_fixed_size: 0
    .sgpr_count:     36
    .sgpr_spill_count: 0
    .symbol:         _ZL8moe_q4_KIfLb0EEvPKvS1_PT_PKiS5_S5_iiiiiii.kd
    .uniform_work_group_size: 1
    .uses_dynamic_stack: false
    .vgpr_count:     154
    .vgpr_spill_count: 0
    .wavefront_size: 64
  - .agpr_count:     0
    .args:
      - .actual_access:  read_only
        .address_space:  global
        .offset:         0
        .size:           8
        .value_kind:     global_buffer
      - .actual_access:  read_only
        .address_space:  global
        .offset:         8
        .size:           8
        .value_kind:     global_buffer
      - .actual_access:  write_only
        .address_space:  global
        .offset:         16
        .size:           8
        .value_kind:     global_buffer
      - .address_space:  global
        .offset:         24
        .size:           8
        .value_kind:     global_buffer
      - .address_space:  global
        .offset:         32
        .size:           8
        .value_kind:     global_buffer
      - .address_space:  global
        .offset:         40
        .size:           8
        .value_kind:     global_buffer
      - .offset:         48
        .size:           4
        .value_kind:     by_value
      - .offset:         52
        .size:           4
        .value_kind:     by_value
      - .offset:         56
        .size:           4
        .value_kind:     by_value
      - .offset:         60
        .size:           4
        .value_kind:     by_value
      - .offset:         64
        .size:           4
        .value_kind:     by_value
      - .offset:         68
        .size:           4
        .value_kind:     by_value
      - .offset:         72
        .size:           4
        .value_kind:     by_value
    .group_segment_fixed_size: 20688
    .kernarg_segment_align: 8
    .kernarg_segment_size: 76
    .language:       OpenCL C
    .language_version:
      - 2
      - 0
    .max_flat_workgroup_size: 256
    .name:           _ZL8moe_q4_KIfLb1EEvPKvS1_PT_PKiS5_S5_iiiiiii
    .private_segment_fixed_size: 0
    .sgpr_count:     38
    .sgpr_spill_count: 0
    .symbol:         _ZL8moe_q4_KIfLb1EEvPKvS1_PT_PKiS5_S5_iiiiiii.kd
    .uniform_work_group_size: 1
    .uses_dynamic_stack: false
    .vgpr_count:     154
    .vgpr_spill_count: 0
    .wavefront_size: 64
  - .agpr_count:     0
    .args:
      - .actual_access:  read_only
        .address_space:  global
        .offset:         0
        .size:           8
        .value_kind:     global_buffer
      - .actual_access:  read_only
        .address_space:  global
        .offset:         8
        .size:           8
        .value_kind:     global_buffer
      - .actual_access:  write_only
        .address_space:  global
        .offset:         16
        .size:           8
        .value_kind:     global_buffer
      - .address_space:  global
        .offset:         24
        .size:           8
        .value_kind:     global_buffer
      - .address_space:  global
        .offset:         32
        .size:           8
        .value_kind:     global_buffer
      - .address_space:  global
        .offset:         40
        .size:           8
        .value_kind:     global_buffer
      - .offset:         48
        .size:           4
        .value_kind:     by_value
      - .offset:         52
        .size:           4
        .value_kind:     by_value
      - .offset:         56
        .size:           4
        .value_kind:     by_value
      - .offset:         60
        .size:           4
        .value_kind:     by_value
      - .offset:         64
        .size:           4
        .value_kind:     by_value
      - .offset:         68
        .size:           4
        .value_kind:     by_value
      - .offset:         72
        .size:           4
        .value_kind:     by_value
    .group_segment_fixed_size: 37072
    .kernarg_segment_align: 8
    .kernarg_segment_size: 76
    .language:       OpenCL C
    .language_version:
      - 2
      - 0
    .max_flat_workgroup_size: 256
    .name:           _ZL8moe_q5_KIfLb0EEvPKvS1_PT_PKiS5_S5_iiiiiii
    .private_segment_fixed_size: 0
    .sgpr_count:     34
    .sgpr_spill_count: 0
    .symbol:         _ZL8moe_q5_KIfLb0EEvPKvS1_PT_PKiS5_S5_iiiiiii.kd
    .uniform_work_group_size: 1
    .uses_dynamic_stack: false
    .vgpr_count:     191
    .vgpr_spill_count: 0
    .wavefront_size: 64
  - .agpr_count:     0
    .args:
      - .actual_access:  read_only
        .address_space:  global
        .offset:         0
        .size:           8
        .value_kind:     global_buffer
      - .actual_access:  read_only
        .address_space:  global
        .offset:         8
        .size:           8
        .value_kind:     global_buffer
      - .actual_access:  write_only
        .address_space:  global
        .offset:         16
        .size:           8
        .value_kind:     global_buffer
      - .address_space:  global
        .offset:         24
        .size:           8
        .value_kind:     global_buffer
      - .address_space:  global
        .offset:         32
        .size:           8
        .value_kind:     global_buffer
      - .address_space:  global
        .offset:         40
        .size:           8
        .value_kind:     global_buffer
      - .offset:         48
        .size:           4
        .value_kind:     by_value
      - .offset:         52
        .size:           4
        .value_kind:     by_value
      - .offset:         56
        .size:           4
        .value_kind:     by_value
      - .offset:         60
        .size:           4
        .value_kind:     by_value
      - .offset:         64
        .size:           4
        .value_kind:     by_value
      - .offset:         68
        .size:           4
        .value_kind:     by_value
      - .offset:         72
        .size:           4
        .value_kind:     by_value
    .group_segment_fixed_size: 37072
    .kernarg_segment_align: 8
    .kernarg_segment_size: 76
    .language:       OpenCL C
    .language_version:
      - 2
      - 0
    .max_flat_workgroup_size: 256
    .name:           _ZL8moe_q5_KIfLb1EEvPKvS1_PT_PKiS5_S5_iiiiiii
    .private_segment_fixed_size: 0
    .sgpr_count:     36
    .sgpr_spill_count: 0
    .symbol:         _ZL8moe_q5_KIfLb1EEvPKvS1_PT_PKiS5_S5_iiiiiii.kd
    .uniform_work_group_size: 1
    .uses_dynamic_stack: false
    .vgpr_count:     191
    .vgpr_spill_count: 0
    .wavefront_size: 64
  - .agpr_count:     0
    .args:
      - .actual_access:  read_only
        .address_space:  global
        .offset:         0
        .size:           8
        .value_kind:     global_buffer
      - .actual_access:  read_only
        .address_space:  global
        .offset:         8
        .size:           8
        .value_kind:     global_buffer
      - .actual_access:  write_only
        .address_space:  global
        .offset:         16
        .size:           8
        .value_kind:     global_buffer
      - .address_space:  global
        .offset:         24
        .size:           8
        .value_kind:     global_buffer
      - .address_space:  global
        .offset:         32
        .size:           8
        .value_kind:     global_buffer
      - .address_space:  global
        .offset:         40
        .size:           8
        .value_kind:     global_buffer
      - .offset:         48
        .size:           4
        .value_kind:     by_value
      - .offset:         52
        .size:           4
        .value_kind:     by_value
      - .offset:         56
        .size:           4
        .value_kind:     by_value
      - .offset:         60
        .size:           4
        .value_kind:     by_value
      - .offset:         64
        .size:           4
        .value_kind:     by_value
      - .offset:         68
        .size:           4
        .value_kind:     by_value
      - .offset:         72
        .size:           4
        .value_kind:     by_value
    .group_segment_fixed_size: 37072
    .kernarg_segment_align: 8
    .kernarg_segment_size: 76
    .language:       OpenCL C
    .language_version:
      - 2
      - 0
    .max_flat_workgroup_size: 256
    .name:           _ZL8moe_q6_KIfLb0EEvPKvS1_PT_PKiS5_S5_iiiiiii
    .private_segment_fixed_size: 0
    .sgpr_count:     35
    .sgpr_spill_count: 0
    .symbol:         _ZL8moe_q6_KIfLb0EEvPKvS1_PT_PKiS5_S5_iiiiiii.kd
    .uniform_work_group_size: 1
    .uses_dynamic_stack: false
    .vgpr_count:     167
    .vgpr_spill_count: 0
    .wavefront_size: 64
  - .agpr_count:     0
    .args:
      - .actual_access:  read_only
        .address_space:  global
        .offset:         0
        .size:           8
        .value_kind:     global_buffer
      - .actual_access:  read_only
        .address_space:  global
        .offset:         8
        .size:           8
        .value_kind:     global_buffer
      - .actual_access:  write_only
        .address_space:  global
        .offset:         16
        .size:           8
        .value_kind:     global_buffer
      - .address_space:  global
        .offset:         24
        .size:           8
        .value_kind:     global_buffer
      - .address_space:  global
        .offset:         32
        .size:           8
        .value_kind:     global_buffer
      - .address_space:  global
        .offset:         40
        .size:           8
        .value_kind:     global_buffer
      - .offset:         48
        .size:           4
        .value_kind:     by_value
      - .offset:         52
        .size:           4
        .value_kind:     by_value
      - .offset:         56
        .size:           4
        .value_kind:     by_value
      - .offset:         60
        .size:           4
        .value_kind:     by_value
      - .offset:         64
        .size:           4
        .value_kind:     by_value
      - .offset:         68
        .size:           4
        .value_kind:     by_value
      - .offset:         72
        .size:           4
        .value_kind:     by_value
    .group_segment_fixed_size: 37072
    .kernarg_segment_align: 8
    .kernarg_segment_size: 76
    .language:       OpenCL C
    .language_version:
      - 2
      - 0
    .max_flat_workgroup_size: 256
    .name:           _ZL8moe_q6_KIfLb1EEvPKvS1_PT_PKiS5_S5_iiiiiii
    .private_segment_fixed_size: 0
    .sgpr_count:     36
    .sgpr_spill_count: 0
    .symbol:         _ZL8moe_q6_KIfLb1EEvPKvS1_PT_PKiS5_S5_iiiiiii.kd
    .uniform_work_group_size: 1
    .uses_dynamic_stack: false
    .vgpr_count:     167
    .vgpr_spill_count: 0
    .wavefront_size: 64
  - .agpr_count:     0
    .args:
      - .actual_access:  read_only
        .address_space:  global
        .offset:         0
        .size:           8
        .value_kind:     global_buffer
      - .actual_access:  read_only
        .address_space:  global
        .offset:         8
        .size:           8
        .value_kind:     global_buffer
      - .actual_access:  write_only
        .address_space:  global
        .offset:         16
        .size:           8
        .value_kind:     global_buffer
      - .address_space:  global
        .offset:         24
        .size:           8
        .value_kind:     global_buffer
      - .address_space:  global
        .offset:         32
        .size:           8
        .value_kind:     global_buffer
      - .address_space:  global
        .offset:         40
        .size:           8
        .value_kind:     global_buffer
      - .offset:         48
        .size:           4
        .value_kind:     by_value
      - .offset:         52
        .size:           4
        .value_kind:     by_value
      - .offset:         56
        .size:           4
        .value_kind:     by_value
      - .offset:         60
        .size:           4
        .value_kind:     by_value
      - .offset:         64
        .size:           4
        .value_kind:     by_value
      - .offset:         68
        .size:           4
        .value_kind:     by_value
      - .offset:         72
        .size:           4
        .value_kind:     by_value
    .group_segment_fixed_size: 22272
    .kernarg_segment_align: 8
    .kernarg_segment_size: 76
    .language:       OpenCL C
    .language_version:
      - 2
      - 0
    .max_flat_workgroup_size: 256
    .name:           _ZL8moe_q4_0IN3c104HalfELb0EEvPKvS3_PT_PKiS7_S7_iiiiiii
    .private_segment_fixed_size: 0
    .sgpr_count:     32
    .sgpr_spill_count: 0
    .symbol:         _ZL8moe_q4_0IN3c104HalfELb0EEvPKvS3_PT_PKiS7_S7_iiiiiii.kd
    .uniform_work_group_size: 1
    .uses_dynamic_stack: false
    .vgpr_count:     168
    .vgpr_spill_count: 0
    .wavefront_size: 64
  - .agpr_count:     0
    .args:
      - .actual_access:  read_only
        .address_space:  global
        .offset:         0
        .size:           8
        .value_kind:     global_buffer
      - .actual_access:  read_only
        .address_space:  global
        .offset:         8
        .size:           8
        .value_kind:     global_buffer
      - .actual_access:  write_only
        .address_space:  global
        .offset:         16
        .size:           8
        .value_kind:     global_buffer
      - .address_space:  global
        .offset:         24
        .size:           8
        .value_kind:     global_buffer
      - .address_space:  global
        .offset:         32
        .size:           8
        .value_kind:     global_buffer
      - .address_space:  global
        .offset:         40
        .size:           8
        .value_kind:     global_buffer
      - .offset:         48
        .size:           4
        .value_kind:     by_value
      - .offset:         52
        .size:           4
        .value_kind:     by_value
      - .offset:         56
        .size:           4
        .value_kind:     by_value
      - .offset:         60
        .size:           4
        .value_kind:     by_value
      - .offset:         64
        .size:           4
        .value_kind:     by_value
      - .offset:         68
        .size:           4
        .value_kind:     by_value
      - .offset:         72
        .size:           4
        .value_kind:     by_value
    .group_segment_fixed_size: 22272
    .kernarg_segment_align: 8
    .kernarg_segment_size: 76
    .language:       OpenCL C
    .language_version:
      - 2
      - 0
    .max_flat_workgroup_size: 256
    .name:           _ZL8moe_q4_0IN3c104HalfELb1EEvPKvS3_PT_PKiS7_S7_iiiiiii
    .private_segment_fixed_size: 0
    .sgpr_count:     33
    .sgpr_spill_count: 0
    .symbol:         _ZL8moe_q4_0IN3c104HalfELb1EEvPKvS3_PT_PKiS7_S7_iiiiiii.kd
    .uniform_work_group_size: 1
    .uses_dynamic_stack: false
    .vgpr_count:     168
    .vgpr_spill_count: 0
    .wavefront_size: 64
  - .agpr_count:     0
    .args:
      - .actual_access:  read_only
        .address_space:  global
        .offset:         0
        .size:           8
        .value_kind:     global_buffer
      - .actual_access:  read_only
        .address_space:  global
        .offset:         8
        .size:           8
        .value_kind:     global_buffer
      - .actual_access:  write_only
        .address_space:  global
        .offset:         16
        .size:           8
        .value_kind:     global_buffer
      - .address_space:  global
        .offset:         24
        .size:           8
        .value_kind:     global_buffer
      - .address_space:  global
        .offset:         32
        .size:           8
        .value_kind:     global_buffer
      - .address_space:  global
        .offset:         40
        .size:           8
        .value_kind:     global_buffer
      - .offset:         48
        .size:           4
        .value_kind:     by_value
      - .offset:         52
        .size:           4
        .value_kind:     by_value
      - .offset:         56
        .size:           4
        .value_kind:     by_value
      - .offset:         60
        .size:           4
        .value_kind:     by_value
      - .offset:         64
        .size:           4
        .value_kind:     by_value
      - .offset:         68
        .size:           4
        .value_kind:     by_value
      - .offset:         72
        .size:           4
        .value_kind:     by_value
    .group_segment_fixed_size: 22272
    .kernarg_segment_align: 8
    .kernarg_segment_size: 76
    .language:       OpenCL C
    .language_version:
      - 2
      - 0
    .max_flat_workgroup_size: 256
    .name:           _ZL8moe_q4_1IN3c104HalfELb0EEvPKvS3_PT_PKiS7_S7_iiiiiii
    .private_segment_fixed_size: 0
    .sgpr_count:     32
    .sgpr_spill_count: 0
    .symbol:         _ZL8moe_q4_1IN3c104HalfELb0EEvPKvS3_PT_PKiS7_S7_iiiiiii.kd
    .uniform_work_group_size: 1
    .uses_dynamic_stack: false
    .vgpr_count:     168
    .vgpr_spill_count: 0
    .wavefront_size: 64
  - .agpr_count:     0
    .args:
      - .actual_access:  read_only
        .address_space:  global
        .offset:         0
        .size:           8
        .value_kind:     global_buffer
      - .actual_access:  read_only
        .address_space:  global
        .offset:         8
        .size:           8
        .value_kind:     global_buffer
      - .actual_access:  write_only
        .address_space:  global
        .offset:         16
        .size:           8
        .value_kind:     global_buffer
      - .address_space:  global
        .offset:         24
        .size:           8
        .value_kind:     global_buffer
      - .address_space:  global
        .offset:         32
        .size:           8
        .value_kind:     global_buffer
      - .address_space:  global
        .offset:         40
        .size:           8
        .value_kind:     global_buffer
      - .offset:         48
        .size:           4
        .value_kind:     by_value
      - .offset:         52
        .size:           4
        .value_kind:     by_value
      - .offset:         56
        .size:           4
        .value_kind:     by_value
      - .offset:         60
        .size:           4
        .value_kind:     by_value
      - .offset:         64
        .size:           4
        .value_kind:     by_value
      - .offset:         68
        .size:           4
        .value_kind:     by_value
      - .offset:         72
        .size:           4
        .value_kind:     by_value
    .group_segment_fixed_size: 22272
    .kernarg_segment_align: 8
    .kernarg_segment_size: 76
    .language:       OpenCL C
    .language_version:
      - 2
      - 0
    .max_flat_workgroup_size: 256
    .name:           _ZL8moe_q4_1IN3c104HalfELb1EEvPKvS3_PT_PKiS7_S7_iiiiiii
    .private_segment_fixed_size: 0
    .sgpr_count:     33
    .sgpr_spill_count: 0
    .symbol:         _ZL8moe_q4_1IN3c104HalfELb1EEvPKvS3_PT_PKiS7_S7_iiiiiii.kd
    .uniform_work_group_size: 1
    .uses_dynamic_stack: false
    .vgpr_count:     168
    .vgpr_spill_count: 0
    .wavefront_size: 64
  - .agpr_count:     0
    .args:
      - .actual_access:  read_only
        .address_space:  global
        .offset:         0
        .size:           8
        .value_kind:     global_buffer
      - .actual_access:  read_only
        .address_space:  global
        .offset:         8
        .size:           8
        .value_kind:     global_buffer
      - .actual_access:  write_only
        .address_space:  global
        .offset:         16
        .size:           8
        .value_kind:     global_buffer
      - .address_space:  global
        .offset:         24
        .size:           8
        .value_kind:     global_buffer
      - .address_space:  global
        .offset:         32
        .size:           8
        .value_kind:     global_buffer
      - .address_space:  global
        .offset:         40
        .size:           8
        .value_kind:     global_buffer
      - .offset:         48
        .size:           4
        .value_kind:     by_value
      - .offset:         52
        .size:           4
        .value_kind:     by_value
      - .offset:         56
        .size:           4
        .value_kind:     by_value
      - .offset:         60
        .size:           4
        .value_kind:     by_value
      - .offset:         64
        .size:           4
        .value_kind:     by_value
      - .offset:         68
        .size:           4
        .value_kind:     by_value
      - .offset:         72
        .size:           4
        .value_kind:     by_value
    .group_segment_fixed_size: 38656
    .kernarg_segment_align: 8
    .kernarg_segment_size: 76
    .language:       OpenCL C
    .language_version:
      - 2
      - 0
    .max_flat_workgroup_size: 256
    .name:           _ZL8moe_q5_0IN3c104HalfELb0EEvPKvS3_PT_PKiS7_S7_iiiiiii
    .private_segment_fixed_size: 0
    .sgpr_count:     34
    .sgpr_spill_count: 0
    .symbol:         _ZL8moe_q5_0IN3c104HalfELb0EEvPKvS3_PT_PKiS7_S7_iiiiiii.kd
    .uniform_work_group_size: 1
    .uses_dynamic_stack: false
    .vgpr_count:     180
    .vgpr_spill_count: 0
    .wavefront_size: 64
  - .agpr_count:     0
    .args:
      - .actual_access:  read_only
        .address_space:  global
        .offset:         0
        .size:           8
        .value_kind:     global_buffer
      - .actual_access:  read_only
        .address_space:  global
        .offset:         8
        .size:           8
        .value_kind:     global_buffer
      - .actual_access:  write_only
        .address_space:  global
        .offset:         16
        .size:           8
        .value_kind:     global_buffer
      - .address_space:  global
        .offset:         24
        .size:           8
        .value_kind:     global_buffer
      - .address_space:  global
        .offset:         32
        .size:           8
        .value_kind:     global_buffer
      - .address_space:  global
        .offset:         40
        .size:           8
        .value_kind:     global_buffer
      - .offset:         48
        .size:           4
        .value_kind:     by_value
      - .offset:         52
        .size:           4
        .value_kind:     by_value
      - .offset:         56
        .size:           4
        .value_kind:     by_value
      - .offset:         60
        .size:           4
        .value_kind:     by_value
      - .offset:         64
        .size:           4
        .value_kind:     by_value
      - .offset:         68
        .size:           4
        .value_kind:     by_value
      - .offset:         72
        .size:           4
        .value_kind:     by_value
    .group_segment_fixed_size: 38656
    .kernarg_segment_align: 8
    .kernarg_segment_size: 76
    .language:       OpenCL C
    .language_version:
      - 2
      - 0
    .max_flat_workgroup_size: 256
    .name:           _ZL8moe_q5_0IN3c104HalfELb1EEvPKvS3_PT_PKiS7_S7_iiiiiii
    .private_segment_fixed_size: 0
    .sgpr_count:     34
    .sgpr_spill_count: 0
    .symbol:         _ZL8moe_q5_0IN3c104HalfELb1EEvPKvS3_PT_PKiS7_S7_iiiiiii.kd
    .uniform_work_group_size: 1
    .uses_dynamic_stack: false
    .vgpr_count:     180
    .vgpr_spill_count: 0
    .wavefront_size: 64
  - .agpr_count:     0
    .args:
      - .actual_access:  read_only
        .address_space:  global
        .offset:         0
        .size:           8
        .value_kind:     global_buffer
      - .actual_access:  read_only
        .address_space:  global
        .offset:         8
        .size:           8
        .value_kind:     global_buffer
      - .actual_access:  write_only
        .address_space:  global
        .offset:         16
        .size:           8
        .value_kind:     global_buffer
      - .address_space:  global
        .offset:         24
        .size:           8
        .value_kind:     global_buffer
      - .address_space:  global
        .offset:         32
        .size:           8
        .value_kind:     global_buffer
      - .address_space:  global
        .offset:         40
        .size:           8
        .value_kind:     global_buffer
      - .offset:         48
        .size:           4
        .value_kind:     by_value
      - .offset:         52
        .size:           4
        .value_kind:     by_value
      - .offset:         56
        .size:           4
        .value_kind:     by_value
      - .offset:         60
        .size:           4
        .value_kind:     by_value
      - .offset:         64
        .size:           4
        .value_kind:     by_value
      - .offset:         68
        .size:           4
        .value_kind:     by_value
      - .offset:         72
        .size:           4
        .value_kind:     by_value
    .group_segment_fixed_size: 38656
    .kernarg_segment_align: 8
    .kernarg_segment_size: 76
    .language:       OpenCL C
    .language_version:
      - 2
      - 0
    .max_flat_workgroup_size: 256
    .name:           _ZL8moe_q5_1IN3c104HalfELb0EEvPKvS3_PT_PKiS7_S7_iiiiiii
    .private_segment_fixed_size: 0
    .sgpr_count:     32
    .sgpr_spill_count: 0
    .symbol:         _ZL8moe_q5_1IN3c104HalfELb0EEvPKvS3_PT_PKiS7_S7_iiiiiii.kd
    .uniform_work_group_size: 1
    .uses_dynamic_stack: false
    .vgpr_count:     178
    .vgpr_spill_count: 0
    .wavefront_size: 64
  - .agpr_count:     0
    .args:
      - .actual_access:  read_only
        .address_space:  global
        .offset:         0
        .size:           8
        .value_kind:     global_buffer
      - .actual_access:  read_only
        .address_space:  global
        .offset:         8
        .size:           8
        .value_kind:     global_buffer
      - .actual_access:  write_only
        .address_space:  global
        .offset:         16
        .size:           8
        .value_kind:     global_buffer
      - .address_space:  global
        .offset:         24
        .size:           8
        .value_kind:     global_buffer
      - .address_space:  global
        .offset:         32
        .size:           8
        .value_kind:     global_buffer
      - .address_space:  global
        .offset:         40
        .size:           8
        .value_kind:     global_buffer
      - .offset:         48
        .size:           4
        .value_kind:     by_value
      - .offset:         52
        .size:           4
        .value_kind:     by_value
      - .offset:         56
        .size:           4
        .value_kind:     by_value
      - .offset:         60
        .size:           4
        .value_kind:     by_value
      - .offset:         64
        .size:           4
        .value_kind:     by_value
      - .offset:         68
        .size:           4
        .value_kind:     by_value
      - .offset:         72
        .size:           4
        .value_kind:     by_value
    .group_segment_fixed_size: 38656
    .kernarg_segment_align: 8
    .kernarg_segment_size: 76
    .language:       OpenCL C
    .language_version:
      - 2
      - 0
    .max_flat_workgroup_size: 256
    .name:           _ZL8moe_q5_1IN3c104HalfELb1EEvPKvS3_PT_PKiS7_S7_iiiiiii
    .private_segment_fixed_size: 0
    .sgpr_count:     33
    .sgpr_spill_count: 0
    .symbol:         _ZL8moe_q5_1IN3c104HalfELb1EEvPKvS3_PT_PKiS7_S7_iiiiiii.kd
    .uniform_work_group_size: 1
    .uses_dynamic_stack: false
    .vgpr_count:     178
    .vgpr_spill_count: 0
    .wavefront_size: 64
  - .agpr_count:     0
    .args:
      - .actual_access:  read_only
        .address_space:  global
        .offset:         0
        .size:           8
        .value_kind:     global_buffer
      - .actual_access:  read_only
        .address_space:  global
        .offset:         8
        .size:           8
        .value_kind:     global_buffer
      - .actual_access:  write_only
        .address_space:  global
        .offset:         16
        .size:           8
        .value_kind:     global_buffer
      - .address_space:  global
        .offset:         24
        .size:           8
        .value_kind:     global_buffer
      - .address_space:  global
        .offset:         32
        .size:           8
        .value_kind:     global_buffer
      - .address_space:  global
        .offset:         40
        .size:           8
        .value_kind:     global_buffer
      - .offset:         48
        .size:           4
        .value_kind:     by_value
      - .offset:         52
        .size:           4
        .value_kind:     by_value
      - .offset:         56
        .size:           4
        .value_kind:     by_value
      - .offset:         60
        .size:           4
        .value_kind:     by_value
      - .offset:         64
        .size:           4
        .value_kind:     by_value
      - .offset:         68
        .size:           4
        .value_kind:     by_value
      - .offset:         72
        .size:           4
        .value_kind:     by_value
    .group_segment_fixed_size: 20160
    .kernarg_segment_align: 8
    .kernarg_segment_size: 76
    .language:       OpenCL C
    .language_version:
      - 2
      - 0
    .max_flat_workgroup_size: 256
    .name:           _ZL8moe_q8_0IN3c104HalfELb0EEvPKvS3_PT_PKiS7_S7_iiiiiii
    .private_segment_fixed_size: 0
    .sgpr_count:     30
    .sgpr_spill_count: 0
    .symbol:         _ZL8moe_q8_0IN3c104HalfELb0EEvPKvS3_PT_PKiS7_S7_iiiiiii.kd
    .uniform_work_group_size: 1
    .uses_dynamic_stack: false
    .vgpr_count:     148
    .vgpr_spill_count: 0
    .wavefront_size: 64
  - .agpr_count:     0
    .args:
      - .actual_access:  read_only
        .address_space:  global
        .offset:         0
        .size:           8
        .value_kind:     global_buffer
      - .actual_access:  read_only
        .address_space:  global
        .offset:         8
        .size:           8
        .value_kind:     global_buffer
      - .actual_access:  write_only
        .address_space:  global
        .offset:         16
        .size:           8
        .value_kind:     global_buffer
      - .address_space:  global
        .offset:         24
        .size:           8
        .value_kind:     global_buffer
      - .address_space:  global
        .offset:         32
        .size:           8
        .value_kind:     global_buffer
      - .address_space:  global
        .offset:         40
        .size:           8
        .value_kind:     global_buffer
      - .offset:         48
        .size:           4
        .value_kind:     by_value
      - .offset:         52
        .size:           4
        .value_kind:     by_value
      - .offset:         56
        .size:           4
        .value_kind:     by_value
      - .offset:         60
        .size:           4
        .value_kind:     by_value
      - .offset:         64
        .size:           4
        .value_kind:     by_value
      - .offset:         68
        .size:           4
        .value_kind:     by_value
      - .offset:         72
        .size:           4
        .value_kind:     by_value
    .group_segment_fixed_size: 20160
    .kernarg_segment_align: 8
    .kernarg_segment_size: 76
    .language:       OpenCL C
    .language_version:
      - 2
      - 0
    .max_flat_workgroup_size: 256
    .name:           _ZL8moe_q8_0IN3c104HalfELb1EEvPKvS3_PT_PKiS7_S7_iiiiiii
    .private_segment_fixed_size: 0
    .sgpr_count:     32
    .sgpr_spill_count: 0
    .symbol:         _ZL8moe_q8_0IN3c104HalfELb1EEvPKvS3_PT_PKiS7_S7_iiiiiii.kd
    .uniform_work_group_size: 1
    .uses_dynamic_stack: false
    .vgpr_count:     147
    .vgpr_spill_count: 0
    .wavefront_size: 64
  - .agpr_count:     0
    .args:
      - .actual_access:  read_only
        .address_space:  global
        .offset:         0
        .size:           8
        .value_kind:     global_buffer
      - .actual_access:  read_only
        .address_space:  global
        .offset:         8
        .size:           8
        .value_kind:     global_buffer
      - .actual_access:  write_only
        .address_space:  global
        .offset:         16
        .size:           8
        .value_kind:     global_buffer
      - .address_space:  global
        .offset:         24
        .size:           8
        .value_kind:     global_buffer
      - .address_space:  global
        .offset:         32
        .size:           8
        .value_kind:     global_buffer
      - .address_space:  global
        .offset:         40
        .size:           8
        .value_kind:     global_buffer
      - .offset:         48
        .size:           4
        .value_kind:     by_value
      - .offset:         52
        .size:           4
        .value_kind:     by_value
      - .offset:         56
        .size:           4
        .value_kind:     by_value
      - .offset:         60
        .size:           4
        .value_kind:     by_value
      - .offset:         64
        .size:           4
        .value_kind:     by_value
      - .offset:         68
        .size:           4
        .value_kind:     by_value
      - .offset:         72
        .size:           4
        .value_kind:     by_value
    .group_segment_fixed_size: 23328
    .kernarg_segment_align: 8
    .kernarg_segment_size: 76
    .language:       OpenCL C
    .language_version:
      - 2
      - 0
    .max_flat_workgroup_size: 256
    .name:           _ZL8moe_q2_KIN3c104HalfELb0EEvPKvS3_PT_PKiS7_S7_iiiiiii
    .private_segment_fixed_size: 0
    .sgpr_count:     40
    .sgpr_spill_count: 0
    .symbol:         _ZL8moe_q2_KIN3c104HalfELb0EEvPKvS3_PT_PKiS7_S7_iiiiiii.kd
    .uniform_work_group_size: 1
    .uses_dynamic_stack: false
    .vgpr_count:     172
    .vgpr_spill_count: 0
    .wavefront_size: 64
  - .agpr_count:     0
    .args:
      - .actual_access:  read_only
        .address_space:  global
        .offset:         0
        .size:           8
        .value_kind:     global_buffer
      - .actual_access:  read_only
        .address_space:  global
        .offset:         8
        .size:           8
        .value_kind:     global_buffer
      - .actual_access:  write_only
        .address_space:  global
        .offset:         16
        .size:           8
        .value_kind:     global_buffer
      - .address_space:  global
        .offset:         24
        .size:           8
        .value_kind:     global_buffer
      - .address_space:  global
        .offset:         32
        .size:           8
        .value_kind:     global_buffer
      - .address_space:  global
        .offset:         40
        .size:           8
        .value_kind:     global_buffer
      - .offset:         48
        .size:           4
        .value_kind:     by_value
      - .offset:         52
        .size:           4
        .value_kind:     by_value
      - .offset:         56
        .size:           4
        .value_kind:     by_value
      - .offset:         60
        .size:           4
        .value_kind:     by_value
      - .offset:         64
        .size:           4
        .value_kind:     by_value
      - .offset:         68
        .size:           4
        .value_kind:     by_value
      - .offset:         72
        .size:           4
        .value_kind:     by_value
    .group_segment_fixed_size: 23328
    .kernarg_segment_align: 8
    .kernarg_segment_size: 76
    .language:       OpenCL C
    .language_version:
      - 2
      - 0
    .max_flat_workgroup_size: 256
    .name:           _ZL8moe_q2_KIN3c104HalfELb1EEvPKvS3_PT_PKiS7_S7_iiiiiii
    .private_segment_fixed_size: 0
    .sgpr_count:     40
    .sgpr_spill_count: 0
    .symbol:         _ZL8moe_q2_KIN3c104HalfELb1EEvPKvS3_PT_PKiS7_S7_iiiiiii.kd
    .uniform_work_group_size: 1
    .uses_dynamic_stack: false
    .vgpr_count:     172
    .vgpr_spill_count: 0
    .wavefront_size: 64
  - .agpr_count:     0
    .args:
      - .actual_access:  read_only
        .address_space:  global
        .offset:         0
        .size:           8
        .value_kind:     global_buffer
      - .actual_access:  read_only
        .address_space:  global
        .offset:         8
        .size:           8
        .value_kind:     global_buffer
      - .actual_access:  write_only
        .address_space:  global
        .offset:         16
        .size:           8
        .value_kind:     global_buffer
      - .address_space:  global
        .offset:         24
        .size:           8
        .value_kind:     global_buffer
      - .address_space:  global
        .offset:         32
        .size:           8
        .value_kind:     global_buffer
      - .address_space:  global
        .offset:         40
        .size:           8
        .value_kind:     global_buffer
      - .offset:         48
        .size:           4
        .value_kind:     by_value
      - .offset:         52
        .size:           4
        .value_kind:     by_value
      - .offset:         56
        .size:           4
        .value_kind:     by_value
      - .offset:         60
        .size:           4
        .value_kind:     by_value
      - .offset:         64
        .size:           4
        .value_kind:     by_value
      - .offset:         68
        .size:           4
        .value_kind:     by_value
      - .offset:         72
        .size:           4
        .value_kind:     by_value
    .group_segment_fixed_size: 31776
    .kernarg_segment_align: 8
    .kernarg_segment_size: 76
    .language:       OpenCL C
    .language_version:
      - 2
      - 0
    .max_flat_workgroup_size: 256
    .name:           _ZL8moe_q3_KIN3c104HalfELb0EEvPKvS3_PT_PKiS7_S7_iiiiiii
    .private_segment_fixed_size: 0
    .sgpr_count:     48
    .sgpr_spill_count: 0
    .symbol:         _ZL8moe_q3_KIN3c104HalfELb0EEvPKvS3_PT_PKiS7_S7_iiiiiii.kd
    .uniform_work_group_size: 1
    .uses_dynamic_stack: false
    .vgpr_count:     153
    .vgpr_spill_count: 0
    .wavefront_size: 64
  - .agpr_count:     0
    .args:
      - .actual_access:  read_only
        .address_space:  global
        .offset:         0
        .size:           8
        .value_kind:     global_buffer
      - .actual_access:  read_only
        .address_space:  global
        .offset:         8
        .size:           8
        .value_kind:     global_buffer
      - .actual_access:  write_only
        .address_space:  global
        .offset:         16
        .size:           8
        .value_kind:     global_buffer
      - .address_space:  global
        .offset:         24
        .size:           8
        .value_kind:     global_buffer
      - .address_space:  global
        .offset:         32
        .size:           8
        .value_kind:     global_buffer
      - .address_space:  global
        .offset:         40
        .size:           8
        .value_kind:     global_buffer
      - .offset:         48
        .size:           4
        .value_kind:     by_value
      - .offset:         52
        .size:           4
        .value_kind:     by_value
      - .offset:         56
        .size:           4
        .value_kind:     by_value
      - .offset:         60
        .size:           4
        .value_kind:     by_value
      - .offset:         64
        .size:           4
        .value_kind:     by_value
      - .offset:         68
        .size:           4
        .value_kind:     by_value
      - .offset:         72
        .size:           4
        .value_kind:     by_value
    .group_segment_fixed_size: 31776
    .kernarg_segment_align: 8
    .kernarg_segment_size: 76
    .language:       OpenCL C
    .language_version:
      - 2
      - 0
    .max_flat_workgroup_size: 256
    .name:           _ZL8moe_q3_KIN3c104HalfELb1EEvPKvS3_PT_PKiS7_S7_iiiiiii
    .private_segment_fixed_size: 0
    .sgpr_count:     48
    .sgpr_spill_count: 0
    .symbol:         _ZL8moe_q3_KIN3c104HalfELb1EEvPKvS3_PT_PKiS7_S7_iiiiiii.kd
    .uniform_work_group_size: 1
    .uses_dynamic_stack: false
    .vgpr_count:     153
    .vgpr_spill_count: 0
    .wavefront_size: 64
  - .agpr_count:     0
    .args:
      - .actual_access:  read_only
        .address_space:  global
        .offset:         0
        .size:           8
        .value_kind:     global_buffer
      - .actual_access:  read_only
        .address_space:  global
        .offset:         8
        .size:           8
        .value_kind:     global_buffer
      - .actual_access:  write_only
        .address_space:  global
        .offset:         16
        .size:           8
        .value_kind:     global_buffer
      - .address_space:  global
        .offset:         24
        .size:           8
        .value_kind:     global_buffer
      - .address_space:  global
        .offset:         32
        .size:           8
        .value_kind:     global_buffer
      - .address_space:  global
        .offset:         40
        .size:           8
        .value_kind:     global_buffer
      - .offset:         48
        .size:           4
        .value_kind:     by_value
      - .offset:         52
        .size:           4
        .value_kind:     by_value
      - .offset:         56
        .size:           4
        .value_kind:     by_value
      - .offset:         60
        .size:           4
        .value_kind:     by_value
      - .offset:         64
        .size:           4
        .value_kind:     by_value
      - .offset:         68
        .size:           4
        .value_kind:     by_value
      - .offset:         72
        .size:           4
        .value_kind:     by_value
    .group_segment_fixed_size: 20688
    .kernarg_segment_align: 8
    .kernarg_segment_size: 76
    .language:       OpenCL C
    .language_version:
      - 2
      - 0
    .max_flat_workgroup_size: 256
    .name:           _ZL8moe_q4_KIN3c104HalfELb0EEvPKvS3_PT_PKiS7_S7_iiiiiii
    .private_segment_fixed_size: 0
    .sgpr_count:     36
    .sgpr_spill_count: 0
    .symbol:         _ZL8moe_q4_KIN3c104HalfELb0EEvPKvS3_PT_PKiS7_S7_iiiiiii.kd
    .uniform_work_group_size: 1
    .uses_dynamic_stack: false
    .vgpr_count:     154
    .vgpr_spill_count: 0
    .wavefront_size: 64
  - .agpr_count:     0
    .args:
      - .actual_access:  read_only
        .address_space:  global
        .offset:         0
        .size:           8
        .value_kind:     global_buffer
      - .actual_access:  read_only
        .address_space:  global
        .offset:         8
        .size:           8
        .value_kind:     global_buffer
      - .actual_access:  write_only
        .address_space:  global
        .offset:         16
        .size:           8
        .value_kind:     global_buffer
      - .address_space:  global
        .offset:         24
        .size:           8
        .value_kind:     global_buffer
      - .address_space:  global
        .offset:         32
        .size:           8
        .value_kind:     global_buffer
      - .address_space:  global
        .offset:         40
        .size:           8
        .value_kind:     global_buffer
      - .offset:         48
        .size:           4
        .value_kind:     by_value
      - .offset:         52
        .size:           4
        .value_kind:     by_value
      - .offset:         56
        .size:           4
        .value_kind:     by_value
      - .offset:         60
        .size:           4
        .value_kind:     by_value
      - .offset:         64
        .size:           4
        .value_kind:     by_value
      - .offset:         68
        .size:           4
        .value_kind:     by_value
      - .offset:         72
        .size:           4
        .value_kind:     by_value
    .group_segment_fixed_size: 20688
    .kernarg_segment_align: 8
    .kernarg_segment_size: 76
    .language:       OpenCL C
    .language_version:
      - 2
      - 0
    .max_flat_workgroup_size: 256
    .name:           _ZL8moe_q4_KIN3c104HalfELb1EEvPKvS3_PT_PKiS7_S7_iiiiiii
    .private_segment_fixed_size: 0
    .sgpr_count:     38
    .sgpr_spill_count: 0
    .symbol:         _ZL8moe_q4_KIN3c104HalfELb1EEvPKvS3_PT_PKiS7_S7_iiiiiii.kd
    .uniform_work_group_size: 1
    .uses_dynamic_stack: false
    .vgpr_count:     154
    .vgpr_spill_count: 0
    .wavefront_size: 64
  - .agpr_count:     0
    .args:
      - .actual_access:  read_only
        .address_space:  global
        .offset:         0
        .size:           8
        .value_kind:     global_buffer
      - .actual_access:  read_only
        .address_space:  global
        .offset:         8
        .size:           8
        .value_kind:     global_buffer
      - .actual_access:  write_only
        .address_space:  global
        .offset:         16
        .size:           8
        .value_kind:     global_buffer
      - .address_space:  global
        .offset:         24
        .size:           8
        .value_kind:     global_buffer
      - .address_space:  global
        .offset:         32
        .size:           8
        .value_kind:     global_buffer
      - .address_space:  global
        .offset:         40
        .size:           8
        .value_kind:     global_buffer
      - .offset:         48
        .size:           4
        .value_kind:     by_value
      - .offset:         52
        .size:           4
        .value_kind:     by_value
      - .offset:         56
        .size:           4
        .value_kind:     by_value
      - .offset:         60
        .size:           4
        .value_kind:     by_value
      - .offset:         64
        .size:           4
        .value_kind:     by_value
      - .offset:         68
        .size:           4
        .value_kind:     by_value
      - .offset:         72
        .size:           4
        .value_kind:     by_value
    .group_segment_fixed_size: 37072
    .kernarg_segment_align: 8
    .kernarg_segment_size: 76
    .language:       OpenCL C
    .language_version:
      - 2
      - 0
    .max_flat_workgroup_size: 256
    .name:           _ZL8moe_q5_KIN3c104HalfELb0EEvPKvS3_PT_PKiS7_S7_iiiiiii
    .private_segment_fixed_size: 0
    .sgpr_count:     34
    .sgpr_spill_count: 0
    .symbol:         _ZL8moe_q5_KIN3c104HalfELb0EEvPKvS3_PT_PKiS7_S7_iiiiiii.kd
    .uniform_work_group_size: 1
    .uses_dynamic_stack: false
    .vgpr_count:     191
    .vgpr_spill_count: 0
    .wavefront_size: 64
  - .agpr_count:     0
    .args:
      - .actual_access:  read_only
        .address_space:  global
        .offset:         0
        .size:           8
        .value_kind:     global_buffer
      - .actual_access:  read_only
        .address_space:  global
        .offset:         8
        .size:           8
        .value_kind:     global_buffer
      - .actual_access:  write_only
        .address_space:  global
        .offset:         16
        .size:           8
        .value_kind:     global_buffer
      - .address_space:  global
        .offset:         24
        .size:           8
        .value_kind:     global_buffer
      - .address_space:  global
        .offset:         32
        .size:           8
        .value_kind:     global_buffer
      - .address_space:  global
        .offset:         40
        .size:           8
        .value_kind:     global_buffer
      - .offset:         48
        .size:           4
        .value_kind:     by_value
      - .offset:         52
        .size:           4
        .value_kind:     by_value
      - .offset:         56
        .size:           4
        .value_kind:     by_value
      - .offset:         60
        .size:           4
        .value_kind:     by_value
      - .offset:         64
        .size:           4
        .value_kind:     by_value
      - .offset:         68
        .size:           4
        .value_kind:     by_value
      - .offset:         72
        .size:           4
        .value_kind:     by_value
    .group_segment_fixed_size: 37072
    .kernarg_segment_align: 8
    .kernarg_segment_size: 76
    .language:       OpenCL C
    .language_version:
      - 2
      - 0
    .max_flat_workgroup_size: 256
    .name:           _ZL8moe_q5_KIN3c104HalfELb1EEvPKvS3_PT_PKiS7_S7_iiiiiii
    .private_segment_fixed_size: 0
    .sgpr_count:     36
    .sgpr_spill_count: 0
    .symbol:         _ZL8moe_q5_KIN3c104HalfELb1EEvPKvS3_PT_PKiS7_S7_iiiiiii.kd
    .uniform_work_group_size: 1
    .uses_dynamic_stack: false
    .vgpr_count:     191
    .vgpr_spill_count: 0
    .wavefront_size: 64
  - .agpr_count:     0
    .args:
      - .actual_access:  read_only
        .address_space:  global
        .offset:         0
        .size:           8
        .value_kind:     global_buffer
      - .actual_access:  read_only
        .address_space:  global
        .offset:         8
        .size:           8
        .value_kind:     global_buffer
      - .actual_access:  write_only
        .address_space:  global
        .offset:         16
        .size:           8
        .value_kind:     global_buffer
      - .address_space:  global
        .offset:         24
        .size:           8
        .value_kind:     global_buffer
      - .address_space:  global
        .offset:         32
        .size:           8
        .value_kind:     global_buffer
      - .address_space:  global
        .offset:         40
        .size:           8
        .value_kind:     global_buffer
      - .offset:         48
        .size:           4
        .value_kind:     by_value
      - .offset:         52
        .size:           4
        .value_kind:     by_value
      - .offset:         56
        .size:           4
        .value_kind:     by_value
      - .offset:         60
        .size:           4
        .value_kind:     by_value
      - .offset:         64
        .size:           4
        .value_kind:     by_value
      - .offset:         68
        .size:           4
        .value_kind:     by_value
      - .offset:         72
        .size:           4
        .value_kind:     by_value
    .group_segment_fixed_size: 37072
    .kernarg_segment_align: 8
    .kernarg_segment_size: 76
    .language:       OpenCL C
    .language_version:
      - 2
      - 0
    .max_flat_workgroup_size: 256
    .name:           _ZL8moe_q6_KIN3c104HalfELb0EEvPKvS3_PT_PKiS7_S7_iiiiiii
    .private_segment_fixed_size: 0
    .sgpr_count:     35
    .sgpr_spill_count: 0
    .symbol:         _ZL8moe_q6_KIN3c104HalfELb0EEvPKvS3_PT_PKiS7_S7_iiiiiii.kd
    .uniform_work_group_size: 1
    .uses_dynamic_stack: false
    .vgpr_count:     167
    .vgpr_spill_count: 0
    .wavefront_size: 64
  - .agpr_count:     0
    .args:
      - .actual_access:  read_only
        .address_space:  global
        .offset:         0
        .size:           8
        .value_kind:     global_buffer
      - .actual_access:  read_only
        .address_space:  global
        .offset:         8
        .size:           8
        .value_kind:     global_buffer
      - .actual_access:  write_only
        .address_space:  global
        .offset:         16
        .size:           8
        .value_kind:     global_buffer
      - .address_space:  global
        .offset:         24
        .size:           8
        .value_kind:     global_buffer
      - .address_space:  global
        .offset:         32
        .size:           8
        .value_kind:     global_buffer
      - .address_space:  global
        .offset:         40
        .size:           8
        .value_kind:     global_buffer
      - .offset:         48
        .size:           4
        .value_kind:     by_value
      - .offset:         52
        .size:           4
        .value_kind:     by_value
      - .offset:         56
        .size:           4
        .value_kind:     by_value
      - .offset:         60
        .size:           4
        .value_kind:     by_value
      - .offset:         64
        .size:           4
        .value_kind:     by_value
      - .offset:         68
        .size:           4
        .value_kind:     by_value
      - .offset:         72
        .size:           4
        .value_kind:     by_value
    .group_segment_fixed_size: 37072
    .kernarg_segment_align: 8
    .kernarg_segment_size: 76
    .language:       OpenCL C
    .language_version:
      - 2
      - 0
    .max_flat_workgroup_size: 256
    .name:           _ZL8moe_q6_KIN3c104HalfELb1EEvPKvS3_PT_PKiS7_S7_iiiiiii
    .private_segment_fixed_size: 0
    .sgpr_count:     36
    .sgpr_spill_count: 0
    .symbol:         _ZL8moe_q6_KIN3c104HalfELb1EEvPKvS3_PT_PKiS7_S7_iiiiiii.kd
    .uniform_work_group_size: 1
    .uses_dynamic_stack: false
    .vgpr_count:     167
    .vgpr_spill_count: 0
    .wavefront_size: 64
  - .agpr_count:     0
    .args:
      - .actual_access:  read_only
        .address_space:  global
        .offset:         0
        .size:           8
        .value_kind:     global_buffer
      - .actual_access:  read_only
        .address_space:  global
        .offset:         8
        .size:           8
        .value_kind:     global_buffer
      - .actual_access:  write_only
        .address_space:  global
        .offset:         16
        .size:           8
        .value_kind:     global_buffer
      - .address_space:  global
        .offset:         24
        .size:           8
        .value_kind:     global_buffer
      - .address_space:  global
        .offset:         32
        .size:           8
        .value_kind:     global_buffer
      - .address_space:  global
        .offset:         40
        .size:           8
        .value_kind:     global_buffer
      - .offset:         48
        .size:           4
        .value_kind:     by_value
      - .offset:         52
        .size:           4
        .value_kind:     by_value
      - .offset:         56
        .size:           4
        .value_kind:     by_value
      - .offset:         60
        .size:           4
        .value_kind:     by_value
      - .offset:         64
        .size:           4
        .value_kind:     by_value
      - .offset:         68
        .size:           4
        .value_kind:     by_value
      - .offset:         72
        .size:           4
        .value_kind:     by_value
    .group_segment_fixed_size: 22272
    .kernarg_segment_align: 8
    .kernarg_segment_size: 76
    .language:       OpenCL C
    .language_version:
      - 2
      - 0
    .max_flat_workgroup_size: 256
    .name:           _ZL8moe_q4_0IN3c108BFloat16ELb0EEvPKvS3_PT_PKiS7_S7_iiiiiii
    .private_segment_fixed_size: 0
    .sgpr_count:     31
    .sgpr_spill_count: 0
    .symbol:         _ZL8moe_q4_0IN3c108BFloat16ELb0EEvPKvS3_PT_PKiS7_S7_iiiiiii.kd
    .uniform_work_group_size: 1
    .uses_dynamic_stack: false
    .vgpr_count:     167
    .vgpr_spill_count: 0
    .wavefront_size: 64
  - .agpr_count:     0
    .args:
      - .actual_access:  read_only
        .address_space:  global
        .offset:         0
        .size:           8
        .value_kind:     global_buffer
      - .actual_access:  read_only
        .address_space:  global
        .offset:         8
        .size:           8
        .value_kind:     global_buffer
      - .actual_access:  write_only
        .address_space:  global
        .offset:         16
        .size:           8
        .value_kind:     global_buffer
      - .address_space:  global
        .offset:         24
        .size:           8
        .value_kind:     global_buffer
      - .address_space:  global
        .offset:         32
        .size:           8
        .value_kind:     global_buffer
      - .address_space:  global
        .offset:         40
        .size:           8
        .value_kind:     global_buffer
      - .offset:         48
        .size:           4
        .value_kind:     by_value
      - .offset:         52
        .size:           4
        .value_kind:     by_value
      - .offset:         56
        .size:           4
        .value_kind:     by_value
      - .offset:         60
        .size:           4
        .value_kind:     by_value
      - .offset:         64
        .size:           4
        .value_kind:     by_value
      - .offset:         68
        .size:           4
        .value_kind:     by_value
      - .offset:         72
        .size:           4
        .value_kind:     by_value
    .group_segment_fixed_size: 22272
    .kernarg_segment_align: 8
    .kernarg_segment_size: 76
    .language:       OpenCL C
    .language_version:
      - 2
      - 0
    .max_flat_workgroup_size: 256
    .name:           _ZL8moe_q4_0IN3c108BFloat16ELb1EEvPKvS3_PT_PKiS7_S7_iiiiiii
    .private_segment_fixed_size: 0
    .sgpr_count:     31
    .sgpr_spill_count: 0
    .symbol:         _ZL8moe_q4_0IN3c108BFloat16ELb1EEvPKvS3_PT_PKiS7_S7_iiiiiii.kd
    .uniform_work_group_size: 1
    .uses_dynamic_stack: false
    .vgpr_count:     167
    .vgpr_spill_count: 0
    .wavefront_size: 64
  - .agpr_count:     0
    .args:
      - .actual_access:  read_only
        .address_space:  global
        .offset:         0
        .size:           8
        .value_kind:     global_buffer
      - .actual_access:  read_only
        .address_space:  global
        .offset:         8
        .size:           8
        .value_kind:     global_buffer
      - .actual_access:  write_only
        .address_space:  global
        .offset:         16
        .size:           8
        .value_kind:     global_buffer
      - .address_space:  global
        .offset:         24
        .size:           8
        .value_kind:     global_buffer
      - .address_space:  global
        .offset:         32
        .size:           8
        .value_kind:     global_buffer
      - .address_space:  global
        .offset:         40
        .size:           8
        .value_kind:     global_buffer
      - .offset:         48
        .size:           4
        .value_kind:     by_value
      - .offset:         52
        .size:           4
        .value_kind:     by_value
      - .offset:         56
        .size:           4
        .value_kind:     by_value
      - .offset:         60
        .size:           4
        .value_kind:     by_value
      - .offset:         64
        .size:           4
        .value_kind:     by_value
      - .offset:         68
        .size:           4
        .value_kind:     by_value
      - .offset:         72
        .size:           4
        .value_kind:     by_value
    .group_segment_fixed_size: 22272
    .kernarg_segment_align: 8
    .kernarg_segment_size: 76
    .language:       OpenCL C
    .language_version:
      - 2
      - 0
    .max_flat_workgroup_size: 256
    .name:           _ZL8moe_q4_1IN3c108BFloat16ELb0EEvPKvS3_PT_PKiS7_S7_iiiiiii
    .private_segment_fixed_size: 0
    .sgpr_count:     31
    .sgpr_spill_count: 0
    .symbol:         _ZL8moe_q4_1IN3c108BFloat16ELb0EEvPKvS3_PT_PKiS7_S7_iiiiiii.kd
    .uniform_work_group_size: 1
    .uses_dynamic_stack: false
    .vgpr_count:     168
    .vgpr_spill_count: 0
    .wavefront_size: 64
  - .agpr_count:     0
    .args:
      - .actual_access:  read_only
        .address_space:  global
        .offset:         0
        .size:           8
        .value_kind:     global_buffer
      - .actual_access:  read_only
        .address_space:  global
        .offset:         8
        .size:           8
        .value_kind:     global_buffer
      - .actual_access:  write_only
        .address_space:  global
        .offset:         16
        .size:           8
        .value_kind:     global_buffer
      - .address_space:  global
        .offset:         24
        .size:           8
        .value_kind:     global_buffer
      - .address_space:  global
        .offset:         32
        .size:           8
        .value_kind:     global_buffer
      - .address_space:  global
        .offset:         40
        .size:           8
        .value_kind:     global_buffer
      - .offset:         48
        .size:           4
        .value_kind:     by_value
      - .offset:         52
        .size:           4
        .value_kind:     by_value
      - .offset:         56
        .size:           4
        .value_kind:     by_value
      - .offset:         60
        .size:           4
        .value_kind:     by_value
      - .offset:         64
        .size:           4
        .value_kind:     by_value
      - .offset:         68
        .size:           4
        .value_kind:     by_value
      - .offset:         72
        .size:           4
        .value_kind:     by_value
    .group_segment_fixed_size: 22272
    .kernarg_segment_align: 8
    .kernarg_segment_size: 76
    .language:       OpenCL C
    .language_version:
      - 2
      - 0
    .max_flat_workgroup_size: 256
    .name:           _ZL8moe_q4_1IN3c108BFloat16ELb1EEvPKvS3_PT_PKiS7_S7_iiiiiii
    .private_segment_fixed_size: 0
    .sgpr_count:     31
    .sgpr_spill_count: 0
    .symbol:         _ZL8moe_q4_1IN3c108BFloat16ELb1EEvPKvS3_PT_PKiS7_S7_iiiiiii.kd
    .uniform_work_group_size: 1
    .uses_dynamic_stack: false
    .vgpr_count:     168
    .vgpr_spill_count: 0
    .wavefront_size: 64
  - .agpr_count:     0
    .args:
      - .actual_access:  read_only
        .address_space:  global
        .offset:         0
        .size:           8
        .value_kind:     global_buffer
      - .actual_access:  read_only
        .address_space:  global
        .offset:         8
        .size:           8
        .value_kind:     global_buffer
      - .actual_access:  write_only
        .address_space:  global
        .offset:         16
        .size:           8
        .value_kind:     global_buffer
      - .address_space:  global
        .offset:         24
        .size:           8
        .value_kind:     global_buffer
      - .address_space:  global
        .offset:         32
        .size:           8
        .value_kind:     global_buffer
      - .address_space:  global
        .offset:         40
        .size:           8
        .value_kind:     global_buffer
      - .offset:         48
        .size:           4
        .value_kind:     by_value
      - .offset:         52
        .size:           4
        .value_kind:     by_value
      - .offset:         56
        .size:           4
        .value_kind:     by_value
      - .offset:         60
        .size:           4
        .value_kind:     by_value
      - .offset:         64
        .size:           4
        .value_kind:     by_value
      - .offset:         68
        .size:           4
        .value_kind:     by_value
      - .offset:         72
        .size:           4
        .value_kind:     by_value
    .group_segment_fixed_size: 38656
    .kernarg_segment_align: 8
    .kernarg_segment_size: 76
    .language:       OpenCL C
    .language_version:
      - 2
      - 0
    .max_flat_workgroup_size: 256
    .name:           _ZL8moe_q5_0IN3c108BFloat16ELb0EEvPKvS3_PT_PKiS7_S7_iiiiiii
    .private_segment_fixed_size: 0
    .sgpr_count:     34
    .sgpr_spill_count: 0
    .symbol:         _ZL8moe_q5_0IN3c108BFloat16ELb0EEvPKvS3_PT_PKiS7_S7_iiiiiii.kd
    .uniform_work_group_size: 1
    .uses_dynamic_stack: false
    .vgpr_count:     169
    .vgpr_spill_count: 0
    .wavefront_size: 64
  - .agpr_count:     0
    .args:
      - .actual_access:  read_only
        .address_space:  global
        .offset:         0
        .size:           8
        .value_kind:     global_buffer
      - .actual_access:  read_only
        .address_space:  global
        .offset:         8
        .size:           8
        .value_kind:     global_buffer
      - .actual_access:  write_only
        .address_space:  global
        .offset:         16
        .size:           8
        .value_kind:     global_buffer
      - .address_space:  global
        .offset:         24
        .size:           8
        .value_kind:     global_buffer
      - .address_space:  global
        .offset:         32
        .size:           8
        .value_kind:     global_buffer
      - .address_space:  global
        .offset:         40
        .size:           8
        .value_kind:     global_buffer
      - .offset:         48
        .size:           4
        .value_kind:     by_value
      - .offset:         52
        .size:           4
        .value_kind:     by_value
      - .offset:         56
        .size:           4
        .value_kind:     by_value
      - .offset:         60
        .size:           4
        .value_kind:     by_value
      - .offset:         64
        .size:           4
        .value_kind:     by_value
      - .offset:         68
        .size:           4
        .value_kind:     by_value
      - .offset:         72
        .size:           4
        .value_kind:     by_value
    .group_segment_fixed_size: 38656
    .kernarg_segment_align: 8
    .kernarg_segment_size: 76
    .language:       OpenCL C
    .language_version:
      - 2
      - 0
    .max_flat_workgroup_size: 256
    .name:           _ZL8moe_q5_0IN3c108BFloat16ELb1EEvPKvS3_PT_PKiS7_S7_iiiiiii
    .private_segment_fixed_size: 0
    .sgpr_count:     34
    .sgpr_spill_count: 0
    .symbol:         _ZL8moe_q5_0IN3c108BFloat16ELb1EEvPKvS3_PT_PKiS7_S7_iiiiiii.kd
    .uniform_work_group_size: 1
    .uses_dynamic_stack: false
    .vgpr_count:     169
    .vgpr_spill_count: 0
    .wavefront_size: 64
  - .agpr_count:     0
    .args:
      - .actual_access:  read_only
        .address_space:  global
        .offset:         0
        .size:           8
        .value_kind:     global_buffer
      - .actual_access:  read_only
        .address_space:  global
        .offset:         8
        .size:           8
        .value_kind:     global_buffer
      - .actual_access:  write_only
        .address_space:  global
        .offset:         16
        .size:           8
        .value_kind:     global_buffer
      - .address_space:  global
        .offset:         24
        .size:           8
        .value_kind:     global_buffer
      - .address_space:  global
        .offset:         32
        .size:           8
        .value_kind:     global_buffer
      - .address_space:  global
        .offset:         40
        .size:           8
        .value_kind:     global_buffer
      - .offset:         48
        .size:           4
        .value_kind:     by_value
      - .offset:         52
        .size:           4
        .value_kind:     by_value
      - .offset:         56
        .size:           4
        .value_kind:     by_value
      - .offset:         60
        .size:           4
        .value_kind:     by_value
      - .offset:         64
        .size:           4
        .value_kind:     by_value
      - .offset:         68
        .size:           4
        .value_kind:     by_value
      - .offset:         72
        .size:           4
        .value_kind:     by_value
    .group_segment_fixed_size: 38656
    .kernarg_segment_align: 8
    .kernarg_segment_size: 76
    .language:       OpenCL C
    .language_version:
      - 2
      - 0
    .max_flat_workgroup_size: 256
    .name:           _ZL8moe_q5_1IN3c108BFloat16ELb0EEvPKvS3_PT_PKiS7_S7_iiiiiii
    .private_segment_fixed_size: 0
    .sgpr_count:     31
    .sgpr_spill_count: 0
    .symbol:         _ZL8moe_q5_1IN3c108BFloat16ELb0EEvPKvS3_PT_PKiS7_S7_iiiiiii.kd
    .uniform_work_group_size: 1
    .uses_dynamic_stack: false
    .vgpr_count:     178
    .vgpr_spill_count: 0
    .wavefront_size: 64
  - .agpr_count:     0
    .args:
      - .actual_access:  read_only
        .address_space:  global
        .offset:         0
        .size:           8
        .value_kind:     global_buffer
      - .actual_access:  read_only
        .address_space:  global
        .offset:         8
        .size:           8
        .value_kind:     global_buffer
      - .actual_access:  write_only
        .address_space:  global
        .offset:         16
        .size:           8
        .value_kind:     global_buffer
      - .address_space:  global
        .offset:         24
        .size:           8
        .value_kind:     global_buffer
      - .address_space:  global
        .offset:         32
        .size:           8
        .value_kind:     global_buffer
      - .address_space:  global
        .offset:         40
        .size:           8
        .value_kind:     global_buffer
      - .offset:         48
        .size:           4
        .value_kind:     by_value
      - .offset:         52
        .size:           4
        .value_kind:     by_value
      - .offset:         56
        .size:           4
        .value_kind:     by_value
      - .offset:         60
        .size:           4
        .value_kind:     by_value
      - .offset:         64
        .size:           4
        .value_kind:     by_value
      - .offset:         68
        .size:           4
        .value_kind:     by_value
      - .offset:         72
        .size:           4
        .value_kind:     by_value
    .group_segment_fixed_size: 38656
    .kernarg_segment_align: 8
    .kernarg_segment_size: 76
    .language:       OpenCL C
    .language_version:
      - 2
      - 0
    .max_flat_workgroup_size: 256
    .name:           _ZL8moe_q5_1IN3c108BFloat16ELb1EEvPKvS3_PT_PKiS7_S7_iiiiiii
    .private_segment_fixed_size: 0
    .sgpr_count:     31
    .sgpr_spill_count: 0
    .symbol:         _ZL8moe_q5_1IN3c108BFloat16ELb1EEvPKvS3_PT_PKiS7_S7_iiiiiii.kd
    .uniform_work_group_size: 1
    .uses_dynamic_stack: false
    .vgpr_count:     178
    .vgpr_spill_count: 0
    .wavefront_size: 64
  - .agpr_count:     0
    .args:
      - .actual_access:  read_only
        .address_space:  global
        .offset:         0
        .size:           8
        .value_kind:     global_buffer
      - .actual_access:  read_only
        .address_space:  global
        .offset:         8
        .size:           8
        .value_kind:     global_buffer
      - .actual_access:  write_only
        .address_space:  global
        .offset:         16
        .size:           8
        .value_kind:     global_buffer
      - .address_space:  global
        .offset:         24
        .size:           8
        .value_kind:     global_buffer
      - .address_space:  global
        .offset:         32
        .size:           8
        .value_kind:     global_buffer
      - .address_space:  global
        .offset:         40
        .size:           8
        .value_kind:     global_buffer
      - .offset:         48
        .size:           4
        .value_kind:     by_value
      - .offset:         52
        .size:           4
        .value_kind:     by_value
      - .offset:         56
        .size:           4
        .value_kind:     by_value
      - .offset:         60
        .size:           4
        .value_kind:     by_value
      - .offset:         64
        .size:           4
        .value_kind:     by_value
      - .offset:         68
        .size:           4
        .value_kind:     by_value
      - .offset:         72
        .size:           4
        .value_kind:     by_value
    .group_segment_fixed_size: 20160
    .kernarg_segment_align: 8
    .kernarg_segment_size: 76
    .language:       OpenCL C
    .language_version:
      - 2
      - 0
    .max_flat_workgroup_size: 256
    .name:           _ZL8moe_q8_0IN3c108BFloat16ELb0EEvPKvS3_PT_PKiS7_S7_iiiiiii
    .private_segment_fixed_size: 0
    .sgpr_count:     30
    .sgpr_spill_count: 0
    .symbol:         _ZL8moe_q8_0IN3c108BFloat16ELb0EEvPKvS3_PT_PKiS7_S7_iiiiiii.kd
    .uniform_work_group_size: 1
    .uses_dynamic_stack: false
    .vgpr_count:     149
    .vgpr_spill_count: 0
    .wavefront_size: 64
  - .agpr_count:     0
    .args:
      - .actual_access:  read_only
        .address_space:  global
        .offset:         0
        .size:           8
        .value_kind:     global_buffer
      - .actual_access:  read_only
        .address_space:  global
        .offset:         8
        .size:           8
        .value_kind:     global_buffer
      - .actual_access:  write_only
        .address_space:  global
        .offset:         16
        .size:           8
        .value_kind:     global_buffer
      - .address_space:  global
        .offset:         24
        .size:           8
        .value_kind:     global_buffer
      - .address_space:  global
        .offset:         32
        .size:           8
        .value_kind:     global_buffer
      - .address_space:  global
        .offset:         40
        .size:           8
        .value_kind:     global_buffer
      - .offset:         48
        .size:           4
        .value_kind:     by_value
      - .offset:         52
        .size:           4
        .value_kind:     by_value
      - .offset:         56
        .size:           4
        .value_kind:     by_value
      - .offset:         60
        .size:           4
        .value_kind:     by_value
      - .offset:         64
        .size:           4
        .value_kind:     by_value
      - .offset:         68
        .size:           4
        .value_kind:     by_value
      - .offset:         72
        .size:           4
        .value_kind:     by_value
    .group_segment_fixed_size: 20160
    .kernarg_segment_align: 8
    .kernarg_segment_size: 76
    .language:       OpenCL C
    .language_version:
      - 2
      - 0
    .max_flat_workgroup_size: 256
    .name:           _ZL8moe_q8_0IN3c108BFloat16ELb1EEvPKvS3_PT_PKiS7_S7_iiiiiii
    .private_segment_fixed_size: 0
    .sgpr_count:     30
    .sgpr_spill_count: 0
    .symbol:         _ZL8moe_q8_0IN3c108BFloat16ELb1EEvPKvS3_PT_PKiS7_S7_iiiiiii.kd
    .uniform_work_group_size: 1
    .uses_dynamic_stack: false
    .vgpr_count:     148
    .vgpr_spill_count: 0
    .wavefront_size: 64
  - .agpr_count:     0
    .args:
      - .actual_access:  read_only
        .address_space:  global
        .offset:         0
        .size:           8
        .value_kind:     global_buffer
      - .actual_access:  read_only
        .address_space:  global
        .offset:         8
        .size:           8
        .value_kind:     global_buffer
      - .actual_access:  write_only
        .address_space:  global
        .offset:         16
        .size:           8
        .value_kind:     global_buffer
      - .address_space:  global
        .offset:         24
        .size:           8
        .value_kind:     global_buffer
      - .address_space:  global
        .offset:         32
        .size:           8
        .value_kind:     global_buffer
      - .address_space:  global
        .offset:         40
        .size:           8
        .value_kind:     global_buffer
      - .offset:         48
        .size:           4
        .value_kind:     by_value
      - .offset:         52
        .size:           4
        .value_kind:     by_value
      - .offset:         56
        .size:           4
        .value_kind:     by_value
      - .offset:         60
        .size:           4
        .value_kind:     by_value
      - .offset:         64
        .size:           4
        .value_kind:     by_value
      - .offset:         68
        .size:           4
        .value_kind:     by_value
      - .offset:         72
        .size:           4
        .value_kind:     by_value
    .group_segment_fixed_size: 23328
    .kernarg_segment_align: 8
    .kernarg_segment_size: 76
    .language:       OpenCL C
    .language_version:
      - 2
      - 0
    .max_flat_workgroup_size: 256
    .name:           _ZL8moe_q2_KIN3c108BFloat16ELb0EEvPKvS3_PT_PKiS7_S7_iiiiiii
    .private_segment_fixed_size: 0
    .sgpr_count:     40
    .sgpr_spill_count: 0
    .symbol:         _ZL8moe_q2_KIN3c108BFloat16ELb0EEvPKvS3_PT_PKiS7_S7_iiiiiii.kd
    .uniform_work_group_size: 1
    .uses_dynamic_stack: false
    .vgpr_count:     172
    .vgpr_spill_count: 0
    .wavefront_size: 64
  - .agpr_count:     0
    .args:
      - .actual_access:  read_only
        .address_space:  global
        .offset:         0
        .size:           8
        .value_kind:     global_buffer
      - .actual_access:  read_only
        .address_space:  global
        .offset:         8
        .size:           8
        .value_kind:     global_buffer
      - .actual_access:  write_only
        .address_space:  global
        .offset:         16
        .size:           8
        .value_kind:     global_buffer
      - .address_space:  global
        .offset:         24
        .size:           8
        .value_kind:     global_buffer
      - .address_space:  global
        .offset:         32
        .size:           8
        .value_kind:     global_buffer
      - .address_space:  global
        .offset:         40
        .size:           8
        .value_kind:     global_buffer
      - .offset:         48
        .size:           4
        .value_kind:     by_value
      - .offset:         52
        .size:           4
        .value_kind:     by_value
      - .offset:         56
        .size:           4
        .value_kind:     by_value
      - .offset:         60
        .size:           4
        .value_kind:     by_value
      - .offset:         64
        .size:           4
        .value_kind:     by_value
      - .offset:         68
        .size:           4
        .value_kind:     by_value
      - .offset:         72
        .size:           4
        .value_kind:     by_value
    .group_segment_fixed_size: 23328
    .kernarg_segment_align: 8
    .kernarg_segment_size: 76
    .language:       OpenCL C
    .language_version:
      - 2
      - 0
    .max_flat_workgroup_size: 256
    .name:           _ZL8moe_q2_KIN3c108BFloat16ELb1EEvPKvS3_PT_PKiS7_S7_iiiiiii
    .private_segment_fixed_size: 0
    .sgpr_count:     40
    .sgpr_spill_count: 0
    .symbol:         _ZL8moe_q2_KIN3c108BFloat16ELb1EEvPKvS3_PT_PKiS7_S7_iiiiiii.kd
    .uniform_work_group_size: 1
    .uses_dynamic_stack: false
    .vgpr_count:     172
    .vgpr_spill_count: 0
    .wavefront_size: 64
  - .agpr_count:     0
    .args:
      - .actual_access:  read_only
        .address_space:  global
        .offset:         0
        .size:           8
        .value_kind:     global_buffer
      - .actual_access:  read_only
        .address_space:  global
        .offset:         8
        .size:           8
        .value_kind:     global_buffer
      - .actual_access:  write_only
        .address_space:  global
        .offset:         16
        .size:           8
        .value_kind:     global_buffer
      - .address_space:  global
        .offset:         24
        .size:           8
        .value_kind:     global_buffer
      - .address_space:  global
        .offset:         32
        .size:           8
        .value_kind:     global_buffer
      - .address_space:  global
        .offset:         40
        .size:           8
        .value_kind:     global_buffer
      - .offset:         48
        .size:           4
        .value_kind:     by_value
      - .offset:         52
        .size:           4
        .value_kind:     by_value
      - .offset:         56
        .size:           4
        .value_kind:     by_value
      - .offset:         60
        .size:           4
        .value_kind:     by_value
      - .offset:         64
        .size:           4
        .value_kind:     by_value
      - .offset:         68
        .size:           4
        .value_kind:     by_value
      - .offset:         72
        .size:           4
        .value_kind:     by_value
    .group_segment_fixed_size: 31776
    .kernarg_segment_align: 8
    .kernarg_segment_size: 76
    .language:       OpenCL C
    .language_version:
      - 2
      - 0
    .max_flat_workgroup_size: 256
    .name:           _ZL8moe_q3_KIN3c108BFloat16ELb0EEvPKvS3_PT_PKiS7_S7_iiiiiii
    .private_segment_fixed_size: 0
    .sgpr_count:     48
    .sgpr_spill_count: 0
    .symbol:         _ZL8moe_q3_KIN3c108BFloat16ELb0EEvPKvS3_PT_PKiS7_S7_iiiiiii.kd
    .uniform_work_group_size: 1
    .uses_dynamic_stack: false
    .vgpr_count:     153
    .vgpr_spill_count: 0
    .wavefront_size: 64
  - .agpr_count:     0
    .args:
      - .actual_access:  read_only
        .address_space:  global
        .offset:         0
        .size:           8
        .value_kind:     global_buffer
      - .actual_access:  read_only
        .address_space:  global
        .offset:         8
        .size:           8
        .value_kind:     global_buffer
      - .actual_access:  write_only
        .address_space:  global
        .offset:         16
        .size:           8
        .value_kind:     global_buffer
      - .address_space:  global
        .offset:         24
        .size:           8
        .value_kind:     global_buffer
      - .address_space:  global
        .offset:         32
        .size:           8
        .value_kind:     global_buffer
      - .address_space:  global
        .offset:         40
        .size:           8
        .value_kind:     global_buffer
      - .offset:         48
        .size:           4
        .value_kind:     by_value
      - .offset:         52
        .size:           4
        .value_kind:     by_value
      - .offset:         56
        .size:           4
        .value_kind:     by_value
      - .offset:         60
        .size:           4
        .value_kind:     by_value
      - .offset:         64
        .size:           4
        .value_kind:     by_value
      - .offset:         68
        .size:           4
        .value_kind:     by_value
      - .offset:         72
        .size:           4
        .value_kind:     by_value
    .group_segment_fixed_size: 31776
    .kernarg_segment_align: 8
    .kernarg_segment_size: 76
    .language:       OpenCL C
    .language_version:
      - 2
      - 0
    .max_flat_workgroup_size: 256
    .name:           _ZL8moe_q3_KIN3c108BFloat16ELb1EEvPKvS3_PT_PKiS7_S7_iiiiiii
    .private_segment_fixed_size: 0
    .sgpr_count:     48
    .sgpr_spill_count: 0
    .symbol:         _ZL8moe_q3_KIN3c108BFloat16ELb1EEvPKvS3_PT_PKiS7_S7_iiiiiii.kd
    .uniform_work_group_size: 1
    .uses_dynamic_stack: false
    .vgpr_count:     153
    .vgpr_spill_count: 0
    .wavefront_size: 64
  - .agpr_count:     0
    .args:
      - .actual_access:  read_only
        .address_space:  global
        .offset:         0
        .size:           8
        .value_kind:     global_buffer
      - .actual_access:  read_only
        .address_space:  global
        .offset:         8
        .size:           8
        .value_kind:     global_buffer
      - .actual_access:  write_only
        .address_space:  global
        .offset:         16
        .size:           8
        .value_kind:     global_buffer
      - .address_space:  global
        .offset:         24
        .size:           8
        .value_kind:     global_buffer
      - .address_space:  global
        .offset:         32
        .size:           8
        .value_kind:     global_buffer
      - .address_space:  global
        .offset:         40
        .size:           8
        .value_kind:     global_buffer
      - .offset:         48
        .size:           4
        .value_kind:     by_value
      - .offset:         52
        .size:           4
        .value_kind:     by_value
      - .offset:         56
        .size:           4
        .value_kind:     by_value
      - .offset:         60
        .size:           4
        .value_kind:     by_value
      - .offset:         64
        .size:           4
        .value_kind:     by_value
      - .offset:         68
        .size:           4
        .value_kind:     by_value
      - .offset:         72
        .size:           4
        .value_kind:     by_value
    .group_segment_fixed_size: 20688
    .kernarg_segment_align: 8
    .kernarg_segment_size: 76
    .language:       OpenCL C
    .language_version:
      - 2
      - 0
    .max_flat_workgroup_size: 256
    .name:           _ZL8moe_q4_KIN3c108BFloat16ELb0EEvPKvS3_PT_PKiS7_S7_iiiiiii
    .private_segment_fixed_size: 0
    .sgpr_count:     36
    .sgpr_spill_count: 0
    .symbol:         _ZL8moe_q4_KIN3c108BFloat16ELb0EEvPKvS3_PT_PKiS7_S7_iiiiiii.kd
    .uniform_work_group_size: 1
    .uses_dynamic_stack: false
    .vgpr_count:     154
    .vgpr_spill_count: 0
    .wavefront_size: 64
  - .agpr_count:     0
    .args:
      - .actual_access:  read_only
        .address_space:  global
        .offset:         0
        .size:           8
        .value_kind:     global_buffer
      - .actual_access:  read_only
        .address_space:  global
        .offset:         8
        .size:           8
        .value_kind:     global_buffer
      - .actual_access:  write_only
        .address_space:  global
        .offset:         16
        .size:           8
        .value_kind:     global_buffer
      - .address_space:  global
        .offset:         24
        .size:           8
        .value_kind:     global_buffer
      - .address_space:  global
        .offset:         32
        .size:           8
        .value_kind:     global_buffer
      - .address_space:  global
        .offset:         40
        .size:           8
        .value_kind:     global_buffer
      - .offset:         48
        .size:           4
        .value_kind:     by_value
      - .offset:         52
        .size:           4
        .value_kind:     by_value
      - .offset:         56
        .size:           4
        .value_kind:     by_value
      - .offset:         60
        .size:           4
        .value_kind:     by_value
      - .offset:         64
        .size:           4
        .value_kind:     by_value
      - .offset:         68
        .size:           4
        .value_kind:     by_value
      - .offset:         72
        .size:           4
        .value_kind:     by_value
    .group_segment_fixed_size: 20688
    .kernarg_segment_align: 8
    .kernarg_segment_size: 76
    .language:       OpenCL C
    .language_version:
      - 2
      - 0
    .max_flat_workgroup_size: 256
    .name:           _ZL8moe_q4_KIN3c108BFloat16ELb1EEvPKvS3_PT_PKiS7_S7_iiiiiii
    .private_segment_fixed_size: 0
    .sgpr_count:     38
    .sgpr_spill_count: 0
    .symbol:         _ZL8moe_q4_KIN3c108BFloat16ELb1EEvPKvS3_PT_PKiS7_S7_iiiiiii.kd
    .uniform_work_group_size: 1
    .uses_dynamic_stack: false
    .vgpr_count:     154
    .vgpr_spill_count: 0
    .wavefront_size: 64
  - .agpr_count:     0
    .args:
      - .actual_access:  read_only
        .address_space:  global
        .offset:         0
        .size:           8
        .value_kind:     global_buffer
      - .actual_access:  read_only
        .address_space:  global
        .offset:         8
        .size:           8
        .value_kind:     global_buffer
      - .actual_access:  write_only
        .address_space:  global
        .offset:         16
        .size:           8
        .value_kind:     global_buffer
      - .address_space:  global
        .offset:         24
        .size:           8
        .value_kind:     global_buffer
      - .address_space:  global
        .offset:         32
        .size:           8
        .value_kind:     global_buffer
      - .address_space:  global
        .offset:         40
        .size:           8
        .value_kind:     global_buffer
      - .offset:         48
        .size:           4
        .value_kind:     by_value
      - .offset:         52
        .size:           4
        .value_kind:     by_value
      - .offset:         56
        .size:           4
        .value_kind:     by_value
      - .offset:         60
        .size:           4
        .value_kind:     by_value
      - .offset:         64
        .size:           4
        .value_kind:     by_value
      - .offset:         68
        .size:           4
        .value_kind:     by_value
      - .offset:         72
        .size:           4
        .value_kind:     by_value
    .group_segment_fixed_size: 37072
    .kernarg_segment_align: 8
    .kernarg_segment_size: 76
    .language:       OpenCL C
    .language_version:
      - 2
      - 0
    .max_flat_workgroup_size: 256
    .name:           _ZL8moe_q5_KIN3c108BFloat16ELb0EEvPKvS3_PT_PKiS7_S7_iiiiiii
    .private_segment_fixed_size: 0
    .sgpr_count:     34
    .sgpr_spill_count: 0
    .symbol:         _ZL8moe_q5_KIN3c108BFloat16ELb0EEvPKvS3_PT_PKiS7_S7_iiiiiii.kd
    .uniform_work_group_size: 1
    .uses_dynamic_stack: false
    .vgpr_count:     191
    .vgpr_spill_count: 0
    .wavefront_size: 64
  - .agpr_count:     0
    .args:
      - .actual_access:  read_only
        .address_space:  global
        .offset:         0
        .size:           8
        .value_kind:     global_buffer
      - .actual_access:  read_only
        .address_space:  global
        .offset:         8
        .size:           8
        .value_kind:     global_buffer
      - .actual_access:  write_only
        .address_space:  global
        .offset:         16
        .size:           8
        .value_kind:     global_buffer
      - .address_space:  global
        .offset:         24
        .size:           8
        .value_kind:     global_buffer
      - .address_space:  global
        .offset:         32
        .size:           8
        .value_kind:     global_buffer
      - .address_space:  global
        .offset:         40
        .size:           8
        .value_kind:     global_buffer
      - .offset:         48
        .size:           4
        .value_kind:     by_value
      - .offset:         52
        .size:           4
        .value_kind:     by_value
      - .offset:         56
        .size:           4
        .value_kind:     by_value
      - .offset:         60
        .size:           4
        .value_kind:     by_value
      - .offset:         64
        .size:           4
        .value_kind:     by_value
      - .offset:         68
        .size:           4
        .value_kind:     by_value
      - .offset:         72
        .size:           4
        .value_kind:     by_value
    .group_segment_fixed_size: 37072
    .kernarg_segment_align: 8
    .kernarg_segment_size: 76
    .language:       OpenCL C
    .language_version:
      - 2
      - 0
    .max_flat_workgroup_size: 256
    .name:           _ZL8moe_q5_KIN3c108BFloat16ELb1EEvPKvS3_PT_PKiS7_S7_iiiiiii
    .private_segment_fixed_size: 0
    .sgpr_count:     36
    .sgpr_spill_count: 0
    .symbol:         _ZL8moe_q5_KIN3c108BFloat16ELb1EEvPKvS3_PT_PKiS7_S7_iiiiiii.kd
    .uniform_work_group_size: 1
    .uses_dynamic_stack: false
    .vgpr_count:     191
    .vgpr_spill_count: 0
    .wavefront_size: 64
  - .agpr_count:     0
    .args:
      - .actual_access:  read_only
        .address_space:  global
        .offset:         0
        .size:           8
        .value_kind:     global_buffer
      - .actual_access:  read_only
        .address_space:  global
        .offset:         8
        .size:           8
        .value_kind:     global_buffer
      - .actual_access:  write_only
        .address_space:  global
        .offset:         16
        .size:           8
        .value_kind:     global_buffer
      - .address_space:  global
        .offset:         24
        .size:           8
        .value_kind:     global_buffer
      - .address_space:  global
        .offset:         32
        .size:           8
        .value_kind:     global_buffer
      - .address_space:  global
        .offset:         40
        .size:           8
        .value_kind:     global_buffer
      - .offset:         48
        .size:           4
        .value_kind:     by_value
      - .offset:         52
        .size:           4
        .value_kind:     by_value
      - .offset:         56
        .size:           4
        .value_kind:     by_value
      - .offset:         60
        .size:           4
        .value_kind:     by_value
      - .offset:         64
        .size:           4
        .value_kind:     by_value
      - .offset:         68
        .size:           4
        .value_kind:     by_value
      - .offset:         72
        .size:           4
        .value_kind:     by_value
    .group_segment_fixed_size: 37072
    .kernarg_segment_align: 8
    .kernarg_segment_size: 76
    .language:       OpenCL C
    .language_version:
      - 2
      - 0
    .max_flat_workgroup_size: 256
    .name:           _ZL8moe_q6_KIN3c108BFloat16ELb0EEvPKvS3_PT_PKiS7_S7_iiiiiii
    .private_segment_fixed_size: 0
    .sgpr_count:     35
    .sgpr_spill_count: 0
    .symbol:         _ZL8moe_q6_KIN3c108BFloat16ELb0EEvPKvS3_PT_PKiS7_S7_iiiiiii.kd
    .uniform_work_group_size: 1
    .uses_dynamic_stack: false
    .vgpr_count:     167
    .vgpr_spill_count: 0
    .wavefront_size: 64
  - .agpr_count:     0
    .args:
      - .actual_access:  read_only
        .address_space:  global
        .offset:         0
        .size:           8
        .value_kind:     global_buffer
      - .actual_access:  read_only
        .address_space:  global
        .offset:         8
        .size:           8
        .value_kind:     global_buffer
      - .actual_access:  write_only
        .address_space:  global
        .offset:         16
        .size:           8
        .value_kind:     global_buffer
      - .address_space:  global
        .offset:         24
        .size:           8
        .value_kind:     global_buffer
      - .address_space:  global
        .offset:         32
        .size:           8
        .value_kind:     global_buffer
      - .address_space:  global
        .offset:         40
        .size:           8
        .value_kind:     global_buffer
      - .offset:         48
        .size:           4
        .value_kind:     by_value
      - .offset:         52
        .size:           4
        .value_kind:     by_value
      - .offset:         56
        .size:           4
        .value_kind:     by_value
      - .offset:         60
        .size:           4
        .value_kind:     by_value
      - .offset:         64
        .size:           4
        .value_kind:     by_value
      - .offset:         68
        .size:           4
        .value_kind:     by_value
      - .offset:         72
        .size:           4
        .value_kind:     by_value
    .group_segment_fixed_size: 37072
    .kernarg_segment_align: 8
    .kernarg_segment_size: 76
    .language:       OpenCL C
    .language_version:
      - 2
      - 0
    .max_flat_workgroup_size: 256
    .name:           _ZL8moe_q6_KIN3c108BFloat16ELb1EEvPKvS3_PT_PKiS7_S7_iiiiiii
    .private_segment_fixed_size: 0
    .sgpr_count:     36
    .sgpr_spill_count: 0
    .symbol:         _ZL8moe_q6_KIN3c108BFloat16ELb1EEvPKvS3_PT_PKiS7_S7_iiiiiii.kd
    .uniform_work_group_size: 1
    .uses_dynamic_stack: false
    .vgpr_count:     167
    .vgpr_spill_count: 0
    .wavefront_size: 64
  - .agpr_count:     0
    .args:
      - .actual_access:  read_only
        .address_space:  global
        .offset:         0
        .size:           8
        .value_kind:     global_buffer
      - .actual_access:  read_only
        .address_space:  global
        .offset:         8
        .size:           8
        .value_kind:     global_buffer
      - .actual_access:  write_only
        .address_space:  global
        .offset:         16
        .size:           8
        .value_kind:     global_buffer
      - .address_space:  global
        .offset:         24
        .size:           8
        .value_kind:     global_buffer
      - .offset:         32
        .size:           4
        .value_kind:     by_value
      - .offset:         36
        .size:           4
        .value_kind:     by_value
      - .offset:         40
        .size:           4
        .value_kind:     by_value
      - .offset:         44
        .size:           4
        .value_kind:     by_value
      - .offset:         48
        .size:           4
        .value_kind:     hidden_block_count_x
      - .offset:         52
        .size:           4
        .value_kind:     hidden_block_count_y
      - .offset:         56
        .size:           4
        .value_kind:     hidden_block_count_z
      - .offset:         60
        .size:           2
        .value_kind:     hidden_group_size_x
      - .offset:         62
        .size:           2
        .value_kind:     hidden_group_size_y
      - .offset:         64
        .size:           2
        .value_kind:     hidden_group_size_z
      - .offset:         66
        .size:           2
        .value_kind:     hidden_remainder_x
      - .offset:         68
        .size:           2
        .value_kind:     hidden_remainder_y
      - .offset:         70
        .size:           2
        .value_kind:     hidden_remainder_z
      - .offset:         88
        .size:           8
        .value_kind:     hidden_global_offset_x
      - .offset:         96
        .size:           8
        .value_kind:     hidden_global_offset_y
      - .offset:         104
        .size:           8
        .value_kind:     hidden_global_offset_z
      - .offset:         112
        .size:           2
        .value_kind:     hidden_grid_dims
    .group_segment_fixed_size: 0
    .kernarg_segment_align: 8
    .kernarg_segment_size: 304
    .language:       OpenCL C
    .language_version:
      - 2
      - 0
    .max_flat_workgroup_size: 1024
    .name:           _ZL9moe_vec_qIfLi32ELi4E10block_q4_0Li2EXadL_ZL17vec_dot_q4_0_q8_1PKvPK10block_q8_1RKiEEEvS2_S2_PT_PS6_iiii
    .private_segment_fixed_size: 0
    .sgpr_count:     26
    .sgpr_spill_count: 0
    .symbol:         _ZL9moe_vec_qIfLi32ELi4E10block_q4_0Li2EXadL_ZL17vec_dot_q4_0_q8_1PKvPK10block_q8_1RKiEEEvS2_S2_PT_PS6_iiii.kd
    .uniform_work_group_size: 1
    .uses_dynamic_stack: false
    .vgpr_count:     24
    .vgpr_spill_count: 0
    .wavefront_size: 64
  - .agpr_count:     0
    .args:
      - .actual_access:  read_only
        .address_space:  global
        .offset:         0
        .size:           8
        .value_kind:     global_buffer
      - .actual_access:  read_only
        .address_space:  global
        .offset:         8
        .size:           8
        .value_kind:     global_buffer
      - .actual_access:  write_only
        .address_space:  global
        .offset:         16
        .size:           8
        .value_kind:     global_buffer
      - .address_space:  global
        .offset:         24
        .size:           8
        .value_kind:     global_buffer
      - .offset:         32
        .size:           4
        .value_kind:     by_value
      - .offset:         36
        .size:           4
        .value_kind:     by_value
      - .offset:         40
        .size:           4
        .value_kind:     by_value
      - .offset:         44
        .size:           4
        .value_kind:     by_value
      - .offset:         48
        .size:           4
        .value_kind:     hidden_block_count_x
      - .offset:         52
        .size:           4
        .value_kind:     hidden_block_count_y
      - .offset:         56
        .size:           4
        .value_kind:     hidden_block_count_z
      - .offset:         60
        .size:           2
        .value_kind:     hidden_group_size_x
      - .offset:         62
        .size:           2
        .value_kind:     hidden_group_size_y
      - .offset:         64
        .size:           2
        .value_kind:     hidden_group_size_z
      - .offset:         66
        .size:           2
        .value_kind:     hidden_remainder_x
      - .offset:         68
        .size:           2
        .value_kind:     hidden_remainder_y
      - .offset:         70
        .size:           2
        .value_kind:     hidden_remainder_z
      - .offset:         88
        .size:           8
        .value_kind:     hidden_global_offset_x
      - .offset:         96
        .size:           8
        .value_kind:     hidden_global_offset_y
      - .offset:         104
        .size:           8
        .value_kind:     hidden_global_offset_z
      - .offset:         112
        .size:           2
        .value_kind:     hidden_grid_dims
    .group_segment_fixed_size: 0
    .kernarg_segment_align: 8
    .kernarg_segment_size: 304
    .language:       OpenCL C
    .language_version:
      - 2
      - 0
    .max_flat_workgroup_size: 1024
    .name:           _ZL9moe_vec_qIfLi32ELi4E10block_q4_1Li2EXadL_ZL17vec_dot_q4_1_q8_1PKvPK10block_q8_1RKiEEEvS2_S2_PT_PS6_iiii
    .private_segment_fixed_size: 0
    .sgpr_count:     26
    .sgpr_spill_count: 0
    .symbol:         _ZL9moe_vec_qIfLi32ELi4E10block_q4_1Li2EXadL_ZL17vec_dot_q4_1_q8_1PKvPK10block_q8_1RKiEEEvS2_S2_PT_PS6_iiii.kd
    .uniform_work_group_size: 1
    .uses_dynamic_stack: false
    .vgpr_count:     21
    .vgpr_spill_count: 0
    .wavefront_size: 64
  - .agpr_count:     0
    .args:
      - .actual_access:  read_only
        .address_space:  global
        .offset:         0
        .size:           8
        .value_kind:     global_buffer
      - .actual_access:  read_only
        .address_space:  global
        .offset:         8
        .size:           8
        .value_kind:     global_buffer
      - .actual_access:  write_only
        .address_space:  global
        .offset:         16
        .size:           8
        .value_kind:     global_buffer
      - .address_space:  global
        .offset:         24
        .size:           8
        .value_kind:     global_buffer
      - .offset:         32
        .size:           4
        .value_kind:     by_value
      - .offset:         36
        .size:           4
        .value_kind:     by_value
      - .offset:         40
        .size:           4
        .value_kind:     by_value
      - .offset:         44
        .size:           4
        .value_kind:     by_value
      - .offset:         48
        .size:           4
        .value_kind:     hidden_block_count_x
      - .offset:         52
        .size:           4
        .value_kind:     hidden_block_count_y
      - .offset:         56
        .size:           4
        .value_kind:     hidden_block_count_z
      - .offset:         60
        .size:           2
        .value_kind:     hidden_group_size_x
      - .offset:         62
        .size:           2
        .value_kind:     hidden_group_size_y
      - .offset:         64
        .size:           2
        .value_kind:     hidden_group_size_z
      - .offset:         66
        .size:           2
        .value_kind:     hidden_remainder_x
      - .offset:         68
        .size:           2
        .value_kind:     hidden_remainder_y
      - .offset:         70
        .size:           2
        .value_kind:     hidden_remainder_z
      - .offset:         88
        .size:           8
        .value_kind:     hidden_global_offset_x
      - .offset:         96
        .size:           8
        .value_kind:     hidden_global_offset_y
      - .offset:         104
        .size:           8
        .value_kind:     hidden_global_offset_z
      - .offset:         112
        .size:           2
        .value_kind:     hidden_grid_dims
    .group_segment_fixed_size: 0
    .kernarg_segment_align: 8
    .kernarg_segment_size: 304
    .language:       OpenCL C
    .language_version:
      - 2
      - 0
    .max_flat_workgroup_size: 1024
    .name:           _ZL9moe_vec_qIfLi32ELi4E10block_q5_0Li2EXadL_ZL17vec_dot_q5_0_q8_1PKvPK10block_q8_1RKiEEEvS2_S2_PT_PS6_iiii
    .private_segment_fixed_size: 0
    .sgpr_count:     26
    .sgpr_spill_count: 0
    .symbol:         _ZL9moe_vec_qIfLi32ELi4E10block_q5_0Li2EXadL_ZL17vec_dot_q5_0_q8_1PKvPK10block_q8_1RKiEEEvS2_S2_PT_PS6_iiii.kd
    .uniform_work_group_size: 1
    .uses_dynamic_stack: false
    .vgpr_count:     37
    .vgpr_spill_count: 0
    .wavefront_size: 64
  - .agpr_count:     0
    .args:
      - .actual_access:  read_only
        .address_space:  global
        .offset:         0
        .size:           8
        .value_kind:     global_buffer
      - .actual_access:  read_only
        .address_space:  global
        .offset:         8
        .size:           8
        .value_kind:     global_buffer
      - .actual_access:  write_only
        .address_space:  global
        .offset:         16
        .size:           8
        .value_kind:     global_buffer
      - .address_space:  global
        .offset:         24
        .size:           8
        .value_kind:     global_buffer
      - .offset:         32
        .size:           4
        .value_kind:     by_value
      - .offset:         36
        .size:           4
        .value_kind:     by_value
      - .offset:         40
        .size:           4
        .value_kind:     by_value
      - .offset:         44
        .size:           4
        .value_kind:     by_value
      - .offset:         48
        .size:           4
        .value_kind:     hidden_block_count_x
      - .offset:         52
        .size:           4
        .value_kind:     hidden_block_count_y
      - .offset:         56
        .size:           4
        .value_kind:     hidden_block_count_z
      - .offset:         60
        .size:           2
        .value_kind:     hidden_group_size_x
      - .offset:         62
        .size:           2
        .value_kind:     hidden_group_size_y
      - .offset:         64
        .size:           2
        .value_kind:     hidden_group_size_z
      - .offset:         66
        .size:           2
        .value_kind:     hidden_remainder_x
      - .offset:         68
        .size:           2
        .value_kind:     hidden_remainder_y
      - .offset:         70
        .size:           2
        .value_kind:     hidden_remainder_z
      - .offset:         88
        .size:           8
        .value_kind:     hidden_global_offset_x
      - .offset:         96
        .size:           8
        .value_kind:     hidden_global_offset_y
      - .offset:         104
        .size:           8
        .value_kind:     hidden_global_offset_z
      - .offset:         112
        .size:           2
        .value_kind:     hidden_grid_dims
    .group_segment_fixed_size: 0
    .kernarg_segment_align: 8
    .kernarg_segment_size: 304
    .language:       OpenCL C
    .language_version:
      - 2
      - 0
    .max_flat_workgroup_size: 1024
    .name:           _ZL9moe_vec_qIfLi32ELi4E10block_q5_1Li2EXadL_ZL17vec_dot_q5_1_q8_1PKvPK10block_q8_1RKiEEEvS2_S2_PT_PS6_iiii
    .private_segment_fixed_size: 0
    .sgpr_count:     26
    .sgpr_spill_count: 0
    .symbol:         _ZL9moe_vec_qIfLi32ELi4E10block_q5_1Li2EXadL_ZL17vec_dot_q5_1_q8_1PKvPK10block_q8_1RKiEEEvS2_S2_PT_PS6_iiii.kd
    .uniform_work_group_size: 1
    .uses_dynamic_stack: false
    .vgpr_count:     35
    .vgpr_spill_count: 0
    .wavefront_size: 64
  - .agpr_count:     0
    .args:
      - .actual_access:  read_only
        .address_space:  global
        .offset:         0
        .size:           8
        .value_kind:     global_buffer
      - .actual_access:  read_only
        .address_space:  global
        .offset:         8
        .size:           8
        .value_kind:     global_buffer
      - .actual_access:  write_only
        .address_space:  global
        .offset:         16
        .size:           8
        .value_kind:     global_buffer
      - .address_space:  global
        .offset:         24
        .size:           8
        .value_kind:     global_buffer
      - .offset:         32
        .size:           4
        .value_kind:     by_value
      - .offset:         36
        .size:           4
        .value_kind:     by_value
      - .offset:         40
        .size:           4
        .value_kind:     by_value
      - .offset:         44
        .size:           4
        .value_kind:     by_value
      - .offset:         48
        .size:           4
        .value_kind:     hidden_block_count_x
      - .offset:         52
        .size:           4
        .value_kind:     hidden_block_count_y
      - .offset:         56
        .size:           4
        .value_kind:     hidden_block_count_z
      - .offset:         60
        .size:           2
        .value_kind:     hidden_group_size_x
      - .offset:         62
        .size:           2
        .value_kind:     hidden_group_size_y
      - .offset:         64
        .size:           2
        .value_kind:     hidden_group_size_z
      - .offset:         66
        .size:           2
        .value_kind:     hidden_remainder_x
      - .offset:         68
        .size:           2
        .value_kind:     hidden_remainder_y
      - .offset:         70
        .size:           2
        .value_kind:     hidden_remainder_z
      - .offset:         88
        .size:           8
        .value_kind:     hidden_global_offset_x
      - .offset:         96
        .size:           8
        .value_kind:     hidden_global_offset_y
      - .offset:         104
        .size:           8
        .value_kind:     hidden_global_offset_z
      - .offset:         112
        .size:           2
        .value_kind:     hidden_grid_dims
    .group_segment_fixed_size: 0
    .kernarg_segment_align: 8
    .kernarg_segment_size: 304
    .language:       OpenCL C
    .language_version:
      - 2
      - 0
    .max_flat_workgroup_size: 1024
    .name:           _ZL9moe_vec_qIfLi32ELi8E10block_q8_0Li2EXadL_ZL17vec_dot_q8_0_q8_1PKvPK10block_q8_1RKiEEEvS2_S2_PT_PS6_iiii
    .private_segment_fixed_size: 0
    .sgpr_count:     26
    .sgpr_spill_count: 0
    .symbol:         _ZL9moe_vec_qIfLi32ELi8E10block_q8_0Li2EXadL_ZL17vec_dot_q8_0_q8_1PKvPK10block_q8_1RKiEEEvS2_S2_PT_PS6_iiii.kd
    .uniform_work_group_size: 1
    .uses_dynamic_stack: false
    .vgpr_count:     19
    .vgpr_spill_count: 0
    .wavefront_size: 64
  - .agpr_count:     0
    .args:
      - .actual_access:  read_only
        .address_space:  global
        .offset:         0
        .size:           8
        .value_kind:     global_buffer
      - .actual_access:  read_only
        .address_space:  global
        .offset:         8
        .size:           8
        .value_kind:     global_buffer
      - .actual_access:  write_only
        .address_space:  global
        .offset:         16
        .size:           8
        .value_kind:     global_buffer
      - .address_space:  global
        .offset:         24
        .size:           8
        .value_kind:     global_buffer
      - .offset:         32
        .size:           4
        .value_kind:     by_value
      - .offset:         36
        .size:           4
        .value_kind:     by_value
      - .offset:         40
        .size:           4
        .value_kind:     by_value
      - .offset:         44
        .size:           4
        .value_kind:     by_value
      - .offset:         48
        .size:           4
        .value_kind:     hidden_block_count_x
      - .offset:         52
        .size:           4
        .value_kind:     hidden_block_count_y
      - .offset:         56
        .size:           4
        .value_kind:     hidden_block_count_z
      - .offset:         60
        .size:           2
        .value_kind:     hidden_group_size_x
      - .offset:         62
        .size:           2
        .value_kind:     hidden_group_size_y
      - .offset:         64
        .size:           2
        .value_kind:     hidden_group_size_z
      - .offset:         66
        .size:           2
        .value_kind:     hidden_remainder_x
      - .offset:         68
        .size:           2
        .value_kind:     hidden_remainder_y
      - .offset:         70
        .size:           2
        .value_kind:     hidden_remainder_z
      - .offset:         88
        .size:           8
        .value_kind:     hidden_global_offset_x
      - .offset:         96
        .size:           8
        .value_kind:     hidden_global_offset_y
      - .offset:         104
        .size:           8
        .value_kind:     hidden_global_offset_z
      - .offset:         112
        .size:           2
        .value_kind:     hidden_grid_dims
    .group_segment_fixed_size: 0
    .kernarg_segment_align: 8
    .kernarg_segment_size: 304
    .language:       OpenCL C
    .language_version:
      - 2
      - 0
    .max_flat_workgroup_size: 1024
    .name:           _ZL9moe_vec_qIfLi256ELi16E10block_q2_KLi1EXadL_ZL17vec_dot_q2_K_q8_1PKvPK10block_q8_1RKiEEEvS2_S2_PT_PS6_iiii
    .private_segment_fixed_size: 0
    .sgpr_count:     26
    .sgpr_spill_count: 0
    .symbol:         _ZL9moe_vec_qIfLi256ELi16E10block_q2_KLi1EXadL_ZL17vec_dot_q2_K_q8_1PKvPK10block_q8_1RKiEEEvS2_S2_PT_PS6_iiii.kd
    .uniform_work_group_size: 1
    .uses_dynamic_stack: false
    .vgpr_count:     47
    .vgpr_spill_count: 0
    .wavefront_size: 64
  - .agpr_count:     0
    .args:
      - .actual_access:  read_only
        .address_space:  global
        .offset:         0
        .size:           8
        .value_kind:     global_buffer
      - .actual_access:  read_only
        .address_space:  global
        .offset:         8
        .size:           8
        .value_kind:     global_buffer
      - .actual_access:  write_only
        .address_space:  global
        .offset:         16
        .size:           8
        .value_kind:     global_buffer
      - .address_space:  global
        .offset:         24
        .size:           8
        .value_kind:     global_buffer
      - .offset:         32
        .size:           4
        .value_kind:     by_value
      - .offset:         36
        .size:           4
        .value_kind:     by_value
      - .offset:         40
        .size:           4
        .value_kind:     by_value
      - .offset:         44
        .size:           4
        .value_kind:     by_value
      - .offset:         48
        .size:           4
        .value_kind:     hidden_block_count_x
      - .offset:         52
        .size:           4
        .value_kind:     hidden_block_count_y
      - .offset:         56
        .size:           4
        .value_kind:     hidden_block_count_z
      - .offset:         60
        .size:           2
        .value_kind:     hidden_group_size_x
      - .offset:         62
        .size:           2
        .value_kind:     hidden_group_size_y
      - .offset:         64
        .size:           2
        .value_kind:     hidden_group_size_z
      - .offset:         66
        .size:           2
        .value_kind:     hidden_remainder_x
      - .offset:         68
        .size:           2
        .value_kind:     hidden_remainder_y
      - .offset:         70
        .size:           2
        .value_kind:     hidden_remainder_z
      - .offset:         88
        .size:           8
        .value_kind:     hidden_global_offset_x
      - .offset:         96
        .size:           8
        .value_kind:     hidden_global_offset_y
      - .offset:         104
        .size:           8
        .value_kind:     hidden_global_offset_z
      - .offset:         112
        .size:           2
        .value_kind:     hidden_grid_dims
    .group_segment_fixed_size: 0
    .kernarg_segment_align: 8
    .kernarg_segment_size: 304
    .language:       OpenCL C
    .language_version:
      - 2
      - 0
    .max_flat_workgroup_size: 1024
    .name:           _ZL9moe_vec_qIfLi256ELi16E10block_q3_KLi1EXadL_ZL17vec_dot_q3_K_q8_1PKvPK10block_q8_1RKiEEEvS2_S2_PT_PS6_iiii
    .private_segment_fixed_size: 0
    .sgpr_count:     26
    .sgpr_spill_count: 0
    .symbol:         _ZL9moe_vec_qIfLi256ELi16E10block_q3_KLi1EXadL_ZL17vec_dot_q3_K_q8_1PKvPK10block_q8_1RKiEEEvS2_S2_PT_PS6_iiii.kd
    .uniform_work_group_size: 1
    .uses_dynamic_stack: false
    .vgpr_count:     62
    .vgpr_spill_count: 0
    .wavefront_size: 64
  - .agpr_count:     0
    .args:
      - .actual_access:  read_only
        .address_space:  global
        .offset:         0
        .size:           8
        .value_kind:     global_buffer
      - .actual_access:  read_only
        .address_space:  global
        .offset:         8
        .size:           8
        .value_kind:     global_buffer
      - .actual_access:  write_only
        .address_space:  global
        .offset:         16
        .size:           8
        .value_kind:     global_buffer
      - .address_space:  global
        .offset:         24
        .size:           8
        .value_kind:     global_buffer
      - .offset:         32
        .size:           4
        .value_kind:     by_value
      - .offset:         36
        .size:           4
        .value_kind:     by_value
      - .offset:         40
        .size:           4
        .value_kind:     by_value
      - .offset:         44
        .size:           4
        .value_kind:     by_value
      - .offset:         48
        .size:           4
        .value_kind:     hidden_block_count_x
      - .offset:         52
        .size:           4
        .value_kind:     hidden_block_count_y
      - .offset:         56
        .size:           4
        .value_kind:     hidden_block_count_z
      - .offset:         60
        .size:           2
        .value_kind:     hidden_group_size_x
      - .offset:         62
        .size:           2
        .value_kind:     hidden_group_size_y
      - .offset:         64
        .size:           2
        .value_kind:     hidden_group_size_z
      - .offset:         66
        .size:           2
        .value_kind:     hidden_remainder_x
      - .offset:         68
        .size:           2
        .value_kind:     hidden_remainder_y
      - .offset:         70
        .size:           2
        .value_kind:     hidden_remainder_z
      - .offset:         88
        .size:           8
        .value_kind:     hidden_global_offset_x
      - .offset:         96
        .size:           8
        .value_kind:     hidden_global_offset_y
      - .offset:         104
        .size:           8
        .value_kind:     hidden_global_offset_z
      - .offset:         112
        .size:           2
        .value_kind:     hidden_grid_dims
    .group_segment_fixed_size: 0
    .kernarg_segment_align: 8
    .kernarg_segment_size: 304
    .language:       OpenCL C
    .language_version:
      - 2
      - 0
    .max_flat_workgroup_size: 1024
    .name:           _ZL9moe_vec_qIfLi256ELi32E10block_q4_KLi2EXadL_ZL17vec_dot_q4_K_q8_1PKvPK10block_q8_1RKiEEEvS2_S2_PT_PS6_iiii
    .private_segment_fixed_size: 0
    .sgpr_count:     26
    .sgpr_spill_count: 0
    .symbol:         _ZL9moe_vec_qIfLi256ELi32E10block_q4_KLi2EXadL_ZL17vec_dot_q4_K_q8_1PKvPK10block_q8_1RKiEEEvS2_S2_PT_PS6_iiii.kd
    .uniform_work_group_size: 1
    .uses_dynamic_stack: false
    .vgpr_count:     40
    .vgpr_spill_count: 0
    .wavefront_size: 64
  - .agpr_count:     0
    .args:
      - .actual_access:  read_only
        .address_space:  global
        .offset:         0
        .size:           8
        .value_kind:     global_buffer
      - .actual_access:  read_only
        .address_space:  global
        .offset:         8
        .size:           8
        .value_kind:     global_buffer
      - .actual_access:  write_only
        .address_space:  global
        .offset:         16
        .size:           8
        .value_kind:     global_buffer
      - .address_space:  global
        .offset:         24
        .size:           8
        .value_kind:     global_buffer
      - .offset:         32
        .size:           4
        .value_kind:     by_value
      - .offset:         36
        .size:           4
        .value_kind:     by_value
      - .offset:         40
        .size:           4
        .value_kind:     by_value
      - .offset:         44
        .size:           4
        .value_kind:     by_value
      - .offset:         48
        .size:           4
        .value_kind:     hidden_block_count_x
      - .offset:         52
        .size:           4
        .value_kind:     hidden_block_count_y
      - .offset:         56
        .size:           4
        .value_kind:     hidden_block_count_z
      - .offset:         60
        .size:           2
        .value_kind:     hidden_group_size_x
      - .offset:         62
        .size:           2
        .value_kind:     hidden_group_size_y
      - .offset:         64
        .size:           2
        .value_kind:     hidden_group_size_z
      - .offset:         66
        .size:           2
        .value_kind:     hidden_remainder_x
      - .offset:         68
        .size:           2
        .value_kind:     hidden_remainder_y
      - .offset:         70
        .size:           2
        .value_kind:     hidden_remainder_z
      - .offset:         88
        .size:           8
        .value_kind:     hidden_global_offset_x
      - .offset:         96
        .size:           8
        .value_kind:     hidden_global_offset_y
      - .offset:         104
        .size:           8
        .value_kind:     hidden_global_offset_z
      - .offset:         112
        .size:           2
        .value_kind:     hidden_grid_dims
    .group_segment_fixed_size: 0
    .kernarg_segment_align: 8
    .kernarg_segment_size: 304
    .language:       OpenCL C
    .language_version:
      - 2
      - 0
    .max_flat_workgroup_size: 1024
    .name:           _ZL9moe_vec_qIfLi256ELi32E10block_q5_KLi2EXadL_ZL17vec_dot_q5_K_q8_1PKvPK10block_q8_1RKiEEEvS2_S2_PT_PS6_iiii
    .private_segment_fixed_size: 0
    .sgpr_count:     26
    .sgpr_spill_count: 0
    .symbol:         _ZL9moe_vec_qIfLi256ELi32E10block_q5_KLi2EXadL_ZL17vec_dot_q5_K_q8_1PKvPK10block_q8_1RKiEEEvS2_S2_PT_PS6_iiii.kd
    .uniform_work_group_size: 1
    .uses_dynamic_stack: false
    .vgpr_count:     42
    .vgpr_spill_count: 0
    .wavefront_size: 64
  - .agpr_count:     0
    .args:
      - .actual_access:  read_only
        .address_space:  global
        .offset:         0
        .size:           8
        .value_kind:     global_buffer
      - .actual_access:  read_only
        .address_space:  global
        .offset:         8
        .size:           8
        .value_kind:     global_buffer
      - .actual_access:  write_only
        .address_space:  global
        .offset:         16
        .size:           8
        .value_kind:     global_buffer
      - .address_space:  global
        .offset:         24
        .size:           8
        .value_kind:     global_buffer
      - .offset:         32
        .size:           4
        .value_kind:     by_value
      - .offset:         36
        .size:           4
        .value_kind:     by_value
      - .offset:         40
        .size:           4
        .value_kind:     by_value
      - .offset:         44
        .size:           4
        .value_kind:     by_value
      - .offset:         48
        .size:           4
        .value_kind:     hidden_block_count_x
      - .offset:         52
        .size:           4
        .value_kind:     hidden_block_count_y
      - .offset:         56
        .size:           4
        .value_kind:     hidden_block_count_z
      - .offset:         60
        .size:           2
        .value_kind:     hidden_group_size_x
      - .offset:         62
        .size:           2
        .value_kind:     hidden_group_size_y
      - .offset:         64
        .size:           2
        .value_kind:     hidden_group_size_z
      - .offset:         66
        .size:           2
        .value_kind:     hidden_remainder_x
      - .offset:         68
        .size:           2
        .value_kind:     hidden_remainder_y
      - .offset:         70
        .size:           2
        .value_kind:     hidden_remainder_z
      - .offset:         88
        .size:           8
        .value_kind:     hidden_global_offset_x
      - .offset:         96
        .size:           8
        .value_kind:     hidden_global_offset_y
      - .offset:         104
        .size:           8
        .value_kind:     hidden_global_offset_z
      - .offset:         112
        .size:           2
        .value_kind:     hidden_grid_dims
    .group_segment_fixed_size: 0
    .kernarg_segment_align: 8
    .kernarg_segment_size: 304
    .language:       OpenCL C
    .language_version:
      - 2
      - 0
    .max_flat_workgroup_size: 1024
    .name:           _ZL9moe_vec_qIfLi256ELi32E10block_q6_KLi1EXadL_ZL17vec_dot_q6_K_q8_1PKvPK10block_q8_1RKiEEEvS2_S2_PT_PS6_iiii
    .private_segment_fixed_size: 0
    .sgpr_count:     26
    .sgpr_spill_count: 0
    .symbol:         _ZL9moe_vec_qIfLi256ELi32E10block_q6_KLi1EXadL_ZL17vec_dot_q6_K_q8_1PKvPK10block_q8_1RKiEEEvS2_S2_PT_PS6_iiii.kd
    .uniform_work_group_size: 1
    .uses_dynamic_stack: false
    .vgpr_count:     37
    .vgpr_spill_count: 0
    .wavefront_size: 64
  - .agpr_count:     0
    .args:
      - .actual_access:  read_only
        .address_space:  global
        .offset:         0
        .size:           8
        .value_kind:     global_buffer
      - .actual_access:  read_only
        .address_space:  global
        .offset:         8
        .size:           8
        .value_kind:     global_buffer
      - .actual_access:  write_only
        .address_space:  global
        .offset:         16
        .size:           8
        .value_kind:     global_buffer
      - .address_space:  global
        .offset:         24
        .size:           8
        .value_kind:     global_buffer
      - .offset:         32
        .size:           4
        .value_kind:     by_value
      - .offset:         36
        .size:           4
        .value_kind:     by_value
      - .offset:         40
        .size:           4
        .value_kind:     by_value
      - .offset:         44
        .size:           4
        .value_kind:     by_value
      - .offset:         48
        .size:           4
        .value_kind:     hidden_block_count_x
      - .offset:         52
        .size:           4
        .value_kind:     hidden_block_count_y
      - .offset:         56
        .size:           4
        .value_kind:     hidden_block_count_z
      - .offset:         60
        .size:           2
        .value_kind:     hidden_group_size_x
      - .offset:         62
        .size:           2
        .value_kind:     hidden_group_size_y
      - .offset:         64
        .size:           2
        .value_kind:     hidden_group_size_z
      - .offset:         66
        .size:           2
        .value_kind:     hidden_remainder_x
      - .offset:         68
        .size:           2
        .value_kind:     hidden_remainder_y
      - .offset:         70
        .size:           2
        .value_kind:     hidden_remainder_z
      - .offset:         88
        .size:           8
        .value_kind:     hidden_global_offset_x
      - .offset:         96
        .size:           8
        .value_kind:     hidden_global_offset_y
      - .offset:         104
        .size:           8
        .value_kind:     hidden_global_offset_z
      - .offset:         112
        .size:           2
        .value_kind:     hidden_grid_dims
    .group_segment_fixed_size: 0
    .kernarg_segment_align: 8
    .kernarg_segment_size: 304
    .language:       OpenCL C
    .language_version:
      - 2
      - 0
    .max_flat_workgroup_size: 1024
    .name:           _ZL9moe_vec_qIfLi256ELi8E13block_iq2_xxsLi1EXadL_ZL20vec_dot_iq2_xxs_q8_1PKvPK10block_q8_1RKiEEEvS2_S2_PT_PS6_iiii
    .private_segment_fixed_size: 0
    .sgpr_count:     67
    .sgpr_spill_count: 0
    .symbol:         _ZL9moe_vec_qIfLi256ELi8E13block_iq2_xxsLi1EXadL_ZL20vec_dot_iq2_xxs_q8_1PKvPK10block_q8_1RKiEEEvS2_S2_PT_PS6_iiii.kd
    .uniform_work_group_size: 1
    .uses_dynamic_stack: false
    .vgpr_count:     73
    .vgpr_spill_count: 0
    .wavefront_size: 64
  - .agpr_count:     0
    .args:
      - .actual_access:  read_only
        .address_space:  global
        .offset:         0
        .size:           8
        .value_kind:     global_buffer
      - .actual_access:  read_only
        .address_space:  global
        .offset:         8
        .size:           8
        .value_kind:     global_buffer
      - .actual_access:  write_only
        .address_space:  global
        .offset:         16
        .size:           8
        .value_kind:     global_buffer
      - .address_space:  global
        .offset:         24
        .size:           8
        .value_kind:     global_buffer
      - .offset:         32
        .size:           4
        .value_kind:     by_value
      - .offset:         36
        .size:           4
        .value_kind:     by_value
      - .offset:         40
        .size:           4
        .value_kind:     by_value
      - .offset:         44
        .size:           4
        .value_kind:     by_value
      - .offset:         48
        .size:           4
        .value_kind:     hidden_block_count_x
      - .offset:         52
        .size:           4
        .value_kind:     hidden_block_count_y
      - .offset:         56
        .size:           4
        .value_kind:     hidden_block_count_z
      - .offset:         60
        .size:           2
        .value_kind:     hidden_group_size_x
      - .offset:         62
        .size:           2
        .value_kind:     hidden_group_size_y
      - .offset:         64
        .size:           2
        .value_kind:     hidden_group_size_z
      - .offset:         66
        .size:           2
        .value_kind:     hidden_remainder_x
      - .offset:         68
        .size:           2
        .value_kind:     hidden_remainder_y
      - .offset:         70
        .size:           2
        .value_kind:     hidden_remainder_z
      - .offset:         88
        .size:           8
        .value_kind:     hidden_global_offset_x
      - .offset:         96
        .size:           8
        .value_kind:     hidden_global_offset_y
      - .offset:         104
        .size:           8
        .value_kind:     hidden_global_offset_z
      - .offset:         112
        .size:           2
        .value_kind:     hidden_grid_dims
    .group_segment_fixed_size: 0
    .kernarg_segment_align: 8
    .kernarg_segment_size: 304
    .language:       OpenCL C
    .language_version:
      - 2
      - 0
    .max_flat_workgroup_size: 1024
    .name:           _ZL9moe_vec_qIfLi256ELi8E12block_iq2_xsLi1EXadL_ZL19vec_dot_iq2_xs_q8_1PKvPK10block_q8_1RKiEEEvS2_S2_PT_PS6_iiii
    .private_segment_fixed_size: 0
    .sgpr_count:     81
    .sgpr_spill_count: 0
    .symbol:         _ZL9moe_vec_qIfLi256ELi8E12block_iq2_xsLi1EXadL_ZL19vec_dot_iq2_xs_q8_1PKvPK10block_q8_1RKiEEEvS2_S2_PT_PS6_iiii.kd
    .uniform_work_group_size: 1
    .uses_dynamic_stack: false
    .vgpr_count:     82
    .vgpr_spill_count: 0
    .wavefront_size: 64
  - .agpr_count:     0
    .args:
      - .actual_access:  read_only
        .address_space:  global
        .offset:         0
        .size:           8
        .value_kind:     global_buffer
      - .actual_access:  read_only
        .address_space:  global
        .offset:         8
        .size:           8
        .value_kind:     global_buffer
      - .actual_access:  write_only
        .address_space:  global
        .offset:         16
        .size:           8
        .value_kind:     global_buffer
      - .address_space:  global
        .offset:         24
        .size:           8
        .value_kind:     global_buffer
      - .offset:         32
        .size:           4
        .value_kind:     by_value
      - .offset:         36
        .size:           4
        .value_kind:     by_value
      - .offset:         40
        .size:           4
        .value_kind:     by_value
      - .offset:         44
        .size:           4
        .value_kind:     by_value
      - .offset:         48
        .size:           4
        .value_kind:     hidden_block_count_x
      - .offset:         52
        .size:           4
        .value_kind:     hidden_block_count_y
      - .offset:         56
        .size:           4
        .value_kind:     hidden_block_count_z
      - .offset:         60
        .size:           2
        .value_kind:     hidden_group_size_x
      - .offset:         62
        .size:           2
        .value_kind:     hidden_group_size_y
      - .offset:         64
        .size:           2
        .value_kind:     hidden_group_size_z
      - .offset:         66
        .size:           2
        .value_kind:     hidden_remainder_x
      - .offset:         68
        .size:           2
        .value_kind:     hidden_remainder_y
      - .offset:         70
        .size:           2
        .value_kind:     hidden_remainder_z
      - .offset:         88
        .size:           8
        .value_kind:     hidden_global_offset_x
      - .offset:         96
        .size:           8
        .value_kind:     hidden_global_offset_y
      - .offset:         104
        .size:           8
        .value_kind:     hidden_global_offset_z
      - .offset:         112
        .size:           2
        .value_kind:     hidden_grid_dims
    .group_segment_fixed_size: 0
    .kernarg_segment_align: 8
    .kernarg_segment_size: 304
    .language:       OpenCL C
    .language_version:
      - 2
      - 0
    .max_flat_workgroup_size: 1024
    .name:           _ZL9moe_vec_qIfLi256ELi8E13block_iq3_xxsLi1EXadL_ZL20vec_dot_iq3_xxs_q8_1PKvPK10block_q8_1RKiEEEvS2_S2_PT_PS6_iiii
    .private_segment_fixed_size: 0
    .sgpr_count:     26
    .sgpr_spill_count: 0
    .symbol:         _ZL9moe_vec_qIfLi256ELi8E13block_iq3_xxsLi1EXadL_ZL20vec_dot_iq3_xxs_q8_1PKvPK10block_q8_1RKiEEEvS2_S2_PT_PS6_iiii.kd
    .uniform_work_group_size: 1
    .uses_dynamic_stack: false
    .vgpr_count:     61
    .vgpr_spill_count: 0
    .wavefront_size: 64
  - .agpr_count:     0
    .args:
      - .actual_access:  read_only
        .address_space:  global
        .offset:         0
        .size:           8
        .value_kind:     global_buffer
      - .actual_access:  read_only
        .address_space:  global
        .offset:         8
        .size:           8
        .value_kind:     global_buffer
      - .actual_access:  write_only
        .address_space:  global
        .offset:         16
        .size:           8
        .value_kind:     global_buffer
      - .address_space:  global
        .offset:         24
        .size:           8
        .value_kind:     global_buffer
      - .offset:         32
        .size:           4
        .value_kind:     by_value
      - .offset:         36
        .size:           4
        .value_kind:     by_value
      - .offset:         40
        .size:           4
        .value_kind:     by_value
      - .offset:         44
        .size:           4
        .value_kind:     by_value
      - .offset:         48
        .size:           4
        .value_kind:     hidden_block_count_x
      - .offset:         52
        .size:           4
        .value_kind:     hidden_block_count_y
      - .offset:         56
        .size:           4
        .value_kind:     hidden_block_count_z
      - .offset:         60
        .size:           2
        .value_kind:     hidden_group_size_x
      - .offset:         62
        .size:           2
        .value_kind:     hidden_group_size_y
      - .offset:         64
        .size:           2
        .value_kind:     hidden_group_size_z
      - .offset:         66
        .size:           2
        .value_kind:     hidden_remainder_x
      - .offset:         68
        .size:           2
        .value_kind:     hidden_remainder_y
      - .offset:         70
        .size:           2
        .value_kind:     hidden_remainder_z
      - .offset:         88
        .size:           8
        .value_kind:     hidden_global_offset_x
      - .offset:         96
        .size:           8
        .value_kind:     hidden_global_offset_y
      - .offset:         104
        .size:           8
        .value_kind:     hidden_global_offset_z
      - .offset:         112
        .size:           2
        .value_kind:     hidden_grid_dims
    .group_segment_fixed_size: 0
    .kernarg_segment_align: 8
    .kernarg_segment_size: 304
    .language:       OpenCL C
    .language_version:
      - 2
      - 0
    .max_flat_workgroup_size: 1024
    .name:           _ZL9moe_vec_qIfLi256ELi8E11block_iq1_sLi1EXadL_ZL18vec_dot_iq1_s_q8_1PKvPK10block_q8_1RKiEEEvS2_S2_PT_PS6_iiii
    .private_segment_fixed_size: 0
    .sgpr_count:     26
    .sgpr_spill_count: 0
    .symbol:         _ZL9moe_vec_qIfLi256ELi8E11block_iq1_sLi1EXadL_ZL18vec_dot_iq1_s_q8_1PKvPK10block_q8_1RKiEEEvS2_S2_PT_PS6_iiii.kd
    .uniform_work_group_size: 1
    .uses_dynamic_stack: false
    .vgpr_count:     34
    .vgpr_spill_count: 0
    .wavefront_size: 64
  - .agpr_count:     0
    .args:
      - .actual_access:  read_only
        .address_space:  global
        .offset:         0
        .size:           8
        .value_kind:     global_buffer
      - .actual_access:  read_only
        .address_space:  global
        .offset:         8
        .size:           8
        .value_kind:     global_buffer
      - .actual_access:  write_only
        .address_space:  global
        .offset:         16
        .size:           8
        .value_kind:     global_buffer
      - .address_space:  global
        .offset:         24
        .size:           8
        .value_kind:     global_buffer
      - .offset:         32
        .size:           4
        .value_kind:     by_value
      - .offset:         36
        .size:           4
        .value_kind:     by_value
      - .offset:         40
        .size:           4
        .value_kind:     by_value
      - .offset:         44
        .size:           4
        .value_kind:     by_value
      - .offset:         48
        .size:           4
        .value_kind:     hidden_block_count_x
      - .offset:         52
        .size:           4
        .value_kind:     hidden_block_count_y
      - .offset:         56
        .size:           4
        .value_kind:     hidden_block_count_z
      - .offset:         60
        .size:           2
        .value_kind:     hidden_group_size_x
      - .offset:         62
        .size:           2
        .value_kind:     hidden_group_size_y
      - .offset:         64
        .size:           2
        .value_kind:     hidden_group_size_z
      - .offset:         66
        .size:           2
        .value_kind:     hidden_remainder_x
      - .offset:         68
        .size:           2
        .value_kind:     hidden_remainder_y
      - .offset:         70
        .size:           2
        .value_kind:     hidden_remainder_z
      - .offset:         88
        .size:           8
        .value_kind:     hidden_global_offset_x
      - .offset:         96
        .size:           8
        .value_kind:     hidden_global_offset_y
      - .offset:         104
        .size:           8
        .value_kind:     hidden_global_offset_z
      - .offset:         112
        .size:           2
        .value_kind:     hidden_grid_dims
    .group_segment_fixed_size: 0
    .kernarg_segment_align: 8
    .kernarg_segment_size: 304
    .language:       OpenCL C
    .language_version:
      - 2
      - 0
    .max_flat_workgroup_size: 1024
    .name:           _ZL9moe_vec_qIfLi32ELi4E12block_iq4_nlLi2EXadL_ZL19vec_dot_iq4_nl_q8_1PKvPK10block_q8_1RKiEEEvS2_S2_PT_PS6_iiii
    .private_segment_fixed_size: 0
    .sgpr_count:     26
    .sgpr_spill_count: 0
    .symbol:         _ZL9moe_vec_qIfLi32ELi4E12block_iq4_nlLi2EXadL_ZL19vec_dot_iq4_nl_q8_1PKvPK10block_q8_1RKiEEEvS2_S2_PT_PS6_iiii.kd
    .uniform_work_group_size: 1
    .uses_dynamic_stack: false
    .vgpr_count:     47
    .vgpr_spill_count: 0
    .wavefront_size: 64
  - .agpr_count:     0
    .args:
      - .actual_access:  read_only
        .address_space:  global
        .offset:         0
        .size:           8
        .value_kind:     global_buffer
      - .actual_access:  read_only
        .address_space:  global
        .offset:         8
        .size:           8
        .value_kind:     global_buffer
      - .actual_access:  write_only
        .address_space:  global
        .offset:         16
        .size:           8
        .value_kind:     global_buffer
      - .address_space:  global
        .offset:         24
        .size:           8
        .value_kind:     global_buffer
      - .offset:         32
        .size:           4
        .value_kind:     by_value
      - .offset:         36
        .size:           4
        .value_kind:     by_value
      - .offset:         40
        .size:           4
        .value_kind:     by_value
      - .offset:         44
        .size:           4
        .value_kind:     by_value
      - .offset:         48
        .size:           4
        .value_kind:     hidden_block_count_x
      - .offset:         52
        .size:           4
        .value_kind:     hidden_block_count_y
      - .offset:         56
        .size:           4
        .value_kind:     hidden_block_count_z
      - .offset:         60
        .size:           2
        .value_kind:     hidden_group_size_x
      - .offset:         62
        .size:           2
        .value_kind:     hidden_group_size_y
      - .offset:         64
        .size:           2
        .value_kind:     hidden_group_size_z
      - .offset:         66
        .size:           2
        .value_kind:     hidden_remainder_x
      - .offset:         68
        .size:           2
        .value_kind:     hidden_remainder_y
      - .offset:         70
        .size:           2
        .value_kind:     hidden_remainder_z
      - .offset:         88
        .size:           8
        .value_kind:     hidden_global_offset_x
      - .offset:         96
        .size:           8
        .value_kind:     hidden_global_offset_y
      - .offset:         104
        .size:           8
        .value_kind:     hidden_global_offset_z
      - .offset:         112
        .size:           2
        .value_kind:     hidden_grid_dims
    .group_segment_fixed_size: 0
    .kernarg_segment_align: 8
    .kernarg_segment_size: 304
    .language:       OpenCL C
    .language_version:
      - 2
      - 0
    .max_flat_workgroup_size: 1024
    .name:           _ZL9moe_vec_qIfLi256ELi8E11block_iq3_sLi1EXadL_ZL18vec_dot_iq3_s_q8_1PKvPK10block_q8_1RKiEEEvS2_S2_PT_PS6_iiii
    .private_segment_fixed_size: 0
    .sgpr_count:     26
    .sgpr_spill_count: 0
    .symbol:         _ZL9moe_vec_qIfLi256ELi8E11block_iq3_sLi1EXadL_ZL18vec_dot_iq3_s_q8_1PKvPK10block_q8_1RKiEEEvS2_S2_PT_PS6_iiii.kd
    .uniform_work_group_size: 1
    .uses_dynamic_stack: false
    .vgpr_count:     48
    .vgpr_spill_count: 0
    .wavefront_size: 64
  - .agpr_count:     0
    .args:
      - .actual_access:  read_only
        .address_space:  global
        .offset:         0
        .size:           8
        .value_kind:     global_buffer
      - .actual_access:  read_only
        .address_space:  global
        .offset:         8
        .size:           8
        .value_kind:     global_buffer
      - .actual_access:  write_only
        .address_space:  global
        .offset:         16
        .size:           8
        .value_kind:     global_buffer
      - .address_space:  global
        .offset:         24
        .size:           8
        .value_kind:     global_buffer
      - .offset:         32
        .size:           4
        .value_kind:     by_value
      - .offset:         36
        .size:           4
        .value_kind:     by_value
      - .offset:         40
        .size:           4
        .value_kind:     by_value
      - .offset:         44
        .size:           4
        .value_kind:     by_value
      - .offset:         48
        .size:           4
        .value_kind:     hidden_block_count_x
      - .offset:         52
        .size:           4
        .value_kind:     hidden_block_count_y
      - .offset:         56
        .size:           4
        .value_kind:     hidden_block_count_z
      - .offset:         60
        .size:           2
        .value_kind:     hidden_group_size_x
      - .offset:         62
        .size:           2
        .value_kind:     hidden_group_size_y
      - .offset:         64
        .size:           2
        .value_kind:     hidden_group_size_z
      - .offset:         66
        .size:           2
        .value_kind:     hidden_remainder_x
      - .offset:         68
        .size:           2
        .value_kind:     hidden_remainder_y
      - .offset:         70
        .size:           2
        .value_kind:     hidden_remainder_z
      - .offset:         88
        .size:           8
        .value_kind:     hidden_global_offset_x
      - .offset:         96
        .size:           8
        .value_kind:     hidden_global_offset_y
      - .offset:         104
        .size:           8
        .value_kind:     hidden_global_offset_z
      - .offset:         112
        .size:           2
        .value_kind:     hidden_grid_dims
    .group_segment_fixed_size: 0
    .kernarg_segment_align: 8
    .kernarg_segment_size: 304
    .language:       OpenCL C
    .language_version:
      - 2
      - 0
    .max_flat_workgroup_size: 1024
    .name:           _ZL9moe_vec_qIfLi256ELi8E11block_iq2_sLi1EXadL_ZL18vec_dot_iq2_s_q8_1PKvPK10block_q8_1RKiEEEvS2_S2_PT_PS6_iiii
    .private_segment_fixed_size: 0
    .sgpr_count:     26
    .sgpr_spill_count: 0
    .symbol:         _ZL9moe_vec_qIfLi256ELi8E11block_iq2_sLi1EXadL_ZL18vec_dot_iq2_s_q8_1PKvPK10block_q8_1RKiEEEvS2_S2_PT_PS6_iiii.kd
    .uniform_work_group_size: 1
    .uses_dynamic_stack: false
    .vgpr_count:     65
    .vgpr_spill_count: 0
    .wavefront_size: 64
  - .agpr_count:     0
    .args:
      - .actual_access:  read_only
        .address_space:  global
        .offset:         0
        .size:           8
        .value_kind:     global_buffer
      - .actual_access:  read_only
        .address_space:  global
        .offset:         8
        .size:           8
        .value_kind:     global_buffer
      - .actual_access:  write_only
        .address_space:  global
        .offset:         16
        .size:           8
        .value_kind:     global_buffer
      - .address_space:  global
        .offset:         24
        .size:           8
        .value_kind:     global_buffer
      - .offset:         32
        .size:           4
        .value_kind:     by_value
      - .offset:         36
        .size:           4
        .value_kind:     by_value
      - .offset:         40
        .size:           4
        .value_kind:     by_value
      - .offset:         44
        .size:           4
        .value_kind:     by_value
      - .offset:         48
        .size:           4
        .value_kind:     hidden_block_count_x
      - .offset:         52
        .size:           4
        .value_kind:     hidden_block_count_y
      - .offset:         56
        .size:           4
        .value_kind:     hidden_block_count_z
      - .offset:         60
        .size:           2
        .value_kind:     hidden_group_size_x
      - .offset:         62
        .size:           2
        .value_kind:     hidden_group_size_y
      - .offset:         64
        .size:           2
        .value_kind:     hidden_group_size_z
      - .offset:         66
        .size:           2
        .value_kind:     hidden_remainder_x
      - .offset:         68
        .size:           2
        .value_kind:     hidden_remainder_y
      - .offset:         70
        .size:           2
        .value_kind:     hidden_remainder_z
      - .offset:         88
        .size:           8
        .value_kind:     hidden_global_offset_x
      - .offset:         96
        .size:           8
        .value_kind:     hidden_global_offset_y
      - .offset:         104
        .size:           8
        .value_kind:     hidden_global_offset_z
      - .offset:         112
        .size:           2
        .value_kind:     hidden_grid_dims
    .group_segment_fixed_size: 0
    .kernarg_segment_align: 8
    .kernarg_segment_size: 304
    .language:       OpenCL C
    .language_version:
      - 2
      - 0
    .max_flat_workgroup_size: 1024
    .name:           _ZL9moe_vec_qIfLi256ELi8E12block_iq4_xsLi1EXadL_ZL19vec_dot_iq4_xs_q8_1PKvPK10block_q8_1RKiEEEvS2_S2_PT_PS6_iiii
    .private_segment_fixed_size: 0
    .sgpr_count:     26
    .sgpr_spill_count: 0
    .symbol:         _ZL9moe_vec_qIfLi256ELi8E12block_iq4_xsLi1EXadL_ZL19vec_dot_iq4_xs_q8_1PKvPK10block_q8_1RKiEEEvS2_S2_PT_PS6_iiii.kd
    .uniform_work_group_size: 1
    .uses_dynamic_stack: false
    .vgpr_count:     64
    .vgpr_spill_count: 0
    .wavefront_size: 64
  - .agpr_count:     0
    .args:
      - .actual_access:  read_only
        .address_space:  global
        .offset:         0
        .size:           8
        .value_kind:     global_buffer
      - .actual_access:  read_only
        .address_space:  global
        .offset:         8
        .size:           8
        .value_kind:     global_buffer
      - .actual_access:  write_only
        .address_space:  global
        .offset:         16
        .size:           8
        .value_kind:     global_buffer
      - .address_space:  global
        .offset:         24
        .size:           8
        .value_kind:     global_buffer
      - .offset:         32
        .size:           4
        .value_kind:     by_value
      - .offset:         36
        .size:           4
        .value_kind:     by_value
      - .offset:         40
        .size:           4
        .value_kind:     by_value
      - .offset:         44
        .size:           4
        .value_kind:     by_value
      - .offset:         48
        .size:           4
        .value_kind:     hidden_block_count_x
      - .offset:         52
        .size:           4
        .value_kind:     hidden_block_count_y
      - .offset:         56
        .size:           4
        .value_kind:     hidden_block_count_z
      - .offset:         60
        .size:           2
        .value_kind:     hidden_group_size_x
      - .offset:         62
        .size:           2
        .value_kind:     hidden_group_size_y
      - .offset:         64
        .size:           2
        .value_kind:     hidden_group_size_z
      - .offset:         66
        .size:           2
        .value_kind:     hidden_remainder_x
      - .offset:         68
        .size:           2
        .value_kind:     hidden_remainder_y
      - .offset:         70
        .size:           2
        .value_kind:     hidden_remainder_z
      - .offset:         88
        .size:           8
        .value_kind:     hidden_global_offset_x
      - .offset:         96
        .size:           8
        .value_kind:     hidden_global_offset_y
      - .offset:         104
        .size:           8
        .value_kind:     hidden_global_offset_z
      - .offset:         112
        .size:           2
        .value_kind:     hidden_grid_dims
    .group_segment_fixed_size: 0
    .kernarg_segment_align: 8
    .kernarg_segment_size: 304
    .language:       OpenCL C
    .language_version:
      - 2
      - 0
    .max_flat_workgroup_size: 1024
    .name:           _ZL9moe_vec_qIfLi256ELi8E11block_iq1_mLi1EXadL_ZL18vec_dot_iq1_m_q8_1PKvPK10block_q8_1RKiEEEvS2_S2_PT_PS6_iiii
    .private_segment_fixed_size: 0
    .sgpr_count:     28
    .sgpr_spill_count: 0
    .symbol:         _ZL9moe_vec_qIfLi256ELi8E11block_iq1_mLi1EXadL_ZL18vec_dot_iq1_m_q8_1PKvPK10block_q8_1RKiEEEvS2_S2_PT_PS6_iiii.kd
    .uniform_work_group_size: 1
    .uses_dynamic_stack: false
    .vgpr_count:     47
    .vgpr_spill_count: 0
    .wavefront_size: 64
  - .agpr_count:     0
    .args:
      - .actual_access:  read_only
        .address_space:  global
        .offset:         0
        .size:           8
        .value_kind:     global_buffer
      - .actual_access:  read_only
        .address_space:  global
        .offset:         8
        .size:           8
        .value_kind:     global_buffer
      - .actual_access:  write_only
        .address_space:  global
        .offset:         16
        .size:           8
        .value_kind:     global_buffer
      - .address_space:  global
        .offset:         24
        .size:           8
        .value_kind:     global_buffer
      - .offset:         32
        .size:           4
        .value_kind:     by_value
      - .offset:         36
        .size:           4
        .value_kind:     by_value
      - .offset:         40
        .size:           4
        .value_kind:     by_value
      - .offset:         44
        .size:           4
        .value_kind:     by_value
      - .offset:         48
        .size:           4
        .value_kind:     hidden_block_count_x
      - .offset:         52
        .size:           4
        .value_kind:     hidden_block_count_y
      - .offset:         56
        .size:           4
        .value_kind:     hidden_block_count_z
      - .offset:         60
        .size:           2
        .value_kind:     hidden_group_size_x
      - .offset:         62
        .size:           2
        .value_kind:     hidden_group_size_y
      - .offset:         64
        .size:           2
        .value_kind:     hidden_group_size_z
      - .offset:         66
        .size:           2
        .value_kind:     hidden_remainder_x
      - .offset:         68
        .size:           2
        .value_kind:     hidden_remainder_y
      - .offset:         70
        .size:           2
        .value_kind:     hidden_remainder_z
      - .offset:         88
        .size:           8
        .value_kind:     hidden_global_offset_x
      - .offset:         96
        .size:           8
        .value_kind:     hidden_global_offset_y
      - .offset:         104
        .size:           8
        .value_kind:     hidden_global_offset_z
      - .offset:         112
        .size:           2
        .value_kind:     hidden_grid_dims
    .group_segment_fixed_size: 0
    .kernarg_segment_align: 8
    .kernarg_segment_size: 304
    .language:       OpenCL C
    .language_version:
      - 2
      - 0
    .max_flat_workgroup_size: 1024
    .name:           _ZL9moe_vec_qIN3c104HalfELi32ELi4E10block_q4_0Li2EXadL_ZL17vec_dot_q4_0_q8_1PKvPK10block_q8_1RKiEEEvS4_S4_PT_PS8_iiii
    .private_segment_fixed_size: 0
    .sgpr_count:     26
    .sgpr_spill_count: 0
    .symbol:         _ZL9moe_vec_qIN3c104HalfELi32ELi4E10block_q4_0Li2EXadL_ZL17vec_dot_q4_0_q8_1PKvPK10block_q8_1RKiEEEvS4_S4_PT_PS8_iiii.kd
    .uniform_work_group_size: 1
    .uses_dynamic_stack: false
    .vgpr_count:     24
    .vgpr_spill_count: 0
    .wavefront_size: 64
  - .agpr_count:     0
    .args:
      - .actual_access:  read_only
        .address_space:  global
        .offset:         0
        .size:           8
        .value_kind:     global_buffer
      - .actual_access:  read_only
        .address_space:  global
        .offset:         8
        .size:           8
        .value_kind:     global_buffer
      - .actual_access:  write_only
        .address_space:  global
        .offset:         16
        .size:           8
        .value_kind:     global_buffer
      - .address_space:  global
        .offset:         24
        .size:           8
        .value_kind:     global_buffer
      - .offset:         32
        .size:           4
        .value_kind:     by_value
      - .offset:         36
        .size:           4
        .value_kind:     by_value
      - .offset:         40
        .size:           4
        .value_kind:     by_value
      - .offset:         44
        .size:           4
        .value_kind:     by_value
      - .offset:         48
        .size:           4
        .value_kind:     hidden_block_count_x
      - .offset:         52
        .size:           4
        .value_kind:     hidden_block_count_y
      - .offset:         56
        .size:           4
        .value_kind:     hidden_block_count_z
      - .offset:         60
        .size:           2
        .value_kind:     hidden_group_size_x
      - .offset:         62
        .size:           2
        .value_kind:     hidden_group_size_y
      - .offset:         64
        .size:           2
        .value_kind:     hidden_group_size_z
      - .offset:         66
        .size:           2
        .value_kind:     hidden_remainder_x
      - .offset:         68
        .size:           2
        .value_kind:     hidden_remainder_y
      - .offset:         70
        .size:           2
        .value_kind:     hidden_remainder_z
      - .offset:         88
        .size:           8
        .value_kind:     hidden_global_offset_x
      - .offset:         96
        .size:           8
        .value_kind:     hidden_global_offset_y
      - .offset:         104
        .size:           8
        .value_kind:     hidden_global_offset_z
      - .offset:         112
        .size:           2
        .value_kind:     hidden_grid_dims
    .group_segment_fixed_size: 0
    .kernarg_segment_align: 8
    .kernarg_segment_size: 304
    .language:       OpenCL C
    .language_version:
      - 2
      - 0
    .max_flat_workgroup_size: 1024
    .name:           _ZL9moe_vec_qIN3c104HalfELi32ELi4E10block_q4_1Li2EXadL_ZL17vec_dot_q4_1_q8_1PKvPK10block_q8_1RKiEEEvS4_S4_PT_PS8_iiii
    .private_segment_fixed_size: 0
    .sgpr_count:     26
    .sgpr_spill_count: 0
    .symbol:         _ZL9moe_vec_qIN3c104HalfELi32ELi4E10block_q4_1Li2EXadL_ZL17vec_dot_q4_1_q8_1PKvPK10block_q8_1RKiEEEvS4_S4_PT_PS8_iiii.kd
    .uniform_work_group_size: 1
    .uses_dynamic_stack: false
    .vgpr_count:     21
    .vgpr_spill_count: 0
    .wavefront_size: 64
  - .agpr_count:     0
    .args:
      - .actual_access:  read_only
        .address_space:  global
        .offset:         0
        .size:           8
        .value_kind:     global_buffer
      - .actual_access:  read_only
        .address_space:  global
        .offset:         8
        .size:           8
        .value_kind:     global_buffer
      - .actual_access:  write_only
        .address_space:  global
        .offset:         16
        .size:           8
        .value_kind:     global_buffer
      - .address_space:  global
        .offset:         24
        .size:           8
        .value_kind:     global_buffer
      - .offset:         32
        .size:           4
        .value_kind:     by_value
      - .offset:         36
        .size:           4
        .value_kind:     by_value
      - .offset:         40
        .size:           4
        .value_kind:     by_value
      - .offset:         44
        .size:           4
        .value_kind:     by_value
      - .offset:         48
        .size:           4
        .value_kind:     hidden_block_count_x
      - .offset:         52
        .size:           4
        .value_kind:     hidden_block_count_y
      - .offset:         56
        .size:           4
        .value_kind:     hidden_block_count_z
      - .offset:         60
        .size:           2
        .value_kind:     hidden_group_size_x
      - .offset:         62
        .size:           2
        .value_kind:     hidden_group_size_y
      - .offset:         64
        .size:           2
        .value_kind:     hidden_group_size_z
      - .offset:         66
        .size:           2
        .value_kind:     hidden_remainder_x
      - .offset:         68
        .size:           2
        .value_kind:     hidden_remainder_y
      - .offset:         70
        .size:           2
        .value_kind:     hidden_remainder_z
      - .offset:         88
        .size:           8
        .value_kind:     hidden_global_offset_x
      - .offset:         96
        .size:           8
        .value_kind:     hidden_global_offset_y
      - .offset:         104
        .size:           8
        .value_kind:     hidden_global_offset_z
      - .offset:         112
        .size:           2
        .value_kind:     hidden_grid_dims
    .group_segment_fixed_size: 0
    .kernarg_segment_align: 8
    .kernarg_segment_size: 304
    .language:       OpenCL C
    .language_version:
      - 2
      - 0
    .max_flat_workgroup_size: 1024
    .name:           _ZL9moe_vec_qIN3c104HalfELi32ELi4E10block_q5_0Li2EXadL_ZL17vec_dot_q5_0_q8_1PKvPK10block_q8_1RKiEEEvS4_S4_PT_PS8_iiii
    .private_segment_fixed_size: 0
    .sgpr_count:     26
    .sgpr_spill_count: 0
    .symbol:         _ZL9moe_vec_qIN3c104HalfELi32ELi4E10block_q5_0Li2EXadL_ZL17vec_dot_q5_0_q8_1PKvPK10block_q8_1RKiEEEvS4_S4_PT_PS8_iiii.kd
    .uniform_work_group_size: 1
    .uses_dynamic_stack: false
    .vgpr_count:     37
    .vgpr_spill_count: 0
    .wavefront_size: 64
  - .agpr_count:     0
    .args:
      - .actual_access:  read_only
        .address_space:  global
        .offset:         0
        .size:           8
        .value_kind:     global_buffer
      - .actual_access:  read_only
        .address_space:  global
        .offset:         8
        .size:           8
        .value_kind:     global_buffer
      - .actual_access:  write_only
        .address_space:  global
        .offset:         16
        .size:           8
        .value_kind:     global_buffer
      - .address_space:  global
        .offset:         24
        .size:           8
        .value_kind:     global_buffer
      - .offset:         32
        .size:           4
        .value_kind:     by_value
      - .offset:         36
        .size:           4
        .value_kind:     by_value
      - .offset:         40
        .size:           4
        .value_kind:     by_value
      - .offset:         44
        .size:           4
        .value_kind:     by_value
      - .offset:         48
        .size:           4
        .value_kind:     hidden_block_count_x
      - .offset:         52
        .size:           4
        .value_kind:     hidden_block_count_y
      - .offset:         56
        .size:           4
        .value_kind:     hidden_block_count_z
      - .offset:         60
        .size:           2
        .value_kind:     hidden_group_size_x
      - .offset:         62
        .size:           2
        .value_kind:     hidden_group_size_y
      - .offset:         64
        .size:           2
        .value_kind:     hidden_group_size_z
      - .offset:         66
        .size:           2
        .value_kind:     hidden_remainder_x
      - .offset:         68
        .size:           2
        .value_kind:     hidden_remainder_y
      - .offset:         70
        .size:           2
        .value_kind:     hidden_remainder_z
      - .offset:         88
        .size:           8
        .value_kind:     hidden_global_offset_x
      - .offset:         96
        .size:           8
        .value_kind:     hidden_global_offset_y
      - .offset:         104
        .size:           8
        .value_kind:     hidden_global_offset_z
      - .offset:         112
        .size:           2
        .value_kind:     hidden_grid_dims
    .group_segment_fixed_size: 0
    .kernarg_segment_align: 8
    .kernarg_segment_size: 304
    .language:       OpenCL C
    .language_version:
      - 2
      - 0
    .max_flat_workgroup_size: 1024
    .name:           _ZL9moe_vec_qIN3c104HalfELi32ELi4E10block_q5_1Li2EXadL_ZL17vec_dot_q5_1_q8_1PKvPK10block_q8_1RKiEEEvS4_S4_PT_PS8_iiii
    .private_segment_fixed_size: 0
    .sgpr_count:     26
    .sgpr_spill_count: 0
    .symbol:         _ZL9moe_vec_qIN3c104HalfELi32ELi4E10block_q5_1Li2EXadL_ZL17vec_dot_q5_1_q8_1PKvPK10block_q8_1RKiEEEvS4_S4_PT_PS8_iiii.kd
    .uniform_work_group_size: 1
    .uses_dynamic_stack: false
    .vgpr_count:     35
    .vgpr_spill_count: 0
    .wavefront_size: 64
  - .agpr_count:     0
    .args:
      - .actual_access:  read_only
        .address_space:  global
        .offset:         0
        .size:           8
        .value_kind:     global_buffer
      - .actual_access:  read_only
        .address_space:  global
        .offset:         8
        .size:           8
        .value_kind:     global_buffer
      - .actual_access:  write_only
        .address_space:  global
        .offset:         16
        .size:           8
        .value_kind:     global_buffer
      - .address_space:  global
        .offset:         24
        .size:           8
        .value_kind:     global_buffer
      - .offset:         32
        .size:           4
        .value_kind:     by_value
      - .offset:         36
        .size:           4
        .value_kind:     by_value
      - .offset:         40
        .size:           4
        .value_kind:     by_value
      - .offset:         44
        .size:           4
        .value_kind:     by_value
      - .offset:         48
        .size:           4
        .value_kind:     hidden_block_count_x
      - .offset:         52
        .size:           4
        .value_kind:     hidden_block_count_y
      - .offset:         56
        .size:           4
        .value_kind:     hidden_block_count_z
      - .offset:         60
        .size:           2
        .value_kind:     hidden_group_size_x
      - .offset:         62
        .size:           2
        .value_kind:     hidden_group_size_y
      - .offset:         64
        .size:           2
        .value_kind:     hidden_group_size_z
      - .offset:         66
        .size:           2
        .value_kind:     hidden_remainder_x
      - .offset:         68
        .size:           2
        .value_kind:     hidden_remainder_y
      - .offset:         70
        .size:           2
        .value_kind:     hidden_remainder_z
      - .offset:         88
        .size:           8
        .value_kind:     hidden_global_offset_x
      - .offset:         96
        .size:           8
        .value_kind:     hidden_global_offset_y
      - .offset:         104
        .size:           8
        .value_kind:     hidden_global_offset_z
      - .offset:         112
        .size:           2
        .value_kind:     hidden_grid_dims
    .group_segment_fixed_size: 0
    .kernarg_segment_align: 8
    .kernarg_segment_size: 304
    .language:       OpenCL C
    .language_version:
      - 2
      - 0
    .max_flat_workgroup_size: 1024
    .name:           _ZL9moe_vec_qIN3c104HalfELi32ELi8E10block_q8_0Li2EXadL_ZL17vec_dot_q8_0_q8_1PKvPK10block_q8_1RKiEEEvS4_S4_PT_PS8_iiii
    .private_segment_fixed_size: 0
    .sgpr_count:     26
    .sgpr_spill_count: 0
    .symbol:         _ZL9moe_vec_qIN3c104HalfELi32ELi8E10block_q8_0Li2EXadL_ZL17vec_dot_q8_0_q8_1PKvPK10block_q8_1RKiEEEvS4_S4_PT_PS8_iiii.kd
    .uniform_work_group_size: 1
    .uses_dynamic_stack: false
    .vgpr_count:     19
    .vgpr_spill_count: 0
    .wavefront_size: 64
  - .agpr_count:     0
    .args:
      - .actual_access:  read_only
        .address_space:  global
        .offset:         0
        .size:           8
        .value_kind:     global_buffer
      - .actual_access:  read_only
        .address_space:  global
        .offset:         8
        .size:           8
        .value_kind:     global_buffer
      - .actual_access:  write_only
        .address_space:  global
        .offset:         16
        .size:           8
        .value_kind:     global_buffer
      - .address_space:  global
        .offset:         24
        .size:           8
        .value_kind:     global_buffer
      - .offset:         32
        .size:           4
        .value_kind:     by_value
      - .offset:         36
        .size:           4
        .value_kind:     by_value
      - .offset:         40
        .size:           4
        .value_kind:     by_value
      - .offset:         44
        .size:           4
        .value_kind:     by_value
      - .offset:         48
        .size:           4
        .value_kind:     hidden_block_count_x
      - .offset:         52
        .size:           4
        .value_kind:     hidden_block_count_y
      - .offset:         56
        .size:           4
        .value_kind:     hidden_block_count_z
      - .offset:         60
        .size:           2
        .value_kind:     hidden_group_size_x
      - .offset:         62
        .size:           2
        .value_kind:     hidden_group_size_y
      - .offset:         64
        .size:           2
        .value_kind:     hidden_group_size_z
      - .offset:         66
        .size:           2
        .value_kind:     hidden_remainder_x
      - .offset:         68
        .size:           2
        .value_kind:     hidden_remainder_y
      - .offset:         70
        .size:           2
        .value_kind:     hidden_remainder_z
      - .offset:         88
        .size:           8
        .value_kind:     hidden_global_offset_x
      - .offset:         96
        .size:           8
        .value_kind:     hidden_global_offset_y
      - .offset:         104
        .size:           8
        .value_kind:     hidden_global_offset_z
      - .offset:         112
        .size:           2
        .value_kind:     hidden_grid_dims
    .group_segment_fixed_size: 0
    .kernarg_segment_align: 8
    .kernarg_segment_size: 304
    .language:       OpenCL C
    .language_version:
      - 2
      - 0
    .max_flat_workgroup_size: 1024
    .name:           _ZL9moe_vec_qIN3c104HalfELi256ELi16E10block_q2_KLi1EXadL_ZL17vec_dot_q2_K_q8_1PKvPK10block_q8_1RKiEEEvS4_S4_PT_PS8_iiii
    .private_segment_fixed_size: 0
    .sgpr_count:     26
    .sgpr_spill_count: 0
    .symbol:         _ZL9moe_vec_qIN3c104HalfELi256ELi16E10block_q2_KLi1EXadL_ZL17vec_dot_q2_K_q8_1PKvPK10block_q8_1RKiEEEvS4_S4_PT_PS8_iiii.kd
    .uniform_work_group_size: 1
    .uses_dynamic_stack: false
    .vgpr_count:     47
    .vgpr_spill_count: 0
    .wavefront_size: 64
  - .agpr_count:     0
    .args:
      - .actual_access:  read_only
        .address_space:  global
        .offset:         0
        .size:           8
        .value_kind:     global_buffer
      - .actual_access:  read_only
        .address_space:  global
        .offset:         8
        .size:           8
        .value_kind:     global_buffer
      - .actual_access:  write_only
        .address_space:  global
        .offset:         16
        .size:           8
        .value_kind:     global_buffer
      - .address_space:  global
        .offset:         24
        .size:           8
        .value_kind:     global_buffer
      - .offset:         32
        .size:           4
        .value_kind:     by_value
      - .offset:         36
        .size:           4
        .value_kind:     by_value
      - .offset:         40
        .size:           4
        .value_kind:     by_value
      - .offset:         44
        .size:           4
        .value_kind:     by_value
      - .offset:         48
        .size:           4
        .value_kind:     hidden_block_count_x
      - .offset:         52
        .size:           4
        .value_kind:     hidden_block_count_y
      - .offset:         56
        .size:           4
        .value_kind:     hidden_block_count_z
      - .offset:         60
        .size:           2
        .value_kind:     hidden_group_size_x
      - .offset:         62
        .size:           2
        .value_kind:     hidden_group_size_y
      - .offset:         64
        .size:           2
        .value_kind:     hidden_group_size_z
      - .offset:         66
        .size:           2
        .value_kind:     hidden_remainder_x
      - .offset:         68
        .size:           2
        .value_kind:     hidden_remainder_y
      - .offset:         70
        .size:           2
        .value_kind:     hidden_remainder_z
      - .offset:         88
        .size:           8
        .value_kind:     hidden_global_offset_x
      - .offset:         96
        .size:           8
        .value_kind:     hidden_global_offset_y
      - .offset:         104
        .size:           8
        .value_kind:     hidden_global_offset_z
      - .offset:         112
        .size:           2
        .value_kind:     hidden_grid_dims
    .group_segment_fixed_size: 0
    .kernarg_segment_align: 8
    .kernarg_segment_size: 304
    .language:       OpenCL C
    .language_version:
      - 2
      - 0
    .max_flat_workgroup_size: 1024
    .name:           _ZL9moe_vec_qIN3c104HalfELi256ELi16E10block_q3_KLi1EXadL_ZL17vec_dot_q3_K_q8_1PKvPK10block_q8_1RKiEEEvS4_S4_PT_PS8_iiii
    .private_segment_fixed_size: 0
    .sgpr_count:     26
    .sgpr_spill_count: 0
    .symbol:         _ZL9moe_vec_qIN3c104HalfELi256ELi16E10block_q3_KLi1EXadL_ZL17vec_dot_q3_K_q8_1PKvPK10block_q8_1RKiEEEvS4_S4_PT_PS8_iiii.kd
    .uniform_work_group_size: 1
    .uses_dynamic_stack: false
    .vgpr_count:     62
    .vgpr_spill_count: 0
    .wavefront_size: 64
  - .agpr_count:     0
    .args:
      - .actual_access:  read_only
        .address_space:  global
        .offset:         0
        .size:           8
        .value_kind:     global_buffer
      - .actual_access:  read_only
        .address_space:  global
        .offset:         8
        .size:           8
        .value_kind:     global_buffer
      - .actual_access:  write_only
        .address_space:  global
        .offset:         16
        .size:           8
        .value_kind:     global_buffer
      - .address_space:  global
        .offset:         24
        .size:           8
        .value_kind:     global_buffer
      - .offset:         32
        .size:           4
        .value_kind:     by_value
      - .offset:         36
        .size:           4
        .value_kind:     by_value
      - .offset:         40
        .size:           4
        .value_kind:     by_value
      - .offset:         44
        .size:           4
        .value_kind:     by_value
      - .offset:         48
        .size:           4
        .value_kind:     hidden_block_count_x
      - .offset:         52
        .size:           4
        .value_kind:     hidden_block_count_y
      - .offset:         56
        .size:           4
        .value_kind:     hidden_block_count_z
      - .offset:         60
        .size:           2
        .value_kind:     hidden_group_size_x
      - .offset:         62
        .size:           2
        .value_kind:     hidden_group_size_y
      - .offset:         64
        .size:           2
        .value_kind:     hidden_group_size_z
      - .offset:         66
        .size:           2
        .value_kind:     hidden_remainder_x
      - .offset:         68
        .size:           2
        .value_kind:     hidden_remainder_y
      - .offset:         70
        .size:           2
        .value_kind:     hidden_remainder_z
      - .offset:         88
        .size:           8
        .value_kind:     hidden_global_offset_x
      - .offset:         96
        .size:           8
        .value_kind:     hidden_global_offset_y
      - .offset:         104
        .size:           8
        .value_kind:     hidden_global_offset_z
      - .offset:         112
        .size:           2
        .value_kind:     hidden_grid_dims
    .group_segment_fixed_size: 0
    .kernarg_segment_align: 8
    .kernarg_segment_size: 304
    .language:       OpenCL C
    .language_version:
      - 2
      - 0
    .max_flat_workgroup_size: 1024
    .name:           _ZL9moe_vec_qIN3c104HalfELi256ELi32E10block_q4_KLi2EXadL_ZL17vec_dot_q4_K_q8_1PKvPK10block_q8_1RKiEEEvS4_S4_PT_PS8_iiii
    .private_segment_fixed_size: 0
    .sgpr_count:     26
    .sgpr_spill_count: 0
    .symbol:         _ZL9moe_vec_qIN3c104HalfELi256ELi32E10block_q4_KLi2EXadL_ZL17vec_dot_q4_K_q8_1PKvPK10block_q8_1RKiEEEvS4_S4_PT_PS8_iiii.kd
    .uniform_work_group_size: 1
    .uses_dynamic_stack: false
    .vgpr_count:     40
    .vgpr_spill_count: 0
    .wavefront_size: 64
  - .agpr_count:     0
    .args:
      - .actual_access:  read_only
        .address_space:  global
        .offset:         0
        .size:           8
        .value_kind:     global_buffer
      - .actual_access:  read_only
        .address_space:  global
        .offset:         8
        .size:           8
        .value_kind:     global_buffer
      - .actual_access:  write_only
        .address_space:  global
        .offset:         16
        .size:           8
        .value_kind:     global_buffer
      - .address_space:  global
        .offset:         24
        .size:           8
        .value_kind:     global_buffer
      - .offset:         32
        .size:           4
        .value_kind:     by_value
      - .offset:         36
        .size:           4
        .value_kind:     by_value
      - .offset:         40
        .size:           4
        .value_kind:     by_value
      - .offset:         44
        .size:           4
        .value_kind:     by_value
      - .offset:         48
        .size:           4
        .value_kind:     hidden_block_count_x
      - .offset:         52
        .size:           4
        .value_kind:     hidden_block_count_y
      - .offset:         56
        .size:           4
        .value_kind:     hidden_block_count_z
      - .offset:         60
        .size:           2
        .value_kind:     hidden_group_size_x
      - .offset:         62
        .size:           2
        .value_kind:     hidden_group_size_y
      - .offset:         64
        .size:           2
        .value_kind:     hidden_group_size_z
      - .offset:         66
        .size:           2
        .value_kind:     hidden_remainder_x
      - .offset:         68
        .size:           2
        .value_kind:     hidden_remainder_y
      - .offset:         70
        .size:           2
        .value_kind:     hidden_remainder_z
      - .offset:         88
        .size:           8
        .value_kind:     hidden_global_offset_x
      - .offset:         96
        .size:           8
        .value_kind:     hidden_global_offset_y
      - .offset:         104
        .size:           8
        .value_kind:     hidden_global_offset_z
      - .offset:         112
        .size:           2
        .value_kind:     hidden_grid_dims
    .group_segment_fixed_size: 0
    .kernarg_segment_align: 8
    .kernarg_segment_size: 304
    .language:       OpenCL C
    .language_version:
      - 2
      - 0
    .max_flat_workgroup_size: 1024
    .name:           _ZL9moe_vec_qIN3c104HalfELi256ELi32E10block_q5_KLi2EXadL_ZL17vec_dot_q5_K_q8_1PKvPK10block_q8_1RKiEEEvS4_S4_PT_PS8_iiii
    .private_segment_fixed_size: 0
    .sgpr_count:     26
    .sgpr_spill_count: 0
    .symbol:         _ZL9moe_vec_qIN3c104HalfELi256ELi32E10block_q5_KLi2EXadL_ZL17vec_dot_q5_K_q8_1PKvPK10block_q8_1RKiEEEvS4_S4_PT_PS8_iiii.kd
    .uniform_work_group_size: 1
    .uses_dynamic_stack: false
    .vgpr_count:     42
    .vgpr_spill_count: 0
    .wavefront_size: 64
  - .agpr_count:     0
    .args:
      - .actual_access:  read_only
        .address_space:  global
        .offset:         0
        .size:           8
        .value_kind:     global_buffer
      - .actual_access:  read_only
        .address_space:  global
        .offset:         8
        .size:           8
        .value_kind:     global_buffer
      - .actual_access:  write_only
        .address_space:  global
        .offset:         16
        .size:           8
        .value_kind:     global_buffer
      - .address_space:  global
        .offset:         24
        .size:           8
        .value_kind:     global_buffer
      - .offset:         32
        .size:           4
        .value_kind:     by_value
      - .offset:         36
        .size:           4
        .value_kind:     by_value
      - .offset:         40
        .size:           4
        .value_kind:     by_value
      - .offset:         44
        .size:           4
        .value_kind:     by_value
      - .offset:         48
        .size:           4
        .value_kind:     hidden_block_count_x
      - .offset:         52
        .size:           4
        .value_kind:     hidden_block_count_y
      - .offset:         56
        .size:           4
        .value_kind:     hidden_block_count_z
      - .offset:         60
        .size:           2
        .value_kind:     hidden_group_size_x
      - .offset:         62
        .size:           2
        .value_kind:     hidden_group_size_y
      - .offset:         64
        .size:           2
        .value_kind:     hidden_group_size_z
      - .offset:         66
        .size:           2
        .value_kind:     hidden_remainder_x
      - .offset:         68
        .size:           2
        .value_kind:     hidden_remainder_y
      - .offset:         70
        .size:           2
        .value_kind:     hidden_remainder_z
      - .offset:         88
        .size:           8
        .value_kind:     hidden_global_offset_x
      - .offset:         96
        .size:           8
        .value_kind:     hidden_global_offset_y
      - .offset:         104
        .size:           8
        .value_kind:     hidden_global_offset_z
      - .offset:         112
        .size:           2
        .value_kind:     hidden_grid_dims
    .group_segment_fixed_size: 0
    .kernarg_segment_align: 8
    .kernarg_segment_size: 304
    .language:       OpenCL C
    .language_version:
      - 2
      - 0
    .max_flat_workgroup_size: 1024
    .name:           _ZL9moe_vec_qIN3c104HalfELi256ELi32E10block_q6_KLi1EXadL_ZL17vec_dot_q6_K_q8_1PKvPK10block_q8_1RKiEEEvS4_S4_PT_PS8_iiii
    .private_segment_fixed_size: 0
    .sgpr_count:     26
    .sgpr_spill_count: 0
    .symbol:         _ZL9moe_vec_qIN3c104HalfELi256ELi32E10block_q6_KLi1EXadL_ZL17vec_dot_q6_K_q8_1PKvPK10block_q8_1RKiEEEvS4_S4_PT_PS8_iiii.kd
    .uniform_work_group_size: 1
    .uses_dynamic_stack: false
    .vgpr_count:     37
    .vgpr_spill_count: 0
    .wavefront_size: 64
  - .agpr_count:     0
    .args:
      - .actual_access:  read_only
        .address_space:  global
        .offset:         0
        .size:           8
        .value_kind:     global_buffer
      - .actual_access:  read_only
        .address_space:  global
        .offset:         8
        .size:           8
        .value_kind:     global_buffer
      - .actual_access:  write_only
        .address_space:  global
        .offset:         16
        .size:           8
        .value_kind:     global_buffer
      - .address_space:  global
        .offset:         24
        .size:           8
        .value_kind:     global_buffer
      - .offset:         32
        .size:           4
        .value_kind:     by_value
      - .offset:         36
        .size:           4
        .value_kind:     by_value
      - .offset:         40
        .size:           4
        .value_kind:     by_value
      - .offset:         44
        .size:           4
        .value_kind:     by_value
      - .offset:         48
        .size:           4
        .value_kind:     hidden_block_count_x
      - .offset:         52
        .size:           4
        .value_kind:     hidden_block_count_y
      - .offset:         56
        .size:           4
        .value_kind:     hidden_block_count_z
      - .offset:         60
        .size:           2
        .value_kind:     hidden_group_size_x
      - .offset:         62
        .size:           2
        .value_kind:     hidden_group_size_y
      - .offset:         64
        .size:           2
        .value_kind:     hidden_group_size_z
      - .offset:         66
        .size:           2
        .value_kind:     hidden_remainder_x
      - .offset:         68
        .size:           2
        .value_kind:     hidden_remainder_y
      - .offset:         70
        .size:           2
        .value_kind:     hidden_remainder_z
      - .offset:         88
        .size:           8
        .value_kind:     hidden_global_offset_x
      - .offset:         96
        .size:           8
        .value_kind:     hidden_global_offset_y
      - .offset:         104
        .size:           8
        .value_kind:     hidden_global_offset_z
      - .offset:         112
        .size:           2
        .value_kind:     hidden_grid_dims
    .group_segment_fixed_size: 0
    .kernarg_segment_align: 8
    .kernarg_segment_size: 304
    .language:       OpenCL C
    .language_version:
      - 2
      - 0
    .max_flat_workgroup_size: 1024
    .name:           _ZL9moe_vec_qIN3c104HalfELi256ELi8E13block_iq2_xxsLi1EXadL_ZL20vec_dot_iq2_xxs_q8_1PKvPK10block_q8_1RKiEEEvS4_S4_PT_PS8_iiii
    .private_segment_fixed_size: 0
    .sgpr_count:     67
    .sgpr_spill_count: 0
    .symbol:         _ZL9moe_vec_qIN3c104HalfELi256ELi8E13block_iq2_xxsLi1EXadL_ZL20vec_dot_iq2_xxs_q8_1PKvPK10block_q8_1RKiEEEvS4_S4_PT_PS8_iiii.kd
    .uniform_work_group_size: 1
    .uses_dynamic_stack: false
    .vgpr_count:     73
    .vgpr_spill_count: 0
    .wavefront_size: 64
  - .agpr_count:     0
    .args:
      - .actual_access:  read_only
        .address_space:  global
        .offset:         0
        .size:           8
        .value_kind:     global_buffer
      - .actual_access:  read_only
        .address_space:  global
        .offset:         8
        .size:           8
        .value_kind:     global_buffer
      - .actual_access:  write_only
        .address_space:  global
        .offset:         16
        .size:           8
        .value_kind:     global_buffer
      - .address_space:  global
        .offset:         24
        .size:           8
        .value_kind:     global_buffer
      - .offset:         32
        .size:           4
        .value_kind:     by_value
      - .offset:         36
        .size:           4
        .value_kind:     by_value
      - .offset:         40
        .size:           4
        .value_kind:     by_value
      - .offset:         44
        .size:           4
        .value_kind:     by_value
      - .offset:         48
        .size:           4
        .value_kind:     hidden_block_count_x
      - .offset:         52
        .size:           4
        .value_kind:     hidden_block_count_y
      - .offset:         56
        .size:           4
        .value_kind:     hidden_block_count_z
      - .offset:         60
        .size:           2
        .value_kind:     hidden_group_size_x
      - .offset:         62
        .size:           2
        .value_kind:     hidden_group_size_y
      - .offset:         64
        .size:           2
        .value_kind:     hidden_group_size_z
      - .offset:         66
        .size:           2
        .value_kind:     hidden_remainder_x
      - .offset:         68
        .size:           2
        .value_kind:     hidden_remainder_y
      - .offset:         70
        .size:           2
        .value_kind:     hidden_remainder_z
      - .offset:         88
        .size:           8
        .value_kind:     hidden_global_offset_x
      - .offset:         96
        .size:           8
        .value_kind:     hidden_global_offset_y
      - .offset:         104
        .size:           8
        .value_kind:     hidden_global_offset_z
      - .offset:         112
        .size:           2
        .value_kind:     hidden_grid_dims
    .group_segment_fixed_size: 0
    .kernarg_segment_align: 8
    .kernarg_segment_size: 304
    .language:       OpenCL C
    .language_version:
      - 2
      - 0
    .max_flat_workgroup_size: 1024
    .name:           _ZL9moe_vec_qIN3c104HalfELi256ELi8E12block_iq2_xsLi1EXadL_ZL19vec_dot_iq2_xs_q8_1PKvPK10block_q8_1RKiEEEvS4_S4_PT_PS8_iiii
    .private_segment_fixed_size: 0
    .sgpr_count:     81
    .sgpr_spill_count: 0
    .symbol:         _ZL9moe_vec_qIN3c104HalfELi256ELi8E12block_iq2_xsLi1EXadL_ZL19vec_dot_iq2_xs_q8_1PKvPK10block_q8_1RKiEEEvS4_S4_PT_PS8_iiii.kd
    .uniform_work_group_size: 1
    .uses_dynamic_stack: false
    .vgpr_count:     82
    .vgpr_spill_count: 0
    .wavefront_size: 64
  - .agpr_count:     0
    .args:
      - .actual_access:  read_only
        .address_space:  global
        .offset:         0
        .size:           8
        .value_kind:     global_buffer
      - .actual_access:  read_only
        .address_space:  global
        .offset:         8
        .size:           8
        .value_kind:     global_buffer
      - .actual_access:  write_only
        .address_space:  global
        .offset:         16
        .size:           8
        .value_kind:     global_buffer
      - .address_space:  global
        .offset:         24
        .size:           8
        .value_kind:     global_buffer
      - .offset:         32
        .size:           4
        .value_kind:     by_value
      - .offset:         36
        .size:           4
        .value_kind:     by_value
      - .offset:         40
        .size:           4
        .value_kind:     by_value
      - .offset:         44
        .size:           4
        .value_kind:     by_value
      - .offset:         48
        .size:           4
        .value_kind:     hidden_block_count_x
      - .offset:         52
        .size:           4
        .value_kind:     hidden_block_count_y
      - .offset:         56
        .size:           4
        .value_kind:     hidden_block_count_z
      - .offset:         60
        .size:           2
        .value_kind:     hidden_group_size_x
      - .offset:         62
        .size:           2
        .value_kind:     hidden_group_size_y
      - .offset:         64
        .size:           2
        .value_kind:     hidden_group_size_z
      - .offset:         66
        .size:           2
        .value_kind:     hidden_remainder_x
      - .offset:         68
        .size:           2
        .value_kind:     hidden_remainder_y
      - .offset:         70
        .size:           2
        .value_kind:     hidden_remainder_z
      - .offset:         88
        .size:           8
        .value_kind:     hidden_global_offset_x
      - .offset:         96
        .size:           8
        .value_kind:     hidden_global_offset_y
      - .offset:         104
        .size:           8
        .value_kind:     hidden_global_offset_z
      - .offset:         112
        .size:           2
        .value_kind:     hidden_grid_dims
    .group_segment_fixed_size: 0
    .kernarg_segment_align: 8
    .kernarg_segment_size: 304
    .language:       OpenCL C
    .language_version:
      - 2
      - 0
    .max_flat_workgroup_size: 1024
    .name:           _ZL9moe_vec_qIN3c104HalfELi256ELi8E13block_iq3_xxsLi1EXadL_ZL20vec_dot_iq3_xxs_q8_1PKvPK10block_q8_1RKiEEEvS4_S4_PT_PS8_iiii
    .private_segment_fixed_size: 0
    .sgpr_count:     26
    .sgpr_spill_count: 0
    .symbol:         _ZL9moe_vec_qIN3c104HalfELi256ELi8E13block_iq3_xxsLi1EXadL_ZL20vec_dot_iq3_xxs_q8_1PKvPK10block_q8_1RKiEEEvS4_S4_PT_PS8_iiii.kd
    .uniform_work_group_size: 1
    .uses_dynamic_stack: false
    .vgpr_count:     61
    .vgpr_spill_count: 0
    .wavefront_size: 64
  - .agpr_count:     0
    .args:
      - .actual_access:  read_only
        .address_space:  global
        .offset:         0
        .size:           8
        .value_kind:     global_buffer
      - .actual_access:  read_only
        .address_space:  global
        .offset:         8
        .size:           8
        .value_kind:     global_buffer
      - .actual_access:  write_only
        .address_space:  global
        .offset:         16
        .size:           8
        .value_kind:     global_buffer
      - .address_space:  global
        .offset:         24
        .size:           8
        .value_kind:     global_buffer
      - .offset:         32
        .size:           4
        .value_kind:     by_value
      - .offset:         36
        .size:           4
        .value_kind:     by_value
      - .offset:         40
        .size:           4
        .value_kind:     by_value
      - .offset:         44
        .size:           4
        .value_kind:     by_value
      - .offset:         48
        .size:           4
        .value_kind:     hidden_block_count_x
      - .offset:         52
        .size:           4
        .value_kind:     hidden_block_count_y
      - .offset:         56
        .size:           4
        .value_kind:     hidden_block_count_z
      - .offset:         60
        .size:           2
        .value_kind:     hidden_group_size_x
      - .offset:         62
        .size:           2
        .value_kind:     hidden_group_size_y
      - .offset:         64
        .size:           2
        .value_kind:     hidden_group_size_z
      - .offset:         66
        .size:           2
        .value_kind:     hidden_remainder_x
      - .offset:         68
        .size:           2
        .value_kind:     hidden_remainder_y
      - .offset:         70
        .size:           2
        .value_kind:     hidden_remainder_z
      - .offset:         88
        .size:           8
        .value_kind:     hidden_global_offset_x
      - .offset:         96
        .size:           8
        .value_kind:     hidden_global_offset_y
      - .offset:         104
        .size:           8
        .value_kind:     hidden_global_offset_z
      - .offset:         112
        .size:           2
        .value_kind:     hidden_grid_dims
    .group_segment_fixed_size: 0
    .kernarg_segment_align: 8
    .kernarg_segment_size: 304
    .language:       OpenCL C
    .language_version:
      - 2
      - 0
    .max_flat_workgroup_size: 1024
    .name:           _ZL9moe_vec_qIN3c104HalfELi256ELi8E11block_iq1_sLi1EXadL_ZL18vec_dot_iq1_s_q8_1PKvPK10block_q8_1RKiEEEvS4_S4_PT_PS8_iiii
    .private_segment_fixed_size: 0
    .sgpr_count:     26
    .sgpr_spill_count: 0
    .symbol:         _ZL9moe_vec_qIN3c104HalfELi256ELi8E11block_iq1_sLi1EXadL_ZL18vec_dot_iq1_s_q8_1PKvPK10block_q8_1RKiEEEvS4_S4_PT_PS8_iiii.kd
    .uniform_work_group_size: 1
    .uses_dynamic_stack: false
    .vgpr_count:     34
    .vgpr_spill_count: 0
    .wavefront_size: 64
  - .agpr_count:     0
    .args:
      - .actual_access:  read_only
        .address_space:  global
        .offset:         0
        .size:           8
        .value_kind:     global_buffer
      - .actual_access:  read_only
        .address_space:  global
        .offset:         8
        .size:           8
        .value_kind:     global_buffer
      - .actual_access:  write_only
        .address_space:  global
        .offset:         16
        .size:           8
        .value_kind:     global_buffer
      - .address_space:  global
        .offset:         24
        .size:           8
        .value_kind:     global_buffer
      - .offset:         32
        .size:           4
        .value_kind:     by_value
      - .offset:         36
        .size:           4
        .value_kind:     by_value
      - .offset:         40
        .size:           4
        .value_kind:     by_value
      - .offset:         44
        .size:           4
        .value_kind:     by_value
      - .offset:         48
        .size:           4
        .value_kind:     hidden_block_count_x
      - .offset:         52
        .size:           4
        .value_kind:     hidden_block_count_y
      - .offset:         56
        .size:           4
        .value_kind:     hidden_block_count_z
      - .offset:         60
        .size:           2
        .value_kind:     hidden_group_size_x
      - .offset:         62
        .size:           2
        .value_kind:     hidden_group_size_y
      - .offset:         64
        .size:           2
        .value_kind:     hidden_group_size_z
      - .offset:         66
        .size:           2
        .value_kind:     hidden_remainder_x
      - .offset:         68
        .size:           2
        .value_kind:     hidden_remainder_y
      - .offset:         70
        .size:           2
        .value_kind:     hidden_remainder_z
      - .offset:         88
        .size:           8
        .value_kind:     hidden_global_offset_x
      - .offset:         96
        .size:           8
        .value_kind:     hidden_global_offset_y
      - .offset:         104
        .size:           8
        .value_kind:     hidden_global_offset_z
      - .offset:         112
        .size:           2
        .value_kind:     hidden_grid_dims
    .group_segment_fixed_size: 0
    .kernarg_segment_align: 8
    .kernarg_segment_size: 304
    .language:       OpenCL C
    .language_version:
      - 2
      - 0
    .max_flat_workgroup_size: 1024
    .name:           _ZL9moe_vec_qIN3c104HalfELi32ELi4E12block_iq4_nlLi2EXadL_ZL19vec_dot_iq4_nl_q8_1PKvPK10block_q8_1RKiEEEvS4_S4_PT_PS8_iiii
    .private_segment_fixed_size: 0
    .sgpr_count:     26
    .sgpr_spill_count: 0
    .symbol:         _ZL9moe_vec_qIN3c104HalfELi32ELi4E12block_iq4_nlLi2EXadL_ZL19vec_dot_iq4_nl_q8_1PKvPK10block_q8_1RKiEEEvS4_S4_PT_PS8_iiii.kd
    .uniform_work_group_size: 1
    .uses_dynamic_stack: false
    .vgpr_count:     47
    .vgpr_spill_count: 0
    .wavefront_size: 64
  - .agpr_count:     0
    .args:
      - .actual_access:  read_only
        .address_space:  global
        .offset:         0
        .size:           8
        .value_kind:     global_buffer
      - .actual_access:  read_only
        .address_space:  global
        .offset:         8
        .size:           8
        .value_kind:     global_buffer
      - .actual_access:  write_only
        .address_space:  global
        .offset:         16
        .size:           8
        .value_kind:     global_buffer
      - .address_space:  global
        .offset:         24
        .size:           8
        .value_kind:     global_buffer
      - .offset:         32
        .size:           4
        .value_kind:     by_value
      - .offset:         36
        .size:           4
        .value_kind:     by_value
      - .offset:         40
        .size:           4
        .value_kind:     by_value
      - .offset:         44
        .size:           4
        .value_kind:     by_value
      - .offset:         48
        .size:           4
        .value_kind:     hidden_block_count_x
      - .offset:         52
        .size:           4
        .value_kind:     hidden_block_count_y
      - .offset:         56
        .size:           4
        .value_kind:     hidden_block_count_z
      - .offset:         60
        .size:           2
        .value_kind:     hidden_group_size_x
      - .offset:         62
        .size:           2
        .value_kind:     hidden_group_size_y
      - .offset:         64
        .size:           2
        .value_kind:     hidden_group_size_z
      - .offset:         66
        .size:           2
        .value_kind:     hidden_remainder_x
      - .offset:         68
        .size:           2
        .value_kind:     hidden_remainder_y
      - .offset:         70
        .size:           2
        .value_kind:     hidden_remainder_z
      - .offset:         88
        .size:           8
        .value_kind:     hidden_global_offset_x
      - .offset:         96
        .size:           8
        .value_kind:     hidden_global_offset_y
      - .offset:         104
        .size:           8
        .value_kind:     hidden_global_offset_z
      - .offset:         112
        .size:           2
        .value_kind:     hidden_grid_dims
    .group_segment_fixed_size: 0
    .kernarg_segment_align: 8
    .kernarg_segment_size: 304
    .language:       OpenCL C
    .language_version:
      - 2
      - 0
    .max_flat_workgroup_size: 1024
    .name:           _ZL9moe_vec_qIN3c104HalfELi256ELi8E11block_iq3_sLi1EXadL_ZL18vec_dot_iq3_s_q8_1PKvPK10block_q8_1RKiEEEvS4_S4_PT_PS8_iiii
    .private_segment_fixed_size: 0
    .sgpr_count:     26
    .sgpr_spill_count: 0
    .symbol:         _ZL9moe_vec_qIN3c104HalfELi256ELi8E11block_iq3_sLi1EXadL_ZL18vec_dot_iq3_s_q8_1PKvPK10block_q8_1RKiEEEvS4_S4_PT_PS8_iiii.kd
    .uniform_work_group_size: 1
    .uses_dynamic_stack: false
    .vgpr_count:     48
    .vgpr_spill_count: 0
    .wavefront_size: 64
  - .agpr_count:     0
    .args:
      - .actual_access:  read_only
        .address_space:  global
        .offset:         0
        .size:           8
        .value_kind:     global_buffer
      - .actual_access:  read_only
        .address_space:  global
        .offset:         8
        .size:           8
        .value_kind:     global_buffer
      - .actual_access:  write_only
        .address_space:  global
        .offset:         16
        .size:           8
        .value_kind:     global_buffer
      - .address_space:  global
        .offset:         24
        .size:           8
        .value_kind:     global_buffer
      - .offset:         32
        .size:           4
        .value_kind:     by_value
      - .offset:         36
        .size:           4
        .value_kind:     by_value
      - .offset:         40
        .size:           4
        .value_kind:     by_value
      - .offset:         44
        .size:           4
        .value_kind:     by_value
      - .offset:         48
        .size:           4
        .value_kind:     hidden_block_count_x
      - .offset:         52
        .size:           4
        .value_kind:     hidden_block_count_y
      - .offset:         56
        .size:           4
        .value_kind:     hidden_block_count_z
      - .offset:         60
        .size:           2
        .value_kind:     hidden_group_size_x
      - .offset:         62
        .size:           2
        .value_kind:     hidden_group_size_y
      - .offset:         64
        .size:           2
        .value_kind:     hidden_group_size_z
      - .offset:         66
        .size:           2
        .value_kind:     hidden_remainder_x
      - .offset:         68
        .size:           2
        .value_kind:     hidden_remainder_y
      - .offset:         70
        .size:           2
        .value_kind:     hidden_remainder_z
      - .offset:         88
        .size:           8
        .value_kind:     hidden_global_offset_x
      - .offset:         96
        .size:           8
        .value_kind:     hidden_global_offset_y
      - .offset:         104
        .size:           8
        .value_kind:     hidden_global_offset_z
      - .offset:         112
        .size:           2
        .value_kind:     hidden_grid_dims
    .group_segment_fixed_size: 0
    .kernarg_segment_align: 8
    .kernarg_segment_size: 304
    .language:       OpenCL C
    .language_version:
      - 2
      - 0
    .max_flat_workgroup_size: 1024
    .name:           _ZL9moe_vec_qIN3c104HalfELi256ELi8E11block_iq2_sLi1EXadL_ZL18vec_dot_iq2_s_q8_1PKvPK10block_q8_1RKiEEEvS4_S4_PT_PS8_iiii
    .private_segment_fixed_size: 0
    .sgpr_count:     26
    .sgpr_spill_count: 0
    .symbol:         _ZL9moe_vec_qIN3c104HalfELi256ELi8E11block_iq2_sLi1EXadL_ZL18vec_dot_iq2_s_q8_1PKvPK10block_q8_1RKiEEEvS4_S4_PT_PS8_iiii.kd
    .uniform_work_group_size: 1
    .uses_dynamic_stack: false
    .vgpr_count:     65
    .vgpr_spill_count: 0
    .wavefront_size: 64
  - .agpr_count:     0
    .args:
      - .actual_access:  read_only
        .address_space:  global
        .offset:         0
        .size:           8
        .value_kind:     global_buffer
      - .actual_access:  read_only
        .address_space:  global
        .offset:         8
        .size:           8
        .value_kind:     global_buffer
      - .actual_access:  write_only
        .address_space:  global
        .offset:         16
        .size:           8
        .value_kind:     global_buffer
      - .address_space:  global
        .offset:         24
        .size:           8
        .value_kind:     global_buffer
      - .offset:         32
        .size:           4
        .value_kind:     by_value
      - .offset:         36
        .size:           4
        .value_kind:     by_value
      - .offset:         40
        .size:           4
        .value_kind:     by_value
      - .offset:         44
        .size:           4
        .value_kind:     by_value
      - .offset:         48
        .size:           4
        .value_kind:     hidden_block_count_x
      - .offset:         52
        .size:           4
        .value_kind:     hidden_block_count_y
      - .offset:         56
        .size:           4
        .value_kind:     hidden_block_count_z
      - .offset:         60
        .size:           2
        .value_kind:     hidden_group_size_x
      - .offset:         62
        .size:           2
        .value_kind:     hidden_group_size_y
      - .offset:         64
        .size:           2
        .value_kind:     hidden_group_size_z
      - .offset:         66
        .size:           2
        .value_kind:     hidden_remainder_x
      - .offset:         68
        .size:           2
        .value_kind:     hidden_remainder_y
      - .offset:         70
        .size:           2
        .value_kind:     hidden_remainder_z
      - .offset:         88
        .size:           8
        .value_kind:     hidden_global_offset_x
      - .offset:         96
        .size:           8
        .value_kind:     hidden_global_offset_y
      - .offset:         104
        .size:           8
        .value_kind:     hidden_global_offset_z
      - .offset:         112
        .size:           2
        .value_kind:     hidden_grid_dims
    .group_segment_fixed_size: 0
    .kernarg_segment_align: 8
    .kernarg_segment_size: 304
    .language:       OpenCL C
    .language_version:
      - 2
      - 0
    .max_flat_workgroup_size: 1024
    .name:           _ZL9moe_vec_qIN3c104HalfELi256ELi8E12block_iq4_xsLi1EXadL_ZL19vec_dot_iq4_xs_q8_1PKvPK10block_q8_1RKiEEEvS4_S4_PT_PS8_iiii
    .private_segment_fixed_size: 0
    .sgpr_count:     26
    .sgpr_spill_count: 0
    .symbol:         _ZL9moe_vec_qIN3c104HalfELi256ELi8E12block_iq4_xsLi1EXadL_ZL19vec_dot_iq4_xs_q8_1PKvPK10block_q8_1RKiEEEvS4_S4_PT_PS8_iiii.kd
    .uniform_work_group_size: 1
    .uses_dynamic_stack: false
    .vgpr_count:     64
    .vgpr_spill_count: 0
    .wavefront_size: 64
  - .agpr_count:     0
    .args:
      - .actual_access:  read_only
        .address_space:  global
        .offset:         0
        .size:           8
        .value_kind:     global_buffer
      - .actual_access:  read_only
        .address_space:  global
        .offset:         8
        .size:           8
        .value_kind:     global_buffer
      - .actual_access:  write_only
        .address_space:  global
        .offset:         16
        .size:           8
        .value_kind:     global_buffer
      - .address_space:  global
        .offset:         24
        .size:           8
        .value_kind:     global_buffer
      - .offset:         32
        .size:           4
        .value_kind:     by_value
      - .offset:         36
        .size:           4
        .value_kind:     by_value
      - .offset:         40
        .size:           4
        .value_kind:     by_value
      - .offset:         44
        .size:           4
        .value_kind:     by_value
      - .offset:         48
        .size:           4
        .value_kind:     hidden_block_count_x
      - .offset:         52
        .size:           4
        .value_kind:     hidden_block_count_y
      - .offset:         56
        .size:           4
        .value_kind:     hidden_block_count_z
      - .offset:         60
        .size:           2
        .value_kind:     hidden_group_size_x
      - .offset:         62
        .size:           2
        .value_kind:     hidden_group_size_y
      - .offset:         64
        .size:           2
        .value_kind:     hidden_group_size_z
      - .offset:         66
        .size:           2
        .value_kind:     hidden_remainder_x
      - .offset:         68
        .size:           2
        .value_kind:     hidden_remainder_y
      - .offset:         70
        .size:           2
        .value_kind:     hidden_remainder_z
      - .offset:         88
        .size:           8
        .value_kind:     hidden_global_offset_x
      - .offset:         96
        .size:           8
        .value_kind:     hidden_global_offset_y
      - .offset:         104
        .size:           8
        .value_kind:     hidden_global_offset_z
      - .offset:         112
        .size:           2
        .value_kind:     hidden_grid_dims
    .group_segment_fixed_size: 0
    .kernarg_segment_align: 8
    .kernarg_segment_size: 304
    .language:       OpenCL C
    .language_version:
      - 2
      - 0
    .max_flat_workgroup_size: 1024
    .name:           _ZL9moe_vec_qIN3c104HalfELi256ELi8E11block_iq1_mLi1EXadL_ZL18vec_dot_iq1_m_q8_1PKvPK10block_q8_1RKiEEEvS4_S4_PT_PS8_iiii
    .private_segment_fixed_size: 0
    .sgpr_count:     28
    .sgpr_spill_count: 0
    .symbol:         _ZL9moe_vec_qIN3c104HalfELi256ELi8E11block_iq1_mLi1EXadL_ZL18vec_dot_iq1_m_q8_1PKvPK10block_q8_1RKiEEEvS4_S4_PT_PS8_iiii.kd
    .uniform_work_group_size: 1
    .uses_dynamic_stack: false
    .vgpr_count:     47
    .vgpr_spill_count: 0
    .wavefront_size: 64
  - .agpr_count:     0
    .args:
      - .actual_access:  read_only
        .address_space:  global
        .offset:         0
        .size:           8
        .value_kind:     global_buffer
      - .actual_access:  read_only
        .address_space:  global
        .offset:         8
        .size:           8
        .value_kind:     global_buffer
      - .actual_access:  write_only
        .address_space:  global
        .offset:         16
        .size:           8
        .value_kind:     global_buffer
      - .address_space:  global
        .offset:         24
        .size:           8
        .value_kind:     global_buffer
      - .offset:         32
        .size:           4
        .value_kind:     by_value
      - .offset:         36
        .size:           4
        .value_kind:     by_value
      - .offset:         40
        .size:           4
        .value_kind:     by_value
      - .offset:         44
        .size:           4
        .value_kind:     by_value
      - .offset:         48
        .size:           4
        .value_kind:     hidden_block_count_x
      - .offset:         52
        .size:           4
        .value_kind:     hidden_block_count_y
      - .offset:         56
        .size:           4
        .value_kind:     hidden_block_count_z
      - .offset:         60
        .size:           2
        .value_kind:     hidden_group_size_x
      - .offset:         62
        .size:           2
        .value_kind:     hidden_group_size_y
      - .offset:         64
        .size:           2
        .value_kind:     hidden_group_size_z
      - .offset:         66
        .size:           2
        .value_kind:     hidden_remainder_x
      - .offset:         68
        .size:           2
        .value_kind:     hidden_remainder_y
      - .offset:         70
        .size:           2
        .value_kind:     hidden_remainder_z
      - .offset:         88
        .size:           8
        .value_kind:     hidden_global_offset_x
      - .offset:         96
        .size:           8
        .value_kind:     hidden_global_offset_y
      - .offset:         104
        .size:           8
        .value_kind:     hidden_global_offset_z
      - .offset:         112
        .size:           2
        .value_kind:     hidden_grid_dims
    .group_segment_fixed_size: 0
    .kernarg_segment_align: 8
    .kernarg_segment_size: 304
    .language:       OpenCL C
    .language_version:
      - 2
      - 0
    .max_flat_workgroup_size: 1024
    .name:           _ZL9moe_vec_qIN3c108BFloat16ELi32ELi4E10block_q4_0Li2EXadL_ZL17vec_dot_q4_0_q8_1PKvPK10block_q8_1RKiEEEvS4_S4_PT_PS8_iiii
    .private_segment_fixed_size: 0
    .sgpr_count:     26
    .sgpr_spill_count: 0
    .symbol:         _ZL9moe_vec_qIN3c108BFloat16ELi32ELi4E10block_q4_0Li2EXadL_ZL17vec_dot_q4_0_q8_1PKvPK10block_q8_1RKiEEEvS4_S4_PT_PS8_iiii.kd
    .uniform_work_group_size: 1
    .uses_dynamic_stack: false
    .vgpr_count:     24
    .vgpr_spill_count: 0
    .wavefront_size: 64
  - .agpr_count:     0
    .args:
      - .actual_access:  read_only
        .address_space:  global
        .offset:         0
        .size:           8
        .value_kind:     global_buffer
      - .actual_access:  read_only
        .address_space:  global
        .offset:         8
        .size:           8
        .value_kind:     global_buffer
      - .actual_access:  write_only
        .address_space:  global
        .offset:         16
        .size:           8
        .value_kind:     global_buffer
      - .address_space:  global
        .offset:         24
        .size:           8
        .value_kind:     global_buffer
      - .offset:         32
        .size:           4
        .value_kind:     by_value
      - .offset:         36
        .size:           4
        .value_kind:     by_value
      - .offset:         40
        .size:           4
        .value_kind:     by_value
      - .offset:         44
        .size:           4
        .value_kind:     by_value
      - .offset:         48
        .size:           4
        .value_kind:     hidden_block_count_x
      - .offset:         52
        .size:           4
        .value_kind:     hidden_block_count_y
      - .offset:         56
        .size:           4
        .value_kind:     hidden_block_count_z
      - .offset:         60
        .size:           2
        .value_kind:     hidden_group_size_x
      - .offset:         62
        .size:           2
        .value_kind:     hidden_group_size_y
      - .offset:         64
        .size:           2
        .value_kind:     hidden_group_size_z
      - .offset:         66
        .size:           2
        .value_kind:     hidden_remainder_x
      - .offset:         68
        .size:           2
        .value_kind:     hidden_remainder_y
      - .offset:         70
        .size:           2
        .value_kind:     hidden_remainder_z
      - .offset:         88
        .size:           8
        .value_kind:     hidden_global_offset_x
      - .offset:         96
        .size:           8
        .value_kind:     hidden_global_offset_y
      - .offset:         104
        .size:           8
        .value_kind:     hidden_global_offset_z
      - .offset:         112
        .size:           2
        .value_kind:     hidden_grid_dims
    .group_segment_fixed_size: 0
    .kernarg_segment_align: 8
    .kernarg_segment_size: 304
    .language:       OpenCL C
    .language_version:
      - 2
      - 0
    .max_flat_workgroup_size: 1024
    .name:           _ZL9moe_vec_qIN3c108BFloat16ELi32ELi4E10block_q4_1Li2EXadL_ZL17vec_dot_q4_1_q8_1PKvPK10block_q8_1RKiEEEvS4_S4_PT_PS8_iiii
    .private_segment_fixed_size: 0
    .sgpr_count:     26
    .sgpr_spill_count: 0
    .symbol:         _ZL9moe_vec_qIN3c108BFloat16ELi32ELi4E10block_q4_1Li2EXadL_ZL17vec_dot_q4_1_q8_1PKvPK10block_q8_1RKiEEEvS4_S4_PT_PS8_iiii.kd
    .uniform_work_group_size: 1
    .uses_dynamic_stack: false
    .vgpr_count:     21
    .vgpr_spill_count: 0
    .wavefront_size: 64
  - .agpr_count:     0
    .args:
      - .actual_access:  read_only
        .address_space:  global
        .offset:         0
        .size:           8
        .value_kind:     global_buffer
      - .actual_access:  read_only
        .address_space:  global
        .offset:         8
        .size:           8
        .value_kind:     global_buffer
      - .actual_access:  write_only
        .address_space:  global
        .offset:         16
        .size:           8
        .value_kind:     global_buffer
      - .address_space:  global
        .offset:         24
        .size:           8
        .value_kind:     global_buffer
      - .offset:         32
        .size:           4
        .value_kind:     by_value
      - .offset:         36
        .size:           4
        .value_kind:     by_value
      - .offset:         40
        .size:           4
        .value_kind:     by_value
      - .offset:         44
        .size:           4
        .value_kind:     by_value
      - .offset:         48
        .size:           4
        .value_kind:     hidden_block_count_x
      - .offset:         52
        .size:           4
        .value_kind:     hidden_block_count_y
      - .offset:         56
        .size:           4
        .value_kind:     hidden_block_count_z
      - .offset:         60
        .size:           2
        .value_kind:     hidden_group_size_x
      - .offset:         62
        .size:           2
        .value_kind:     hidden_group_size_y
      - .offset:         64
        .size:           2
        .value_kind:     hidden_group_size_z
      - .offset:         66
        .size:           2
        .value_kind:     hidden_remainder_x
      - .offset:         68
        .size:           2
        .value_kind:     hidden_remainder_y
      - .offset:         70
        .size:           2
        .value_kind:     hidden_remainder_z
      - .offset:         88
        .size:           8
        .value_kind:     hidden_global_offset_x
      - .offset:         96
        .size:           8
        .value_kind:     hidden_global_offset_y
      - .offset:         104
        .size:           8
        .value_kind:     hidden_global_offset_z
      - .offset:         112
        .size:           2
        .value_kind:     hidden_grid_dims
    .group_segment_fixed_size: 0
    .kernarg_segment_align: 8
    .kernarg_segment_size: 304
    .language:       OpenCL C
    .language_version:
      - 2
      - 0
    .max_flat_workgroup_size: 1024
    .name:           _ZL9moe_vec_qIN3c108BFloat16ELi32ELi4E10block_q5_0Li2EXadL_ZL17vec_dot_q5_0_q8_1PKvPK10block_q8_1RKiEEEvS4_S4_PT_PS8_iiii
    .private_segment_fixed_size: 0
    .sgpr_count:     26
    .sgpr_spill_count: 0
    .symbol:         _ZL9moe_vec_qIN3c108BFloat16ELi32ELi4E10block_q5_0Li2EXadL_ZL17vec_dot_q5_0_q8_1PKvPK10block_q8_1RKiEEEvS4_S4_PT_PS8_iiii.kd
    .uniform_work_group_size: 1
    .uses_dynamic_stack: false
    .vgpr_count:     37
    .vgpr_spill_count: 0
    .wavefront_size: 64
  - .agpr_count:     0
    .args:
      - .actual_access:  read_only
        .address_space:  global
        .offset:         0
        .size:           8
        .value_kind:     global_buffer
      - .actual_access:  read_only
        .address_space:  global
        .offset:         8
        .size:           8
        .value_kind:     global_buffer
      - .actual_access:  write_only
        .address_space:  global
        .offset:         16
        .size:           8
        .value_kind:     global_buffer
      - .address_space:  global
        .offset:         24
        .size:           8
        .value_kind:     global_buffer
      - .offset:         32
        .size:           4
        .value_kind:     by_value
      - .offset:         36
        .size:           4
        .value_kind:     by_value
      - .offset:         40
        .size:           4
        .value_kind:     by_value
      - .offset:         44
        .size:           4
        .value_kind:     by_value
      - .offset:         48
        .size:           4
        .value_kind:     hidden_block_count_x
      - .offset:         52
        .size:           4
        .value_kind:     hidden_block_count_y
      - .offset:         56
        .size:           4
        .value_kind:     hidden_block_count_z
      - .offset:         60
        .size:           2
        .value_kind:     hidden_group_size_x
      - .offset:         62
        .size:           2
        .value_kind:     hidden_group_size_y
      - .offset:         64
        .size:           2
        .value_kind:     hidden_group_size_z
      - .offset:         66
        .size:           2
        .value_kind:     hidden_remainder_x
      - .offset:         68
        .size:           2
        .value_kind:     hidden_remainder_y
      - .offset:         70
        .size:           2
        .value_kind:     hidden_remainder_z
      - .offset:         88
        .size:           8
        .value_kind:     hidden_global_offset_x
      - .offset:         96
        .size:           8
        .value_kind:     hidden_global_offset_y
      - .offset:         104
        .size:           8
        .value_kind:     hidden_global_offset_z
      - .offset:         112
        .size:           2
        .value_kind:     hidden_grid_dims
    .group_segment_fixed_size: 0
    .kernarg_segment_align: 8
    .kernarg_segment_size: 304
    .language:       OpenCL C
    .language_version:
      - 2
      - 0
    .max_flat_workgroup_size: 1024
    .name:           _ZL9moe_vec_qIN3c108BFloat16ELi32ELi4E10block_q5_1Li2EXadL_ZL17vec_dot_q5_1_q8_1PKvPK10block_q8_1RKiEEEvS4_S4_PT_PS8_iiii
    .private_segment_fixed_size: 0
    .sgpr_count:     26
    .sgpr_spill_count: 0
    .symbol:         _ZL9moe_vec_qIN3c108BFloat16ELi32ELi4E10block_q5_1Li2EXadL_ZL17vec_dot_q5_1_q8_1PKvPK10block_q8_1RKiEEEvS4_S4_PT_PS8_iiii.kd
    .uniform_work_group_size: 1
    .uses_dynamic_stack: false
    .vgpr_count:     35
    .vgpr_spill_count: 0
    .wavefront_size: 64
  - .agpr_count:     0
    .args:
      - .actual_access:  read_only
        .address_space:  global
        .offset:         0
        .size:           8
        .value_kind:     global_buffer
      - .actual_access:  read_only
        .address_space:  global
        .offset:         8
        .size:           8
        .value_kind:     global_buffer
      - .actual_access:  write_only
        .address_space:  global
        .offset:         16
        .size:           8
        .value_kind:     global_buffer
      - .address_space:  global
        .offset:         24
        .size:           8
        .value_kind:     global_buffer
      - .offset:         32
        .size:           4
        .value_kind:     by_value
      - .offset:         36
        .size:           4
        .value_kind:     by_value
      - .offset:         40
        .size:           4
        .value_kind:     by_value
      - .offset:         44
        .size:           4
        .value_kind:     by_value
      - .offset:         48
        .size:           4
        .value_kind:     hidden_block_count_x
      - .offset:         52
        .size:           4
        .value_kind:     hidden_block_count_y
      - .offset:         56
        .size:           4
        .value_kind:     hidden_block_count_z
      - .offset:         60
        .size:           2
        .value_kind:     hidden_group_size_x
      - .offset:         62
        .size:           2
        .value_kind:     hidden_group_size_y
      - .offset:         64
        .size:           2
        .value_kind:     hidden_group_size_z
      - .offset:         66
        .size:           2
        .value_kind:     hidden_remainder_x
      - .offset:         68
        .size:           2
        .value_kind:     hidden_remainder_y
      - .offset:         70
        .size:           2
        .value_kind:     hidden_remainder_z
      - .offset:         88
        .size:           8
        .value_kind:     hidden_global_offset_x
      - .offset:         96
        .size:           8
        .value_kind:     hidden_global_offset_y
      - .offset:         104
        .size:           8
        .value_kind:     hidden_global_offset_z
      - .offset:         112
        .size:           2
        .value_kind:     hidden_grid_dims
    .group_segment_fixed_size: 0
    .kernarg_segment_align: 8
    .kernarg_segment_size: 304
    .language:       OpenCL C
    .language_version:
      - 2
      - 0
    .max_flat_workgroup_size: 1024
    .name:           _ZL9moe_vec_qIN3c108BFloat16ELi32ELi8E10block_q8_0Li2EXadL_ZL17vec_dot_q8_0_q8_1PKvPK10block_q8_1RKiEEEvS4_S4_PT_PS8_iiii
    .private_segment_fixed_size: 0
    .sgpr_count:     26
    .sgpr_spill_count: 0
    .symbol:         _ZL9moe_vec_qIN3c108BFloat16ELi32ELi8E10block_q8_0Li2EXadL_ZL17vec_dot_q8_0_q8_1PKvPK10block_q8_1RKiEEEvS4_S4_PT_PS8_iiii.kd
    .uniform_work_group_size: 1
    .uses_dynamic_stack: false
    .vgpr_count:     19
    .vgpr_spill_count: 0
    .wavefront_size: 64
  - .agpr_count:     0
    .args:
      - .actual_access:  read_only
        .address_space:  global
        .offset:         0
        .size:           8
        .value_kind:     global_buffer
      - .actual_access:  read_only
        .address_space:  global
        .offset:         8
        .size:           8
        .value_kind:     global_buffer
      - .actual_access:  write_only
        .address_space:  global
        .offset:         16
        .size:           8
        .value_kind:     global_buffer
      - .address_space:  global
        .offset:         24
        .size:           8
        .value_kind:     global_buffer
      - .offset:         32
        .size:           4
        .value_kind:     by_value
      - .offset:         36
        .size:           4
        .value_kind:     by_value
      - .offset:         40
        .size:           4
        .value_kind:     by_value
      - .offset:         44
        .size:           4
        .value_kind:     by_value
      - .offset:         48
        .size:           4
        .value_kind:     hidden_block_count_x
      - .offset:         52
        .size:           4
        .value_kind:     hidden_block_count_y
      - .offset:         56
        .size:           4
        .value_kind:     hidden_block_count_z
      - .offset:         60
        .size:           2
        .value_kind:     hidden_group_size_x
      - .offset:         62
        .size:           2
        .value_kind:     hidden_group_size_y
      - .offset:         64
        .size:           2
        .value_kind:     hidden_group_size_z
      - .offset:         66
        .size:           2
        .value_kind:     hidden_remainder_x
      - .offset:         68
        .size:           2
        .value_kind:     hidden_remainder_y
      - .offset:         70
        .size:           2
        .value_kind:     hidden_remainder_z
      - .offset:         88
        .size:           8
        .value_kind:     hidden_global_offset_x
      - .offset:         96
        .size:           8
        .value_kind:     hidden_global_offset_y
      - .offset:         104
        .size:           8
        .value_kind:     hidden_global_offset_z
      - .offset:         112
        .size:           2
        .value_kind:     hidden_grid_dims
    .group_segment_fixed_size: 0
    .kernarg_segment_align: 8
    .kernarg_segment_size: 304
    .language:       OpenCL C
    .language_version:
      - 2
      - 0
    .max_flat_workgroup_size: 1024
    .name:           _ZL9moe_vec_qIN3c108BFloat16ELi256ELi16E10block_q2_KLi1EXadL_ZL17vec_dot_q2_K_q8_1PKvPK10block_q8_1RKiEEEvS4_S4_PT_PS8_iiii
    .private_segment_fixed_size: 0
    .sgpr_count:     26
    .sgpr_spill_count: 0
    .symbol:         _ZL9moe_vec_qIN3c108BFloat16ELi256ELi16E10block_q2_KLi1EXadL_ZL17vec_dot_q2_K_q8_1PKvPK10block_q8_1RKiEEEvS4_S4_PT_PS8_iiii.kd
    .uniform_work_group_size: 1
    .uses_dynamic_stack: false
    .vgpr_count:     47
    .vgpr_spill_count: 0
    .wavefront_size: 64
  - .agpr_count:     0
    .args:
      - .actual_access:  read_only
        .address_space:  global
        .offset:         0
        .size:           8
        .value_kind:     global_buffer
      - .actual_access:  read_only
        .address_space:  global
        .offset:         8
        .size:           8
        .value_kind:     global_buffer
      - .actual_access:  write_only
        .address_space:  global
        .offset:         16
        .size:           8
        .value_kind:     global_buffer
      - .address_space:  global
        .offset:         24
        .size:           8
        .value_kind:     global_buffer
      - .offset:         32
        .size:           4
        .value_kind:     by_value
      - .offset:         36
        .size:           4
        .value_kind:     by_value
      - .offset:         40
        .size:           4
        .value_kind:     by_value
      - .offset:         44
        .size:           4
        .value_kind:     by_value
      - .offset:         48
        .size:           4
        .value_kind:     hidden_block_count_x
      - .offset:         52
        .size:           4
        .value_kind:     hidden_block_count_y
      - .offset:         56
        .size:           4
        .value_kind:     hidden_block_count_z
      - .offset:         60
        .size:           2
        .value_kind:     hidden_group_size_x
      - .offset:         62
        .size:           2
        .value_kind:     hidden_group_size_y
      - .offset:         64
        .size:           2
        .value_kind:     hidden_group_size_z
      - .offset:         66
        .size:           2
        .value_kind:     hidden_remainder_x
      - .offset:         68
        .size:           2
        .value_kind:     hidden_remainder_y
      - .offset:         70
        .size:           2
        .value_kind:     hidden_remainder_z
      - .offset:         88
        .size:           8
        .value_kind:     hidden_global_offset_x
      - .offset:         96
        .size:           8
        .value_kind:     hidden_global_offset_y
      - .offset:         104
        .size:           8
        .value_kind:     hidden_global_offset_z
      - .offset:         112
        .size:           2
        .value_kind:     hidden_grid_dims
    .group_segment_fixed_size: 0
    .kernarg_segment_align: 8
    .kernarg_segment_size: 304
    .language:       OpenCL C
    .language_version:
      - 2
      - 0
    .max_flat_workgroup_size: 1024
    .name:           _ZL9moe_vec_qIN3c108BFloat16ELi256ELi16E10block_q3_KLi1EXadL_ZL17vec_dot_q3_K_q8_1PKvPK10block_q8_1RKiEEEvS4_S4_PT_PS8_iiii
    .private_segment_fixed_size: 0
    .sgpr_count:     26
    .sgpr_spill_count: 0
    .symbol:         _ZL9moe_vec_qIN3c108BFloat16ELi256ELi16E10block_q3_KLi1EXadL_ZL17vec_dot_q3_K_q8_1PKvPK10block_q8_1RKiEEEvS4_S4_PT_PS8_iiii.kd
    .uniform_work_group_size: 1
    .uses_dynamic_stack: false
    .vgpr_count:     62
    .vgpr_spill_count: 0
    .wavefront_size: 64
  - .agpr_count:     0
    .args:
      - .actual_access:  read_only
        .address_space:  global
        .offset:         0
        .size:           8
        .value_kind:     global_buffer
      - .actual_access:  read_only
        .address_space:  global
        .offset:         8
        .size:           8
        .value_kind:     global_buffer
      - .actual_access:  write_only
        .address_space:  global
        .offset:         16
        .size:           8
        .value_kind:     global_buffer
      - .address_space:  global
        .offset:         24
        .size:           8
        .value_kind:     global_buffer
      - .offset:         32
        .size:           4
        .value_kind:     by_value
      - .offset:         36
        .size:           4
        .value_kind:     by_value
      - .offset:         40
        .size:           4
        .value_kind:     by_value
      - .offset:         44
        .size:           4
        .value_kind:     by_value
      - .offset:         48
        .size:           4
        .value_kind:     hidden_block_count_x
      - .offset:         52
        .size:           4
        .value_kind:     hidden_block_count_y
      - .offset:         56
        .size:           4
        .value_kind:     hidden_block_count_z
      - .offset:         60
        .size:           2
        .value_kind:     hidden_group_size_x
      - .offset:         62
        .size:           2
        .value_kind:     hidden_group_size_y
      - .offset:         64
        .size:           2
        .value_kind:     hidden_group_size_z
      - .offset:         66
        .size:           2
        .value_kind:     hidden_remainder_x
      - .offset:         68
        .size:           2
        .value_kind:     hidden_remainder_y
      - .offset:         70
        .size:           2
        .value_kind:     hidden_remainder_z
      - .offset:         88
        .size:           8
        .value_kind:     hidden_global_offset_x
      - .offset:         96
        .size:           8
        .value_kind:     hidden_global_offset_y
      - .offset:         104
        .size:           8
        .value_kind:     hidden_global_offset_z
      - .offset:         112
        .size:           2
        .value_kind:     hidden_grid_dims
    .group_segment_fixed_size: 0
    .kernarg_segment_align: 8
    .kernarg_segment_size: 304
    .language:       OpenCL C
    .language_version:
      - 2
      - 0
    .max_flat_workgroup_size: 1024
    .name:           _ZL9moe_vec_qIN3c108BFloat16ELi256ELi32E10block_q4_KLi2EXadL_ZL17vec_dot_q4_K_q8_1PKvPK10block_q8_1RKiEEEvS4_S4_PT_PS8_iiii
    .private_segment_fixed_size: 0
    .sgpr_count:     26
    .sgpr_spill_count: 0
    .symbol:         _ZL9moe_vec_qIN3c108BFloat16ELi256ELi32E10block_q4_KLi2EXadL_ZL17vec_dot_q4_K_q8_1PKvPK10block_q8_1RKiEEEvS4_S4_PT_PS8_iiii.kd
    .uniform_work_group_size: 1
    .uses_dynamic_stack: false
    .vgpr_count:     40
    .vgpr_spill_count: 0
    .wavefront_size: 64
  - .agpr_count:     0
    .args:
      - .actual_access:  read_only
        .address_space:  global
        .offset:         0
        .size:           8
        .value_kind:     global_buffer
      - .actual_access:  read_only
        .address_space:  global
        .offset:         8
        .size:           8
        .value_kind:     global_buffer
      - .actual_access:  write_only
        .address_space:  global
        .offset:         16
        .size:           8
        .value_kind:     global_buffer
      - .address_space:  global
        .offset:         24
        .size:           8
        .value_kind:     global_buffer
      - .offset:         32
        .size:           4
        .value_kind:     by_value
      - .offset:         36
        .size:           4
        .value_kind:     by_value
      - .offset:         40
        .size:           4
        .value_kind:     by_value
      - .offset:         44
        .size:           4
        .value_kind:     by_value
      - .offset:         48
        .size:           4
        .value_kind:     hidden_block_count_x
      - .offset:         52
        .size:           4
        .value_kind:     hidden_block_count_y
      - .offset:         56
        .size:           4
        .value_kind:     hidden_block_count_z
      - .offset:         60
        .size:           2
        .value_kind:     hidden_group_size_x
      - .offset:         62
        .size:           2
        .value_kind:     hidden_group_size_y
      - .offset:         64
        .size:           2
        .value_kind:     hidden_group_size_z
      - .offset:         66
        .size:           2
        .value_kind:     hidden_remainder_x
      - .offset:         68
        .size:           2
        .value_kind:     hidden_remainder_y
      - .offset:         70
        .size:           2
        .value_kind:     hidden_remainder_z
      - .offset:         88
        .size:           8
        .value_kind:     hidden_global_offset_x
      - .offset:         96
        .size:           8
        .value_kind:     hidden_global_offset_y
      - .offset:         104
        .size:           8
        .value_kind:     hidden_global_offset_z
      - .offset:         112
        .size:           2
        .value_kind:     hidden_grid_dims
    .group_segment_fixed_size: 0
    .kernarg_segment_align: 8
    .kernarg_segment_size: 304
    .language:       OpenCL C
    .language_version:
      - 2
      - 0
    .max_flat_workgroup_size: 1024
    .name:           _ZL9moe_vec_qIN3c108BFloat16ELi256ELi32E10block_q5_KLi2EXadL_ZL17vec_dot_q5_K_q8_1PKvPK10block_q8_1RKiEEEvS4_S4_PT_PS8_iiii
    .private_segment_fixed_size: 0
    .sgpr_count:     26
    .sgpr_spill_count: 0
    .symbol:         _ZL9moe_vec_qIN3c108BFloat16ELi256ELi32E10block_q5_KLi2EXadL_ZL17vec_dot_q5_K_q8_1PKvPK10block_q8_1RKiEEEvS4_S4_PT_PS8_iiii.kd
    .uniform_work_group_size: 1
    .uses_dynamic_stack: false
    .vgpr_count:     42
    .vgpr_spill_count: 0
    .wavefront_size: 64
  - .agpr_count:     0
    .args:
      - .actual_access:  read_only
        .address_space:  global
        .offset:         0
        .size:           8
        .value_kind:     global_buffer
      - .actual_access:  read_only
        .address_space:  global
        .offset:         8
        .size:           8
        .value_kind:     global_buffer
      - .actual_access:  write_only
        .address_space:  global
        .offset:         16
        .size:           8
        .value_kind:     global_buffer
      - .address_space:  global
        .offset:         24
        .size:           8
        .value_kind:     global_buffer
      - .offset:         32
        .size:           4
        .value_kind:     by_value
      - .offset:         36
        .size:           4
        .value_kind:     by_value
      - .offset:         40
        .size:           4
        .value_kind:     by_value
      - .offset:         44
        .size:           4
        .value_kind:     by_value
      - .offset:         48
        .size:           4
        .value_kind:     hidden_block_count_x
      - .offset:         52
        .size:           4
        .value_kind:     hidden_block_count_y
      - .offset:         56
        .size:           4
        .value_kind:     hidden_block_count_z
      - .offset:         60
        .size:           2
        .value_kind:     hidden_group_size_x
      - .offset:         62
        .size:           2
        .value_kind:     hidden_group_size_y
      - .offset:         64
        .size:           2
        .value_kind:     hidden_group_size_z
      - .offset:         66
        .size:           2
        .value_kind:     hidden_remainder_x
      - .offset:         68
        .size:           2
        .value_kind:     hidden_remainder_y
      - .offset:         70
        .size:           2
        .value_kind:     hidden_remainder_z
      - .offset:         88
        .size:           8
        .value_kind:     hidden_global_offset_x
      - .offset:         96
        .size:           8
        .value_kind:     hidden_global_offset_y
      - .offset:         104
        .size:           8
        .value_kind:     hidden_global_offset_z
      - .offset:         112
        .size:           2
        .value_kind:     hidden_grid_dims
    .group_segment_fixed_size: 0
    .kernarg_segment_align: 8
    .kernarg_segment_size: 304
    .language:       OpenCL C
    .language_version:
      - 2
      - 0
    .max_flat_workgroup_size: 1024
    .name:           _ZL9moe_vec_qIN3c108BFloat16ELi256ELi32E10block_q6_KLi1EXadL_ZL17vec_dot_q6_K_q8_1PKvPK10block_q8_1RKiEEEvS4_S4_PT_PS8_iiii
    .private_segment_fixed_size: 0
    .sgpr_count:     26
    .sgpr_spill_count: 0
    .symbol:         _ZL9moe_vec_qIN3c108BFloat16ELi256ELi32E10block_q6_KLi1EXadL_ZL17vec_dot_q6_K_q8_1PKvPK10block_q8_1RKiEEEvS4_S4_PT_PS8_iiii.kd
    .uniform_work_group_size: 1
    .uses_dynamic_stack: false
    .vgpr_count:     37
    .vgpr_spill_count: 0
    .wavefront_size: 64
  - .agpr_count:     0
    .args:
      - .actual_access:  read_only
        .address_space:  global
        .offset:         0
        .size:           8
        .value_kind:     global_buffer
      - .actual_access:  read_only
        .address_space:  global
        .offset:         8
        .size:           8
        .value_kind:     global_buffer
      - .actual_access:  write_only
        .address_space:  global
        .offset:         16
        .size:           8
        .value_kind:     global_buffer
      - .address_space:  global
        .offset:         24
        .size:           8
        .value_kind:     global_buffer
      - .offset:         32
        .size:           4
        .value_kind:     by_value
      - .offset:         36
        .size:           4
        .value_kind:     by_value
      - .offset:         40
        .size:           4
        .value_kind:     by_value
      - .offset:         44
        .size:           4
        .value_kind:     by_value
      - .offset:         48
        .size:           4
        .value_kind:     hidden_block_count_x
      - .offset:         52
        .size:           4
        .value_kind:     hidden_block_count_y
      - .offset:         56
        .size:           4
        .value_kind:     hidden_block_count_z
      - .offset:         60
        .size:           2
        .value_kind:     hidden_group_size_x
      - .offset:         62
        .size:           2
        .value_kind:     hidden_group_size_y
      - .offset:         64
        .size:           2
        .value_kind:     hidden_group_size_z
      - .offset:         66
        .size:           2
        .value_kind:     hidden_remainder_x
      - .offset:         68
        .size:           2
        .value_kind:     hidden_remainder_y
      - .offset:         70
        .size:           2
        .value_kind:     hidden_remainder_z
      - .offset:         88
        .size:           8
        .value_kind:     hidden_global_offset_x
      - .offset:         96
        .size:           8
        .value_kind:     hidden_global_offset_y
      - .offset:         104
        .size:           8
        .value_kind:     hidden_global_offset_z
      - .offset:         112
        .size:           2
        .value_kind:     hidden_grid_dims
    .group_segment_fixed_size: 0
    .kernarg_segment_align: 8
    .kernarg_segment_size: 304
    .language:       OpenCL C
    .language_version:
      - 2
      - 0
    .max_flat_workgroup_size: 1024
    .name:           _ZL9moe_vec_qIN3c108BFloat16ELi256ELi8E13block_iq2_xxsLi1EXadL_ZL20vec_dot_iq2_xxs_q8_1PKvPK10block_q8_1RKiEEEvS4_S4_PT_PS8_iiii
    .private_segment_fixed_size: 0
    .sgpr_count:     67
    .sgpr_spill_count: 0
    .symbol:         _ZL9moe_vec_qIN3c108BFloat16ELi256ELi8E13block_iq2_xxsLi1EXadL_ZL20vec_dot_iq2_xxs_q8_1PKvPK10block_q8_1RKiEEEvS4_S4_PT_PS8_iiii.kd
    .uniform_work_group_size: 1
    .uses_dynamic_stack: false
    .vgpr_count:     73
    .vgpr_spill_count: 0
    .wavefront_size: 64
  - .agpr_count:     0
    .args:
      - .actual_access:  read_only
        .address_space:  global
        .offset:         0
        .size:           8
        .value_kind:     global_buffer
      - .actual_access:  read_only
        .address_space:  global
        .offset:         8
        .size:           8
        .value_kind:     global_buffer
      - .actual_access:  write_only
        .address_space:  global
        .offset:         16
        .size:           8
        .value_kind:     global_buffer
      - .address_space:  global
        .offset:         24
        .size:           8
        .value_kind:     global_buffer
      - .offset:         32
        .size:           4
        .value_kind:     by_value
      - .offset:         36
        .size:           4
        .value_kind:     by_value
      - .offset:         40
        .size:           4
        .value_kind:     by_value
      - .offset:         44
        .size:           4
        .value_kind:     by_value
      - .offset:         48
        .size:           4
        .value_kind:     hidden_block_count_x
      - .offset:         52
        .size:           4
        .value_kind:     hidden_block_count_y
      - .offset:         56
        .size:           4
        .value_kind:     hidden_block_count_z
      - .offset:         60
        .size:           2
        .value_kind:     hidden_group_size_x
      - .offset:         62
        .size:           2
        .value_kind:     hidden_group_size_y
      - .offset:         64
        .size:           2
        .value_kind:     hidden_group_size_z
      - .offset:         66
        .size:           2
        .value_kind:     hidden_remainder_x
      - .offset:         68
        .size:           2
        .value_kind:     hidden_remainder_y
      - .offset:         70
        .size:           2
        .value_kind:     hidden_remainder_z
      - .offset:         88
        .size:           8
        .value_kind:     hidden_global_offset_x
      - .offset:         96
        .size:           8
        .value_kind:     hidden_global_offset_y
      - .offset:         104
        .size:           8
        .value_kind:     hidden_global_offset_z
      - .offset:         112
        .size:           2
        .value_kind:     hidden_grid_dims
    .group_segment_fixed_size: 0
    .kernarg_segment_align: 8
    .kernarg_segment_size: 304
    .language:       OpenCL C
    .language_version:
      - 2
      - 0
    .max_flat_workgroup_size: 1024
    .name:           _ZL9moe_vec_qIN3c108BFloat16ELi256ELi8E12block_iq2_xsLi1EXadL_ZL19vec_dot_iq2_xs_q8_1PKvPK10block_q8_1RKiEEEvS4_S4_PT_PS8_iiii
    .private_segment_fixed_size: 0
    .sgpr_count:     81
    .sgpr_spill_count: 0
    .symbol:         _ZL9moe_vec_qIN3c108BFloat16ELi256ELi8E12block_iq2_xsLi1EXadL_ZL19vec_dot_iq2_xs_q8_1PKvPK10block_q8_1RKiEEEvS4_S4_PT_PS8_iiii.kd
    .uniform_work_group_size: 1
    .uses_dynamic_stack: false
    .vgpr_count:     82
    .vgpr_spill_count: 0
    .wavefront_size: 64
  - .agpr_count:     0
    .args:
      - .actual_access:  read_only
        .address_space:  global
        .offset:         0
        .size:           8
        .value_kind:     global_buffer
      - .actual_access:  read_only
        .address_space:  global
        .offset:         8
        .size:           8
        .value_kind:     global_buffer
      - .actual_access:  write_only
        .address_space:  global
        .offset:         16
        .size:           8
        .value_kind:     global_buffer
      - .address_space:  global
        .offset:         24
        .size:           8
        .value_kind:     global_buffer
      - .offset:         32
        .size:           4
        .value_kind:     by_value
      - .offset:         36
        .size:           4
        .value_kind:     by_value
      - .offset:         40
        .size:           4
        .value_kind:     by_value
      - .offset:         44
        .size:           4
        .value_kind:     by_value
      - .offset:         48
        .size:           4
        .value_kind:     hidden_block_count_x
      - .offset:         52
        .size:           4
        .value_kind:     hidden_block_count_y
      - .offset:         56
        .size:           4
        .value_kind:     hidden_block_count_z
      - .offset:         60
        .size:           2
        .value_kind:     hidden_group_size_x
      - .offset:         62
        .size:           2
        .value_kind:     hidden_group_size_y
      - .offset:         64
        .size:           2
        .value_kind:     hidden_group_size_z
      - .offset:         66
        .size:           2
        .value_kind:     hidden_remainder_x
      - .offset:         68
        .size:           2
        .value_kind:     hidden_remainder_y
      - .offset:         70
        .size:           2
        .value_kind:     hidden_remainder_z
      - .offset:         88
        .size:           8
        .value_kind:     hidden_global_offset_x
      - .offset:         96
        .size:           8
        .value_kind:     hidden_global_offset_y
      - .offset:         104
        .size:           8
        .value_kind:     hidden_global_offset_z
      - .offset:         112
        .size:           2
        .value_kind:     hidden_grid_dims
    .group_segment_fixed_size: 0
    .kernarg_segment_align: 8
    .kernarg_segment_size: 304
    .language:       OpenCL C
    .language_version:
      - 2
      - 0
    .max_flat_workgroup_size: 1024
    .name:           _ZL9moe_vec_qIN3c108BFloat16ELi256ELi8E13block_iq3_xxsLi1EXadL_ZL20vec_dot_iq3_xxs_q8_1PKvPK10block_q8_1RKiEEEvS4_S4_PT_PS8_iiii
    .private_segment_fixed_size: 0
    .sgpr_count:     26
    .sgpr_spill_count: 0
    .symbol:         _ZL9moe_vec_qIN3c108BFloat16ELi256ELi8E13block_iq3_xxsLi1EXadL_ZL20vec_dot_iq3_xxs_q8_1PKvPK10block_q8_1RKiEEEvS4_S4_PT_PS8_iiii.kd
    .uniform_work_group_size: 1
    .uses_dynamic_stack: false
    .vgpr_count:     61
    .vgpr_spill_count: 0
    .wavefront_size: 64
  - .agpr_count:     0
    .args:
      - .actual_access:  read_only
        .address_space:  global
        .offset:         0
        .size:           8
        .value_kind:     global_buffer
      - .actual_access:  read_only
        .address_space:  global
        .offset:         8
        .size:           8
        .value_kind:     global_buffer
      - .actual_access:  write_only
        .address_space:  global
        .offset:         16
        .size:           8
        .value_kind:     global_buffer
      - .address_space:  global
        .offset:         24
        .size:           8
        .value_kind:     global_buffer
      - .offset:         32
        .size:           4
        .value_kind:     by_value
      - .offset:         36
        .size:           4
        .value_kind:     by_value
      - .offset:         40
        .size:           4
        .value_kind:     by_value
      - .offset:         44
        .size:           4
        .value_kind:     by_value
      - .offset:         48
        .size:           4
        .value_kind:     hidden_block_count_x
      - .offset:         52
        .size:           4
        .value_kind:     hidden_block_count_y
      - .offset:         56
        .size:           4
        .value_kind:     hidden_block_count_z
      - .offset:         60
        .size:           2
        .value_kind:     hidden_group_size_x
      - .offset:         62
        .size:           2
        .value_kind:     hidden_group_size_y
      - .offset:         64
        .size:           2
        .value_kind:     hidden_group_size_z
      - .offset:         66
        .size:           2
        .value_kind:     hidden_remainder_x
      - .offset:         68
        .size:           2
        .value_kind:     hidden_remainder_y
      - .offset:         70
        .size:           2
        .value_kind:     hidden_remainder_z
      - .offset:         88
        .size:           8
        .value_kind:     hidden_global_offset_x
      - .offset:         96
        .size:           8
        .value_kind:     hidden_global_offset_y
      - .offset:         104
        .size:           8
        .value_kind:     hidden_global_offset_z
      - .offset:         112
        .size:           2
        .value_kind:     hidden_grid_dims
    .group_segment_fixed_size: 0
    .kernarg_segment_align: 8
    .kernarg_segment_size: 304
    .language:       OpenCL C
    .language_version:
      - 2
      - 0
    .max_flat_workgroup_size: 1024
    .name:           _ZL9moe_vec_qIN3c108BFloat16ELi256ELi8E11block_iq1_sLi1EXadL_ZL18vec_dot_iq1_s_q8_1PKvPK10block_q8_1RKiEEEvS4_S4_PT_PS8_iiii
    .private_segment_fixed_size: 0
    .sgpr_count:     26
    .sgpr_spill_count: 0
    .symbol:         _ZL9moe_vec_qIN3c108BFloat16ELi256ELi8E11block_iq1_sLi1EXadL_ZL18vec_dot_iq1_s_q8_1PKvPK10block_q8_1RKiEEEvS4_S4_PT_PS8_iiii.kd
    .uniform_work_group_size: 1
    .uses_dynamic_stack: false
    .vgpr_count:     34
    .vgpr_spill_count: 0
    .wavefront_size: 64
  - .agpr_count:     0
    .args:
      - .actual_access:  read_only
        .address_space:  global
        .offset:         0
        .size:           8
        .value_kind:     global_buffer
      - .actual_access:  read_only
        .address_space:  global
        .offset:         8
        .size:           8
        .value_kind:     global_buffer
      - .actual_access:  write_only
        .address_space:  global
        .offset:         16
        .size:           8
        .value_kind:     global_buffer
      - .address_space:  global
        .offset:         24
        .size:           8
        .value_kind:     global_buffer
      - .offset:         32
        .size:           4
        .value_kind:     by_value
      - .offset:         36
        .size:           4
        .value_kind:     by_value
      - .offset:         40
        .size:           4
        .value_kind:     by_value
      - .offset:         44
        .size:           4
        .value_kind:     by_value
      - .offset:         48
        .size:           4
        .value_kind:     hidden_block_count_x
      - .offset:         52
        .size:           4
        .value_kind:     hidden_block_count_y
      - .offset:         56
        .size:           4
        .value_kind:     hidden_block_count_z
      - .offset:         60
        .size:           2
        .value_kind:     hidden_group_size_x
      - .offset:         62
        .size:           2
        .value_kind:     hidden_group_size_y
      - .offset:         64
        .size:           2
        .value_kind:     hidden_group_size_z
      - .offset:         66
        .size:           2
        .value_kind:     hidden_remainder_x
      - .offset:         68
        .size:           2
        .value_kind:     hidden_remainder_y
      - .offset:         70
        .size:           2
        .value_kind:     hidden_remainder_z
      - .offset:         88
        .size:           8
        .value_kind:     hidden_global_offset_x
      - .offset:         96
        .size:           8
        .value_kind:     hidden_global_offset_y
      - .offset:         104
        .size:           8
        .value_kind:     hidden_global_offset_z
      - .offset:         112
        .size:           2
        .value_kind:     hidden_grid_dims
    .group_segment_fixed_size: 0
    .kernarg_segment_align: 8
    .kernarg_segment_size: 304
    .language:       OpenCL C
    .language_version:
      - 2
      - 0
    .max_flat_workgroup_size: 1024
    .name:           _ZL9moe_vec_qIN3c108BFloat16ELi32ELi4E12block_iq4_nlLi2EXadL_ZL19vec_dot_iq4_nl_q8_1PKvPK10block_q8_1RKiEEEvS4_S4_PT_PS8_iiii
    .private_segment_fixed_size: 0
    .sgpr_count:     26
    .sgpr_spill_count: 0
    .symbol:         _ZL9moe_vec_qIN3c108BFloat16ELi32ELi4E12block_iq4_nlLi2EXadL_ZL19vec_dot_iq4_nl_q8_1PKvPK10block_q8_1RKiEEEvS4_S4_PT_PS8_iiii.kd
    .uniform_work_group_size: 1
    .uses_dynamic_stack: false
    .vgpr_count:     47
    .vgpr_spill_count: 0
    .wavefront_size: 64
  - .agpr_count:     0
    .args:
      - .actual_access:  read_only
        .address_space:  global
        .offset:         0
        .size:           8
        .value_kind:     global_buffer
      - .actual_access:  read_only
        .address_space:  global
        .offset:         8
        .size:           8
        .value_kind:     global_buffer
      - .actual_access:  write_only
        .address_space:  global
        .offset:         16
        .size:           8
        .value_kind:     global_buffer
      - .address_space:  global
        .offset:         24
        .size:           8
        .value_kind:     global_buffer
      - .offset:         32
        .size:           4
        .value_kind:     by_value
      - .offset:         36
        .size:           4
        .value_kind:     by_value
      - .offset:         40
        .size:           4
        .value_kind:     by_value
      - .offset:         44
        .size:           4
        .value_kind:     by_value
      - .offset:         48
        .size:           4
        .value_kind:     hidden_block_count_x
      - .offset:         52
        .size:           4
        .value_kind:     hidden_block_count_y
      - .offset:         56
        .size:           4
        .value_kind:     hidden_block_count_z
      - .offset:         60
        .size:           2
        .value_kind:     hidden_group_size_x
      - .offset:         62
        .size:           2
        .value_kind:     hidden_group_size_y
      - .offset:         64
        .size:           2
        .value_kind:     hidden_group_size_z
      - .offset:         66
        .size:           2
        .value_kind:     hidden_remainder_x
      - .offset:         68
        .size:           2
        .value_kind:     hidden_remainder_y
      - .offset:         70
        .size:           2
        .value_kind:     hidden_remainder_z
      - .offset:         88
        .size:           8
        .value_kind:     hidden_global_offset_x
      - .offset:         96
        .size:           8
        .value_kind:     hidden_global_offset_y
      - .offset:         104
        .size:           8
        .value_kind:     hidden_global_offset_z
      - .offset:         112
        .size:           2
        .value_kind:     hidden_grid_dims
    .group_segment_fixed_size: 0
    .kernarg_segment_align: 8
    .kernarg_segment_size: 304
    .language:       OpenCL C
    .language_version:
      - 2
      - 0
    .max_flat_workgroup_size: 1024
    .name:           _ZL9moe_vec_qIN3c108BFloat16ELi256ELi8E11block_iq3_sLi1EXadL_ZL18vec_dot_iq3_s_q8_1PKvPK10block_q8_1RKiEEEvS4_S4_PT_PS8_iiii
    .private_segment_fixed_size: 0
    .sgpr_count:     26
    .sgpr_spill_count: 0
    .symbol:         _ZL9moe_vec_qIN3c108BFloat16ELi256ELi8E11block_iq3_sLi1EXadL_ZL18vec_dot_iq3_s_q8_1PKvPK10block_q8_1RKiEEEvS4_S4_PT_PS8_iiii.kd
    .uniform_work_group_size: 1
    .uses_dynamic_stack: false
    .vgpr_count:     48
    .vgpr_spill_count: 0
    .wavefront_size: 64
  - .agpr_count:     0
    .args:
      - .actual_access:  read_only
        .address_space:  global
        .offset:         0
        .size:           8
        .value_kind:     global_buffer
      - .actual_access:  read_only
        .address_space:  global
        .offset:         8
        .size:           8
        .value_kind:     global_buffer
      - .actual_access:  write_only
        .address_space:  global
        .offset:         16
        .size:           8
        .value_kind:     global_buffer
      - .address_space:  global
        .offset:         24
        .size:           8
        .value_kind:     global_buffer
      - .offset:         32
        .size:           4
        .value_kind:     by_value
      - .offset:         36
        .size:           4
        .value_kind:     by_value
      - .offset:         40
        .size:           4
        .value_kind:     by_value
      - .offset:         44
        .size:           4
        .value_kind:     by_value
      - .offset:         48
        .size:           4
        .value_kind:     hidden_block_count_x
      - .offset:         52
        .size:           4
        .value_kind:     hidden_block_count_y
      - .offset:         56
        .size:           4
        .value_kind:     hidden_block_count_z
      - .offset:         60
        .size:           2
        .value_kind:     hidden_group_size_x
      - .offset:         62
        .size:           2
        .value_kind:     hidden_group_size_y
      - .offset:         64
        .size:           2
        .value_kind:     hidden_group_size_z
      - .offset:         66
        .size:           2
        .value_kind:     hidden_remainder_x
      - .offset:         68
        .size:           2
        .value_kind:     hidden_remainder_y
      - .offset:         70
        .size:           2
        .value_kind:     hidden_remainder_z
      - .offset:         88
        .size:           8
        .value_kind:     hidden_global_offset_x
      - .offset:         96
        .size:           8
        .value_kind:     hidden_global_offset_y
      - .offset:         104
        .size:           8
        .value_kind:     hidden_global_offset_z
      - .offset:         112
        .size:           2
        .value_kind:     hidden_grid_dims
    .group_segment_fixed_size: 0
    .kernarg_segment_align: 8
    .kernarg_segment_size: 304
    .language:       OpenCL C
    .language_version:
      - 2
      - 0
    .max_flat_workgroup_size: 1024
    .name:           _ZL9moe_vec_qIN3c108BFloat16ELi256ELi8E11block_iq2_sLi1EXadL_ZL18vec_dot_iq2_s_q8_1PKvPK10block_q8_1RKiEEEvS4_S4_PT_PS8_iiii
    .private_segment_fixed_size: 0
    .sgpr_count:     26
    .sgpr_spill_count: 0
    .symbol:         _ZL9moe_vec_qIN3c108BFloat16ELi256ELi8E11block_iq2_sLi1EXadL_ZL18vec_dot_iq2_s_q8_1PKvPK10block_q8_1RKiEEEvS4_S4_PT_PS8_iiii.kd
    .uniform_work_group_size: 1
    .uses_dynamic_stack: false
    .vgpr_count:     65
    .vgpr_spill_count: 0
    .wavefront_size: 64
  - .agpr_count:     0
    .args:
      - .actual_access:  read_only
        .address_space:  global
        .offset:         0
        .size:           8
        .value_kind:     global_buffer
      - .actual_access:  read_only
        .address_space:  global
        .offset:         8
        .size:           8
        .value_kind:     global_buffer
      - .actual_access:  write_only
        .address_space:  global
        .offset:         16
        .size:           8
        .value_kind:     global_buffer
      - .address_space:  global
        .offset:         24
        .size:           8
        .value_kind:     global_buffer
      - .offset:         32
        .size:           4
        .value_kind:     by_value
      - .offset:         36
        .size:           4
        .value_kind:     by_value
      - .offset:         40
        .size:           4
        .value_kind:     by_value
      - .offset:         44
        .size:           4
        .value_kind:     by_value
      - .offset:         48
        .size:           4
        .value_kind:     hidden_block_count_x
      - .offset:         52
        .size:           4
        .value_kind:     hidden_block_count_y
      - .offset:         56
        .size:           4
        .value_kind:     hidden_block_count_z
      - .offset:         60
        .size:           2
        .value_kind:     hidden_group_size_x
      - .offset:         62
        .size:           2
        .value_kind:     hidden_group_size_y
      - .offset:         64
        .size:           2
        .value_kind:     hidden_group_size_z
      - .offset:         66
        .size:           2
        .value_kind:     hidden_remainder_x
      - .offset:         68
        .size:           2
        .value_kind:     hidden_remainder_y
      - .offset:         70
        .size:           2
        .value_kind:     hidden_remainder_z
      - .offset:         88
        .size:           8
        .value_kind:     hidden_global_offset_x
      - .offset:         96
        .size:           8
        .value_kind:     hidden_global_offset_y
      - .offset:         104
        .size:           8
        .value_kind:     hidden_global_offset_z
      - .offset:         112
        .size:           2
        .value_kind:     hidden_grid_dims
    .group_segment_fixed_size: 0
    .kernarg_segment_align: 8
    .kernarg_segment_size: 304
    .language:       OpenCL C
    .language_version:
      - 2
      - 0
    .max_flat_workgroup_size: 1024
    .name:           _ZL9moe_vec_qIN3c108BFloat16ELi256ELi8E12block_iq4_xsLi1EXadL_ZL19vec_dot_iq4_xs_q8_1PKvPK10block_q8_1RKiEEEvS4_S4_PT_PS8_iiii
    .private_segment_fixed_size: 0
    .sgpr_count:     26
    .sgpr_spill_count: 0
    .symbol:         _ZL9moe_vec_qIN3c108BFloat16ELi256ELi8E12block_iq4_xsLi1EXadL_ZL19vec_dot_iq4_xs_q8_1PKvPK10block_q8_1RKiEEEvS4_S4_PT_PS8_iiii.kd
    .uniform_work_group_size: 1
    .uses_dynamic_stack: false
    .vgpr_count:     64
    .vgpr_spill_count: 0
    .wavefront_size: 64
  - .agpr_count:     0
    .args:
      - .actual_access:  read_only
        .address_space:  global
        .offset:         0
        .size:           8
        .value_kind:     global_buffer
      - .actual_access:  read_only
        .address_space:  global
        .offset:         8
        .size:           8
        .value_kind:     global_buffer
      - .actual_access:  write_only
        .address_space:  global
        .offset:         16
        .size:           8
        .value_kind:     global_buffer
      - .address_space:  global
        .offset:         24
        .size:           8
        .value_kind:     global_buffer
      - .offset:         32
        .size:           4
        .value_kind:     by_value
      - .offset:         36
        .size:           4
        .value_kind:     by_value
      - .offset:         40
        .size:           4
        .value_kind:     by_value
      - .offset:         44
        .size:           4
        .value_kind:     by_value
      - .offset:         48
        .size:           4
        .value_kind:     hidden_block_count_x
      - .offset:         52
        .size:           4
        .value_kind:     hidden_block_count_y
      - .offset:         56
        .size:           4
        .value_kind:     hidden_block_count_z
      - .offset:         60
        .size:           2
        .value_kind:     hidden_group_size_x
      - .offset:         62
        .size:           2
        .value_kind:     hidden_group_size_y
      - .offset:         64
        .size:           2
        .value_kind:     hidden_group_size_z
      - .offset:         66
        .size:           2
        .value_kind:     hidden_remainder_x
      - .offset:         68
        .size:           2
        .value_kind:     hidden_remainder_y
      - .offset:         70
        .size:           2
        .value_kind:     hidden_remainder_z
      - .offset:         88
        .size:           8
        .value_kind:     hidden_global_offset_x
      - .offset:         96
        .size:           8
        .value_kind:     hidden_global_offset_y
      - .offset:         104
        .size:           8
        .value_kind:     hidden_global_offset_z
      - .offset:         112
        .size:           2
        .value_kind:     hidden_grid_dims
    .group_segment_fixed_size: 0
    .kernarg_segment_align: 8
    .kernarg_segment_size: 304
    .language:       OpenCL C
    .language_version:
      - 2
      - 0
    .max_flat_workgroup_size: 1024
    .name:           _ZL9moe_vec_qIN3c108BFloat16ELi256ELi8E11block_iq1_mLi1EXadL_ZL18vec_dot_iq1_m_q8_1PKvPK10block_q8_1RKiEEEvS4_S4_PT_PS8_iiii
    .private_segment_fixed_size: 0
    .sgpr_count:     28
    .sgpr_spill_count: 0
    .symbol:         _ZL9moe_vec_qIN3c108BFloat16ELi256ELi8E11block_iq1_mLi1EXadL_ZL18vec_dot_iq1_m_q8_1PKvPK10block_q8_1RKiEEEvS4_S4_PT_PS8_iiii.kd
    .uniform_work_group_size: 1
    .uses_dynamic_stack: false
    .vgpr_count:     47
    .vgpr_spill_count: 0
    .wavefront_size: 64
amdhsa.target:   amdgcn-amd-amdhsa--gfx942
amdhsa.version:
  - 1
  - 2
...

	.end_amdgpu_metadata
